;; amdgpu-corpus repo=ROCm/composable_kernel kind=compiled arch=gfx1201 opt=O3
	.amdgcn_target "amdgcn-amd-amdhsa--gfx1201"
	.amdhsa_code_object_version 6
	.section	.text._ZN2ckL12flush_icacheEv,"axG",@progbits,_ZN2ckL12flush_icacheEv,comdat
	.globl	_ZN2ckL12flush_icacheEv         ; -- Begin function _ZN2ckL12flush_icacheEv
	.p2align	8
	.type	_ZN2ckL12flush_icacheEv,@function
_ZN2ckL12flush_icacheEv:                ; @_ZN2ckL12flush_icacheEv
; %bb.0:
	;;#ASMSTART
	s_icache_inv 
	s_nop 0 
	s_nop 0 
	;; [unrolled: 1-line block ×16, first 2 shown]
	
	;;#ASMEND
	s_endpgm
	.section	.rodata,"a",@progbits
	.p2align	6, 0x0
	.amdhsa_kernel _ZN2ckL12flush_icacheEv
		.amdhsa_group_segment_fixed_size 0
		.amdhsa_private_segment_fixed_size 0
		.amdhsa_kernarg_size 0
		.amdhsa_user_sgpr_count 0
		.amdhsa_user_sgpr_dispatch_ptr 0
		.amdhsa_user_sgpr_queue_ptr 0
		.amdhsa_user_sgpr_kernarg_segment_ptr 0
		.amdhsa_user_sgpr_dispatch_id 0
		.amdhsa_user_sgpr_private_segment_size 0
		.amdhsa_wavefront_size32 1
		.amdhsa_uses_dynamic_stack 0
		.amdhsa_enable_private_segment 0
		.amdhsa_system_sgpr_workgroup_id_x 1
		.amdhsa_system_sgpr_workgroup_id_y 0
		.amdhsa_system_sgpr_workgroup_id_z 0
		.amdhsa_system_sgpr_workgroup_info 0
		.amdhsa_system_vgpr_workitem_id 0
		.amdhsa_next_free_vgpr 1
		.amdhsa_next_free_sgpr 1
		.amdhsa_reserve_vcc 0
		.amdhsa_float_round_mode_32 0
		.amdhsa_float_round_mode_16_64 0
		.amdhsa_float_denorm_mode_32 3
		.amdhsa_float_denorm_mode_16_64 3
		.amdhsa_fp16_overflow 0
		.amdhsa_workgroup_processor_mode 1
		.amdhsa_memory_ordered 1
		.amdhsa_forward_progress 1
		.amdhsa_inst_pref_size 1
		.amdhsa_round_robin_scheduling 0
		.amdhsa_exception_fp_ieee_invalid_op 0
		.amdhsa_exception_fp_denorm_src 0
		.amdhsa_exception_fp_ieee_div_zero 0
		.amdhsa_exception_fp_ieee_overflow 0
		.amdhsa_exception_fp_ieee_underflow 0
		.amdhsa_exception_fp_ieee_inexact 0
		.amdhsa_exception_int_div_zero 0
	.end_amdhsa_kernel
	.section	.text._ZN2ckL12flush_icacheEv,"axG",@progbits,_ZN2ckL12flush_icacheEv,comdat
.Lfunc_end0:
	.size	_ZN2ckL12flush_icacheEv, .Lfunc_end0-_ZN2ckL12flush_icacheEv
                                        ; -- End function
	.set _ZN2ckL12flush_icacheEv.num_vgpr, 0
	.set _ZN2ckL12flush_icacheEv.num_agpr, 0
	.set _ZN2ckL12flush_icacheEv.numbered_sgpr, 0
	.set _ZN2ckL12flush_icacheEv.num_named_barrier, 0
	.set _ZN2ckL12flush_icacheEv.private_seg_size, 0
	.set _ZN2ckL12flush_icacheEv.uses_vcc, 0
	.set _ZN2ckL12flush_icacheEv.uses_flat_scratch, 0
	.set _ZN2ckL12flush_icacheEv.has_dyn_sized_stack, 0
	.set _ZN2ckL12flush_icacheEv.has_recursion, 0
	.set _ZN2ckL12flush_icacheEv.has_indirect_call, 0
	.section	.AMDGPU.csdata,"",@progbits
; Kernel info:
; codeLenInByte = 4
; TotalNumSgprs: 0
; NumVgprs: 0
; ScratchSize: 0
; MemoryBound: 0
; FloatMode: 240
; IeeeMode: 1
; LDSByteSize: 0 bytes/workgroup (compile time only)
; SGPRBlocks: 0
; VGPRBlocks: 0
; NumSGPRsForWavesPerEU: 1
; NumVGPRsForWavesPerEU: 1
; Occupancy: 16
; WaveLimiterHint : 0
; COMPUTE_PGM_RSRC2:SCRATCH_EN: 0
; COMPUTE_PGM_RSRC2:USER_SGPR: 0
; COMPUTE_PGM_RSRC2:TRAP_HANDLER: 0
; COMPUTE_PGM_RSRC2:TGID_X_EN: 1
; COMPUTE_PGM_RSRC2:TGID_Y_EN: 0
; COMPUTE_PGM_RSRC2:TGID_Z_EN: 0
; COMPUTE_PGM_RSRC2:TIDIG_COMP_CNT: 0
	.section	.text._ZN2ck27kernel_gemm_xdl_cshuffle_v3INS_28GridwiseGemm_xdl_cshuffle_v3INS_13tensor_layout4gemm8RowMajorENS3_11ColumnMajorES4_DF16_NS_9f8_fnuz_tEfDF16_DF16_NS_16tensor_operation12element_wise11PassThroughES9_S9_LNS7_6device18GemmSpecializationE0ELi64ELi32ELi32ELi256ELi8ELi16ELi16ELi16ELi2ELi2ENS_8SequenceIJLi32ELi2ELi1EEEENSC_IJLi1ELi0ELi2EEEESE_Li2ELi8ELi8ELb0ELi0ENSC_IJLi16ELi4ELi1EEEESE_SE_Li2ELi16ELi16ELb0ELi0ELi1ELi1ENSC_IJLi1ELi16ELi1ELi4EEEELi4ELNS_26BlockGemmPipelineSchedulerE1ELNS_24BlockGemmPipelineVersionE0EDF16_DF16_Lb0ELb0ELb0ELi0ELb0EEELb1ELNS_25InMemoryDataOperationEnumE1ELi2ELNS_10TailNumberE10EEEvNT_8ArgumentE,"axG",@progbits,_ZN2ck27kernel_gemm_xdl_cshuffle_v3INS_28GridwiseGemm_xdl_cshuffle_v3INS_13tensor_layout4gemm8RowMajorENS3_11ColumnMajorES4_DF16_NS_9f8_fnuz_tEfDF16_DF16_NS_16tensor_operation12element_wise11PassThroughES9_S9_LNS7_6device18GemmSpecializationE0ELi64ELi32ELi32ELi256ELi8ELi16ELi16ELi16ELi2ELi2ENS_8SequenceIJLi32ELi2ELi1EEEENSC_IJLi1ELi0ELi2EEEESE_Li2ELi8ELi8ELb0ELi0ENSC_IJLi16ELi4ELi1EEEESE_SE_Li2ELi16ELi16ELb0ELi0ELi1ELi1ENSC_IJLi1ELi16ELi1ELi4EEEELi4ELNS_26BlockGemmPipelineSchedulerE1ELNS_24BlockGemmPipelineVersionE0EDF16_DF16_Lb0ELb0ELb0ELi0ELb0EEELb1ELNS_25InMemoryDataOperationEnumE1ELi2ELNS_10TailNumberE10EEEvNT_8ArgumentE,comdat
	.protected	_ZN2ck27kernel_gemm_xdl_cshuffle_v3INS_28GridwiseGemm_xdl_cshuffle_v3INS_13tensor_layout4gemm8RowMajorENS3_11ColumnMajorES4_DF16_NS_9f8_fnuz_tEfDF16_DF16_NS_16tensor_operation12element_wise11PassThroughES9_S9_LNS7_6device18GemmSpecializationE0ELi64ELi32ELi32ELi256ELi8ELi16ELi16ELi16ELi2ELi2ENS_8SequenceIJLi32ELi2ELi1EEEENSC_IJLi1ELi0ELi2EEEESE_Li2ELi8ELi8ELb0ELi0ENSC_IJLi16ELi4ELi1EEEESE_SE_Li2ELi16ELi16ELb0ELi0ELi1ELi1ENSC_IJLi1ELi16ELi1ELi4EEEELi4ELNS_26BlockGemmPipelineSchedulerE1ELNS_24BlockGemmPipelineVersionE0EDF16_DF16_Lb0ELb0ELb0ELi0ELb0EEELb1ELNS_25InMemoryDataOperationEnumE1ELi2ELNS_10TailNumberE10EEEvNT_8ArgumentE ; -- Begin function _ZN2ck27kernel_gemm_xdl_cshuffle_v3INS_28GridwiseGemm_xdl_cshuffle_v3INS_13tensor_layout4gemm8RowMajorENS3_11ColumnMajorES4_DF16_NS_9f8_fnuz_tEfDF16_DF16_NS_16tensor_operation12element_wise11PassThroughES9_S9_LNS7_6device18GemmSpecializationE0ELi64ELi32ELi32ELi256ELi8ELi16ELi16ELi16ELi2ELi2ENS_8SequenceIJLi32ELi2ELi1EEEENSC_IJLi1ELi0ELi2EEEESE_Li2ELi8ELi8ELb0ELi0ENSC_IJLi16ELi4ELi1EEEESE_SE_Li2ELi16ELi16ELb0ELi0ELi1ELi1ENSC_IJLi1ELi16ELi1ELi4EEEELi4ELNS_26BlockGemmPipelineSchedulerE1ELNS_24BlockGemmPipelineVersionE0EDF16_DF16_Lb0ELb0ELb0ELi0ELb0EEELb1ELNS_25InMemoryDataOperationEnumE1ELi2ELNS_10TailNumberE10EEEvNT_8ArgumentE
	.globl	_ZN2ck27kernel_gemm_xdl_cshuffle_v3INS_28GridwiseGemm_xdl_cshuffle_v3INS_13tensor_layout4gemm8RowMajorENS3_11ColumnMajorES4_DF16_NS_9f8_fnuz_tEfDF16_DF16_NS_16tensor_operation12element_wise11PassThroughES9_S9_LNS7_6device18GemmSpecializationE0ELi64ELi32ELi32ELi256ELi8ELi16ELi16ELi16ELi2ELi2ENS_8SequenceIJLi32ELi2ELi1EEEENSC_IJLi1ELi0ELi2EEEESE_Li2ELi8ELi8ELb0ELi0ENSC_IJLi16ELi4ELi1EEEESE_SE_Li2ELi16ELi16ELb0ELi0ELi1ELi1ENSC_IJLi1ELi16ELi1ELi4EEEELi4ELNS_26BlockGemmPipelineSchedulerE1ELNS_24BlockGemmPipelineVersionE0EDF16_DF16_Lb0ELb0ELb0ELi0ELb0EEELb1ELNS_25InMemoryDataOperationEnumE1ELi2ELNS_10TailNumberE10EEEvNT_8ArgumentE
	.p2align	8
	.type	_ZN2ck27kernel_gemm_xdl_cshuffle_v3INS_28GridwiseGemm_xdl_cshuffle_v3INS_13tensor_layout4gemm8RowMajorENS3_11ColumnMajorES4_DF16_NS_9f8_fnuz_tEfDF16_DF16_NS_16tensor_operation12element_wise11PassThroughES9_S9_LNS7_6device18GemmSpecializationE0ELi64ELi32ELi32ELi256ELi8ELi16ELi16ELi16ELi2ELi2ENS_8SequenceIJLi32ELi2ELi1EEEENSC_IJLi1ELi0ELi2EEEESE_Li2ELi8ELi8ELb0ELi0ENSC_IJLi16ELi4ELi1EEEESE_SE_Li2ELi16ELi16ELb0ELi0ELi1ELi1ENSC_IJLi1ELi16ELi1ELi4EEEELi4ELNS_26BlockGemmPipelineSchedulerE1ELNS_24BlockGemmPipelineVersionE0EDF16_DF16_Lb0ELb0ELb0ELi0ELb0EEELb1ELNS_25InMemoryDataOperationEnumE1ELi2ELNS_10TailNumberE10EEEvNT_8ArgumentE,@function
_ZN2ck27kernel_gemm_xdl_cshuffle_v3INS_28GridwiseGemm_xdl_cshuffle_v3INS_13tensor_layout4gemm8RowMajorENS3_11ColumnMajorES4_DF16_NS_9f8_fnuz_tEfDF16_DF16_NS_16tensor_operation12element_wise11PassThroughES9_S9_LNS7_6device18GemmSpecializationE0ELi64ELi32ELi32ELi256ELi8ELi16ELi16ELi16ELi2ELi2ENS_8SequenceIJLi32ELi2ELi1EEEENSC_IJLi1ELi0ELi2EEEESE_Li2ELi8ELi8ELb0ELi0ENSC_IJLi16ELi4ELi1EEEESE_SE_Li2ELi16ELi16ELb0ELi0ELi1ELi1ENSC_IJLi1ELi16ELi1ELi4EEEELi4ELNS_26BlockGemmPipelineSchedulerE1ELNS_24BlockGemmPipelineVersionE0EDF16_DF16_Lb0ELb0ELb0ELi0ELb0EEELb1ELNS_25InMemoryDataOperationEnumE1ELi2ELNS_10TailNumberE10EEEvNT_8ArgumentE: ; @_ZN2ck27kernel_gemm_xdl_cshuffle_v3INS_28GridwiseGemm_xdl_cshuffle_v3INS_13tensor_layout4gemm8RowMajorENS3_11ColumnMajorES4_DF16_NS_9f8_fnuz_tEfDF16_DF16_NS_16tensor_operation12element_wise11PassThroughES9_S9_LNS7_6device18GemmSpecializationE0ELi64ELi32ELi32ELi256ELi8ELi16ELi16ELi16ELi2ELi2ENS_8SequenceIJLi32ELi2ELi1EEEENSC_IJLi1ELi0ELi2EEEESE_Li2ELi8ELi8ELb0ELi0ENSC_IJLi16ELi4ELi1EEEESE_SE_Li2ELi16ELi16ELb0ELi0ELi1ELi1ENSC_IJLi1ELi16ELi1ELi4EEEELi4ELNS_26BlockGemmPipelineSchedulerE1ELNS_24BlockGemmPipelineVersionE0EDF16_DF16_Lb0ELb0ELb0ELi0ELb0EEELb1ELNS_25InMemoryDataOperationEnumE1ELi2ELNS_10TailNumberE10EEEvNT_8ArgumentE
; %bb.0:
	s_endpgm
	.section	.rodata,"a",@progbits
	.p2align	6, 0x0
	.amdhsa_kernel _ZN2ck27kernel_gemm_xdl_cshuffle_v3INS_28GridwiseGemm_xdl_cshuffle_v3INS_13tensor_layout4gemm8RowMajorENS3_11ColumnMajorES4_DF16_NS_9f8_fnuz_tEfDF16_DF16_NS_16tensor_operation12element_wise11PassThroughES9_S9_LNS7_6device18GemmSpecializationE0ELi64ELi32ELi32ELi256ELi8ELi16ELi16ELi16ELi2ELi2ENS_8SequenceIJLi32ELi2ELi1EEEENSC_IJLi1ELi0ELi2EEEESE_Li2ELi8ELi8ELb0ELi0ENSC_IJLi16ELi4ELi1EEEESE_SE_Li2ELi16ELi16ELb0ELi0ELi1ELi1ENSC_IJLi1ELi16ELi1ELi4EEEELi4ELNS_26BlockGemmPipelineSchedulerE1ELNS_24BlockGemmPipelineVersionE0EDF16_DF16_Lb0ELb0ELb0ELi0ELb0EEELb1ELNS_25InMemoryDataOperationEnumE1ELi2ELNS_10TailNumberE10EEEvNT_8ArgumentE
		.amdhsa_group_segment_fixed_size 0
		.amdhsa_private_segment_fixed_size 0
		.amdhsa_kernarg_size 112
		.amdhsa_user_sgpr_count 2
		.amdhsa_user_sgpr_dispatch_ptr 0
		.amdhsa_user_sgpr_queue_ptr 0
		.amdhsa_user_sgpr_kernarg_segment_ptr 1
		.amdhsa_user_sgpr_dispatch_id 0
		.amdhsa_user_sgpr_private_segment_size 0
		.amdhsa_wavefront_size32 1
		.amdhsa_uses_dynamic_stack 0
		.amdhsa_enable_private_segment 0
		.amdhsa_system_sgpr_workgroup_id_x 1
		.amdhsa_system_sgpr_workgroup_id_y 0
		.amdhsa_system_sgpr_workgroup_id_z 0
		.amdhsa_system_sgpr_workgroup_info 0
		.amdhsa_system_vgpr_workitem_id 0
		.amdhsa_next_free_vgpr 1
		.amdhsa_next_free_sgpr 1
		.amdhsa_reserve_vcc 0
		.amdhsa_float_round_mode_32 0
		.amdhsa_float_round_mode_16_64 0
		.amdhsa_float_denorm_mode_32 3
		.amdhsa_float_denorm_mode_16_64 3
		.amdhsa_fp16_overflow 0
		.amdhsa_workgroup_processor_mode 1
		.amdhsa_memory_ordered 1
		.amdhsa_forward_progress 1
		.amdhsa_inst_pref_size 1
		.amdhsa_round_robin_scheduling 0
		.amdhsa_exception_fp_ieee_invalid_op 0
		.amdhsa_exception_fp_denorm_src 0
		.amdhsa_exception_fp_ieee_div_zero 0
		.amdhsa_exception_fp_ieee_overflow 0
		.amdhsa_exception_fp_ieee_underflow 0
		.amdhsa_exception_fp_ieee_inexact 0
		.amdhsa_exception_int_div_zero 0
	.end_amdhsa_kernel
	.section	.text._ZN2ck27kernel_gemm_xdl_cshuffle_v3INS_28GridwiseGemm_xdl_cshuffle_v3INS_13tensor_layout4gemm8RowMajorENS3_11ColumnMajorES4_DF16_NS_9f8_fnuz_tEfDF16_DF16_NS_16tensor_operation12element_wise11PassThroughES9_S9_LNS7_6device18GemmSpecializationE0ELi64ELi32ELi32ELi256ELi8ELi16ELi16ELi16ELi2ELi2ENS_8SequenceIJLi32ELi2ELi1EEEENSC_IJLi1ELi0ELi2EEEESE_Li2ELi8ELi8ELb0ELi0ENSC_IJLi16ELi4ELi1EEEESE_SE_Li2ELi16ELi16ELb0ELi0ELi1ELi1ENSC_IJLi1ELi16ELi1ELi4EEEELi4ELNS_26BlockGemmPipelineSchedulerE1ELNS_24BlockGemmPipelineVersionE0EDF16_DF16_Lb0ELb0ELb0ELi0ELb0EEELb1ELNS_25InMemoryDataOperationEnumE1ELi2ELNS_10TailNumberE10EEEvNT_8ArgumentE,"axG",@progbits,_ZN2ck27kernel_gemm_xdl_cshuffle_v3INS_28GridwiseGemm_xdl_cshuffle_v3INS_13tensor_layout4gemm8RowMajorENS3_11ColumnMajorES4_DF16_NS_9f8_fnuz_tEfDF16_DF16_NS_16tensor_operation12element_wise11PassThroughES9_S9_LNS7_6device18GemmSpecializationE0ELi64ELi32ELi32ELi256ELi8ELi16ELi16ELi16ELi2ELi2ENS_8SequenceIJLi32ELi2ELi1EEEENSC_IJLi1ELi0ELi2EEEESE_Li2ELi8ELi8ELb0ELi0ENSC_IJLi16ELi4ELi1EEEESE_SE_Li2ELi16ELi16ELb0ELi0ELi1ELi1ENSC_IJLi1ELi16ELi1ELi4EEEELi4ELNS_26BlockGemmPipelineSchedulerE1ELNS_24BlockGemmPipelineVersionE0EDF16_DF16_Lb0ELb0ELb0ELi0ELb0EEELb1ELNS_25InMemoryDataOperationEnumE1ELi2ELNS_10TailNumberE10EEEvNT_8ArgumentE,comdat
.Lfunc_end1:
	.size	_ZN2ck27kernel_gemm_xdl_cshuffle_v3INS_28GridwiseGemm_xdl_cshuffle_v3INS_13tensor_layout4gemm8RowMajorENS3_11ColumnMajorES4_DF16_NS_9f8_fnuz_tEfDF16_DF16_NS_16tensor_operation12element_wise11PassThroughES9_S9_LNS7_6device18GemmSpecializationE0ELi64ELi32ELi32ELi256ELi8ELi16ELi16ELi16ELi2ELi2ENS_8SequenceIJLi32ELi2ELi1EEEENSC_IJLi1ELi0ELi2EEEESE_Li2ELi8ELi8ELb0ELi0ENSC_IJLi16ELi4ELi1EEEESE_SE_Li2ELi16ELi16ELb0ELi0ELi1ELi1ENSC_IJLi1ELi16ELi1ELi4EEEELi4ELNS_26BlockGemmPipelineSchedulerE1ELNS_24BlockGemmPipelineVersionE0EDF16_DF16_Lb0ELb0ELb0ELi0ELb0EEELb1ELNS_25InMemoryDataOperationEnumE1ELi2ELNS_10TailNumberE10EEEvNT_8ArgumentE, .Lfunc_end1-_ZN2ck27kernel_gemm_xdl_cshuffle_v3INS_28GridwiseGemm_xdl_cshuffle_v3INS_13tensor_layout4gemm8RowMajorENS3_11ColumnMajorES4_DF16_NS_9f8_fnuz_tEfDF16_DF16_NS_16tensor_operation12element_wise11PassThroughES9_S9_LNS7_6device18GemmSpecializationE0ELi64ELi32ELi32ELi256ELi8ELi16ELi16ELi16ELi2ELi2ENS_8SequenceIJLi32ELi2ELi1EEEENSC_IJLi1ELi0ELi2EEEESE_Li2ELi8ELi8ELb0ELi0ENSC_IJLi16ELi4ELi1EEEESE_SE_Li2ELi16ELi16ELb0ELi0ELi1ELi1ENSC_IJLi1ELi16ELi1ELi4EEEELi4ELNS_26BlockGemmPipelineSchedulerE1ELNS_24BlockGemmPipelineVersionE0EDF16_DF16_Lb0ELb0ELb0ELi0ELb0EEELb1ELNS_25InMemoryDataOperationEnumE1ELi2ELNS_10TailNumberE10EEEvNT_8ArgumentE
                                        ; -- End function
	.set _ZN2ck27kernel_gemm_xdl_cshuffle_v3INS_28GridwiseGemm_xdl_cshuffle_v3INS_13tensor_layout4gemm8RowMajorENS3_11ColumnMajorES4_DF16_NS_9f8_fnuz_tEfDF16_DF16_NS_16tensor_operation12element_wise11PassThroughES9_S9_LNS7_6device18GemmSpecializationE0ELi64ELi32ELi32ELi256ELi8ELi16ELi16ELi16ELi2ELi2ENS_8SequenceIJLi32ELi2ELi1EEEENSC_IJLi1ELi0ELi2EEEESE_Li2ELi8ELi8ELb0ELi0ENSC_IJLi16ELi4ELi1EEEESE_SE_Li2ELi16ELi16ELb0ELi0ELi1ELi1ENSC_IJLi1ELi16ELi1ELi4EEEELi4ELNS_26BlockGemmPipelineSchedulerE1ELNS_24BlockGemmPipelineVersionE0EDF16_DF16_Lb0ELb0ELb0ELi0ELb0EEELb1ELNS_25InMemoryDataOperationEnumE1ELi2ELNS_10TailNumberE10EEEvNT_8ArgumentE.num_vgpr, 0
	.set _ZN2ck27kernel_gemm_xdl_cshuffle_v3INS_28GridwiseGemm_xdl_cshuffle_v3INS_13tensor_layout4gemm8RowMajorENS3_11ColumnMajorES4_DF16_NS_9f8_fnuz_tEfDF16_DF16_NS_16tensor_operation12element_wise11PassThroughES9_S9_LNS7_6device18GemmSpecializationE0ELi64ELi32ELi32ELi256ELi8ELi16ELi16ELi16ELi2ELi2ENS_8SequenceIJLi32ELi2ELi1EEEENSC_IJLi1ELi0ELi2EEEESE_Li2ELi8ELi8ELb0ELi0ENSC_IJLi16ELi4ELi1EEEESE_SE_Li2ELi16ELi16ELb0ELi0ELi1ELi1ENSC_IJLi1ELi16ELi1ELi4EEEELi4ELNS_26BlockGemmPipelineSchedulerE1ELNS_24BlockGemmPipelineVersionE0EDF16_DF16_Lb0ELb0ELb0ELi0ELb0EEELb1ELNS_25InMemoryDataOperationEnumE1ELi2ELNS_10TailNumberE10EEEvNT_8ArgumentE.num_agpr, 0
	.set _ZN2ck27kernel_gemm_xdl_cshuffle_v3INS_28GridwiseGemm_xdl_cshuffle_v3INS_13tensor_layout4gemm8RowMajorENS3_11ColumnMajorES4_DF16_NS_9f8_fnuz_tEfDF16_DF16_NS_16tensor_operation12element_wise11PassThroughES9_S9_LNS7_6device18GemmSpecializationE0ELi64ELi32ELi32ELi256ELi8ELi16ELi16ELi16ELi2ELi2ENS_8SequenceIJLi32ELi2ELi1EEEENSC_IJLi1ELi0ELi2EEEESE_Li2ELi8ELi8ELb0ELi0ENSC_IJLi16ELi4ELi1EEEESE_SE_Li2ELi16ELi16ELb0ELi0ELi1ELi1ENSC_IJLi1ELi16ELi1ELi4EEEELi4ELNS_26BlockGemmPipelineSchedulerE1ELNS_24BlockGemmPipelineVersionE0EDF16_DF16_Lb0ELb0ELb0ELi0ELb0EEELb1ELNS_25InMemoryDataOperationEnumE1ELi2ELNS_10TailNumberE10EEEvNT_8ArgumentE.numbered_sgpr, 0
	.set _ZN2ck27kernel_gemm_xdl_cshuffle_v3INS_28GridwiseGemm_xdl_cshuffle_v3INS_13tensor_layout4gemm8RowMajorENS3_11ColumnMajorES4_DF16_NS_9f8_fnuz_tEfDF16_DF16_NS_16tensor_operation12element_wise11PassThroughES9_S9_LNS7_6device18GemmSpecializationE0ELi64ELi32ELi32ELi256ELi8ELi16ELi16ELi16ELi2ELi2ENS_8SequenceIJLi32ELi2ELi1EEEENSC_IJLi1ELi0ELi2EEEESE_Li2ELi8ELi8ELb0ELi0ENSC_IJLi16ELi4ELi1EEEESE_SE_Li2ELi16ELi16ELb0ELi0ELi1ELi1ENSC_IJLi1ELi16ELi1ELi4EEEELi4ELNS_26BlockGemmPipelineSchedulerE1ELNS_24BlockGemmPipelineVersionE0EDF16_DF16_Lb0ELb0ELb0ELi0ELb0EEELb1ELNS_25InMemoryDataOperationEnumE1ELi2ELNS_10TailNumberE10EEEvNT_8ArgumentE.num_named_barrier, 0
	.set _ZN2ck27kernel_gemm_xdl_cshuffle_v3INS_28GridwiseGemm_xdl_cshuffle_v3INS_13tensor_layout4gemm8RowMajorENS3_11ColumnMajorES4_DF16_NS_9f8_fnuz_tEfDF16_DF16_NS_16tensor_operation12element_wise11PassThroughES9_S9_LNS7_6device18GemmSpecializationE0ELi64ELi32ELi32ELi256ELi8ELi16ELi16ELi16ELi2ELi2ENS_8SequenceIJLi32ELi2ELi1EEEENSC_IJLi1ELi0ELi2EEEESE_Li2ELi8ELi8ELb0ELi0ENSC_IJLi16ELi4ELi1EEEESE_SE_Li2ELi16ELi16ELb0ELi0ELi1ELi1ENSC_IJLi1ELi16ELi1ELi4EEEELi4ELNS_26BlockGemmPipelineSchedulerE1ELNS_24BlockGemmPipelineVersionE0EDF16_DF16_Lb0ELb0ELb0ELi0ELb0EEELb1ELNS_25InMemoryDataOperationEnumE1ELi2ELNS_10TailNumberE10EEEvNT_8ArgumentE.private_seg_size, 0
	.set _ZN2ck27kernel_gemm_xdl_cshuffle_v3INS_28GridwiseGemm_xdl_cshuffle_v3INS_13tensor_layout4gemm8RowMajorENS3_11ColumnMajorES4_DF16_NS_9f8_fnuz_tEfDF16_DF16_NS_16tensor_operation12element_wise11PassThroughES9_S9_LNS7_6device18GemmSpecializationE0ELi64ELi32ELi32ELi256ELi8ELi16ELi16ELi16ELi2ELi2ENS_8SequenceIJLi32ELi2ELi1EEEENSC_IJLi1ELi0ELi2EEEESE_Li2ELi8ELi8ELb0ELi0ENSC_IJLi16ELi4ELi1EEEESE_SE_Li2ELi16ELi16ELb0ELi0ELi1ELi1ENSC_IJLi1ELi16ELi1ELi4EEEELi4ELNS_26BlockGemmPipelineSchedulerE1ELNS_24BlockGemmPipelineVersionE0EDF16_DF16_Lb0ELb0ELb0ELi0ELb0EEELb1ELNS_25InMemoryDataOperationEnumE1ELi2ELNS_10TailNumberE10EEEvNT_8ArgumentE.uses_vcc, 0
	.set _ZN2ck27kernel_gemm_xdl_cshuffle_v3INS_28GridwiseGemm_xdl_cshuffle_v3INS_13tensor_layout4gemm8RowMajorENS3_11ColumnMajorES4_DF16_NS_9f8_fnuz_tEfDF16_DF16_NS_16tensor_operation12element_wise11PassThroughES9_S9_LNS7_6device18GemmSpecializationE0ELi64ELi32ELi32ELi256ELi8ELi16ELi16ELi16ELi2ELi2ENS_8SequenceIJLi32ELi2ELi1EEEENSC_IJLi1ELi0ELi2EEEESE_Li2ELi8ELi8ELb0ELi0ENSC_IJLi16ELi4ELi1EEEESE_SE_Li2ELi16ELi16ELb0ELi0ELi1ELi1ENSC_IJLi1ELi16ELi1ELi4EEEELi4ELNS_26BlockGemmPipelineSchedulerE1ELNS_24BlockGemmPipelineVersionE0EDF16_DF16_Lb0ELb0ELb0ELi0ELb0EEELb1ELNS_25InMemoryDataOperationEnumE1ELi2ELNS_10TailNumberE10EEEvNT_8ArgumentE.uses_flat_scratch, 0
	.set _ZN2ck27kernel_gemm_xdl_cshuffle_v3INS_28GridwiseGemm_xdl_cshuffle_v3INS_13tensor_layout4gemm8RowMajorENS3_11ColumnMajorES4_DF16_NS_9f8_fnuz_tEfDF16_DF16_NS_16tensor_operation12element_wise11PassThroughES9_S9_LNS7_6device18GemmSpecializationE0ELi64ELi32ELi32ELi256ELi8ELi16ELi16ELi16ELi2ELi2ENS_8SequenceIJLi32ELi2ELi1EEEENSC_IJLi1ELi0ELi2EEEESE_Li2ELi8ELi8ELb0ELi0ENSC_IJLi16ELi4ELi1EEEESE_SE_Li2ELi16ELi16ELb0ELi0ELi1ELi1ENSC_IJLi1ELi16ELi1ELi4EEEELi4ELNS_26BlockGemmPipelineSchedulerE1ELNS_24BlockGemmPipelineVersionE0EDF16_DF16_Lb0ELb0ELb0ELi0ELb0EEELb1ELNS_25InMemoryDataOperationEnumE1ELi2ELNS_10TailNumberE10EEEvNT_8ArgumentE.has_dyn_sized_stack, 0
	.set _ZN2ck27kernel_gemm_xdl_cshuffle_v3INS_28GridwiseGemm_xdl_cshuffle_v3INS_13tensor_layout4gemm8RowMajorENS3_11ColumnMajorES4_DF16_NS_9f8_fnuz_tEfDF16_DF16_NS_16tensor_operation12element_wise11PassThroughES9_S9_LNS7_6device18GemmSpecializationE0ELi64ELi32ELi32ELi256ELi8ELi16ELi16ELi16ELi2ELi2ENS_8SequenceIJLi32ELi2ELi1EEEENSC_IJLi1ELi0ELi2EEEESE_Li2ELi8ELi8ELb0ELi0ENSC_IJLi16ELi4ELi1EEEESE_SE_Li2ELi16ELi16ELb0ELi0ELi1ELi1ENSC_IJLi1ELi16ELi1ELi4EEEELi4ELNS_26BlockGemmPipelineSchedulerE1ELNS_24BlockGemmPipelineVersionE0EDF16_DF16_Lb0ELb0ELb0ELi0ELb0EEELb1ELNS_25InMemoryDataOperationEnumE1ELi2ELNS_10TailNumberE10EEEvNT_8ArgumentE.has_recursion, 0
	.set _ZN2ck27kernel_gemm_xdl_cshuffle_v3INS_28GridwiseGemm_xdl_cshuffle_v3INS_13tensor_layout4gemm8RowMajorENS3_11ColumnMajorES4_DF16_NS_9f8_fnuz_tEfDF16_DF16_NS_16tensor_operation12element_wise11PassThroughES9_S9_LNS7_6device18GemmSpecializationE0ELi64ELi32ELi32ELi256ELi8ELi16ELi16ELi16ELi2ELi2ENS_8SequenceIJLi32ELi2ELi1EEEENSC_IJLi1ELi0ELi2EEEESE_Li2ELi8ELi8ELb0ELi0ENSC_IJLi16ELi4ELi1EEEESE_SE_Li2ELi16ELi16ELb0ELi0ELi1ELi1ENSC_IJLi1ELi16ELi1ELi4EEEELi4ELNS_26BlockGemmPipelineSchedulerE1ELNS_24BlockGemmPipelineVersionE0EDF16_DF16_Lb0ELb0ELb0ELi0ELb0EEELb1ELNS_25InMemoryDataOperationEnumE1ELi2ELNS_10TailNumberE10EEEvNT_8ArgumentE.has_indirect_call, 0
	.section	.AMDGPU.csdata,"",@progbits
; Kernel info:
; codeLenInByte = 4
; TotalNumSgprs: 0
; NumVgprs: 0
; ScratchSize: 0
; MemoryBound: 0
; FloatMode: 240
; IeeeMode: 1
; LDSByteSize: 0 bytes/workgroup (compile time only)
; SGPRBlocks: 0
; VGPRBlocks: 0
; NumSGPRsForWavesPerEU: 1
; NumVGPRsForWavesPerEU: 1
; Occupancy: 16
; WaveLimiterHint : 0
; COMPUTE_PGM_RSRC2:SCRATCH_EN: 0
; COMPUTE_PGM_RSRC2:USER_SGPR: 2
; COMPUTE_PGM_RSRC2:TRAP_HANDLER: 0
; COMPUTE_PGM_RSRC2:TGID_X_EN: 1
; COMPUTE_PGM_RSRC2:TGID_Y_EN: 0
; COMPUTE_PGM_RSRC2:TGID_Z_EN: 0
; COMPUTE_PGM_RSRC2:TIDIG_COMP_CNT: 0
	.section	.text._ZN2ck27kernel_gemm_xdl_cshuffle_v3INS_28GridwiseGemm_xdl_cshuffle_v3INS_13tensor_layout4gemm8RowMajorENS3_11ColumnMajorES4_DF16_NS_9f8_fnuz_tEfDF16_DF16_NS_16tensor_operation12element_wise11PassThroughES9_S9_LNS7_6device18GemmSpecializationE0ELi64ELi32ELi32ELi256ELi8ELi16ELi16ELi16ELi2ELi2ENS_8SequenceIJLi32ELi2ELi1EEEENSC_IJLi1ELi0ELi2EEEESE_Li2ELi8ELi8ELb0ELi0ENSC_IJLi16ELi4ELi1EEEESE_SE_Li2ELi16ELi16ELb0ELi0ELi1ELi1ENSC_IJLi1ELi16ELi1ELi4EEEELi4ELNS_26BlockGemmPipelineSchedulerE1ELNS_24BlockGemmPipelineVersionE0EDF16_DF16_Lb0ELb0ELb0ELi0ELb0EEELb1ELNS_25InMemoryDataOperationEnumE0ELi2ELNS_10TailNumberE10EEEvNT_8ArgumentE,"axG",@progbits,_ZN2ck27kernel_gemm_xdl_cshuffle_v3INS_28GridwiseGemm_xdl_cshuffle_v3INS_13tensor_layout4gemm8RowMajorENS3_11ColumnMajorES4_DF16_NS_9f8_fnuz_tEfDF16_DF16_NS_16tensor_operation12element_wise11PassThroughES9_S9_LNS7_6device18GemmSpecializationE0ELi64ELi32ELi32ELi256ELi8ELi16ELi16ELi16ELi2ELi2ENS_8SequenceIJLi32ELi2ELi1EEEENSC_IJLi1ELi0ELi2EEEESE_Li2ELi8ELi8ELb0ELi0ENSC_IJLi16ELi4ELi1EEEESE_SE_Li2ELi16ELi16ELb0ELi0ELi1ELi1ENSC_IJLi1ELi16ELi1ELi4EEEELi4ELNS_26BlockGemmPipelineSchedulerE1ELNS_24BlockGemmPipelineVersionE0EDF16_DF16_Lb0ELb0ELb0ELi0ELb0EEELb1ELNS_25InMemoryDataOperationEnumE0ELi2ELNS_10TailNumberE10EEEvNT_8ArgumentE,comdat
	.protected	_ZN2ck27kernel_gemm_xdl_cshuffle_v3INS_28GridwiseGemm_xdl_cshuffle_v3INS_13tensor_layout4gemm8RowMajorENS3_11ColumnMajorES4_DF16_NS_9f8_fnuz_tEfDF16_DF16_NS_16tensor_operation12element_wise11PassThroughES9_S9_LNS7_6device18GemmSpecializationE0ELi64ELi32ELi32ELi256ELi8ELi16ELi16ELi16ELi2ELi2ENS_8SequenceIJLi32ELi2ELi1EEEENSC_IJLi1ELi0ELi2EEEESE_Li2ELi8ELi8ELb0ELi0ENSC_IJLi16ELi4ELi1EEEESE_SE_Li2ELi16ELi16ELb0ELi0ELi1ELi1ENSC_IJLi1ELi16ELi1ELi4EEEELi4ELNS_26BlockGemmPipelineSchedulerE1ELNS_24BlockGemmPipelineVersionE0EDF16_DF16_Lb0ELb0ELb0ELi0ELb0EEELb1ELNS_25InMemoryDataOperationEnumE0ELi2ELNS_10TailNumberE10EEEvNT_8ArgumentE ; -- Begin function _ZN2ck27kernel_gemm_xdl_cshuffle_v3INS_28GridwiseGemm_xdl_cshuffle_v3INS_13tensor_layout4gemm8RowMajorENS3_11ColumnMajorES4_DF16_NS_9f8_fnuz_tEfDF16_DF16_NS_16tensor_operation12element_wise11PassThroughES9_S9_LNS7_6device18GemmSpecializationE0ELi64ELi32ELi32ELi256ELi8ELi16ELi16ELi16ELi2ELi2ENS_8SequenceIJLi32ELi2ELi1EEEENSC_IJLi1ELi0ELi2EEEESE_Li2ELi8ELi8ELb0ELi0ENSC_IJLi16ELi4ELi1EEEESE_SE_Li2ELi16ELi16ELb0ELi0ELi1ELi1ENSC_IJLi1ELi16ELi1ELi4EEEELi4ELNS_26BlockGemmPipelineSchedulerE1ELNS_24BlockGemmPipelineVersionE0EDF16_DF16_Lb0ELb0ELb0ELi0ELb0EEELb1ELNS_25InMemoryDataOperationEnumE0ELi2ELNS_10TailNumberE10EEEvNT_8ArgumentE
	.globl	_ZN2ck27kernel_gemm_xdl_cshuffle_v3INS_28GridwiseGemm_xdl_cshuffle_v3INS_13tensor_layout4gemm8RowMajorENS3_11ColumnMajorES4_DF16_NS_9f8_fnuz_tEfDF16_DF16_NS_16tensor_operation12element_wise11PassThroughES9_S9_LNS7_6device18GemmSpecializationE0ELi64ELi32ELi32ELi256ELi8ELi16ELi16ELi16ELi2ELi2ENS_8SequenceIJLi32ELi2ELi1EEEENSC_IJLi1ELi0ELi2EEEESE_Li2ELi8ELi8ELb0ELi0ENSC_IJLi16ELi4ELi1EEEESE_SE_Li2ELi16ELi16ELb0ELi0ELi1ELi1ENSC_IJLi1ELi16ELi1ELi4EEEELi4ELNS_26BlockGemmPipelineSchedulerE1ELNS_24BlockGemmPipelineVersionE0EDF16_DF16_Lb0ELb0ELb0ELi0ELb0EEELb1ELNS_25InMemoryDataOperationEnumE0ELi2ELNS_10TailNumberE10EEEvNT_8ArgumentE
	.p2align	8
	.type	_ZN2ck27kernel_gemm_xdl_cshuffle_v3INS_28GridwiseGemm_xdl_cshuffle_v3INS_13tensor_layout4gemm8RowMajorENS3_11ColumnMajorES4_DF16_NS_9f8_fnuz_tEfDF16_DF16_NS_16tensor_operation12element_wise11PassThroughES9_S9_LNS7_6device18GemmSpecializationE0ELi64ELi32ELi32ELi256ELi8ELi16ELi16ELi16ELi2ELi2ENS_8SequenceIJLi32ELi2ELi1EEEENSC_IJLi1ELi0ELi2EEEESE_Li2ELi8ELi8ELb0ELi0ENSC_IJLi16ELi4ELi1EEEESE_SE_Li2ELi16ELi16ELb0ELi0ELi1ELi1ENSC_IJLi1ELi16ELi1ELi4EEEELi4ELNS_26BlockGemmPipelineSchedulerE1ELNS_24BlockGemmPipelineVersionE0EDF16_DF16_Lb0ELb0ELb0ELi0ELb0EEELb1ELNS_25InMemoryDataOperationEnumE0ELi2ELNS_10TailNumberE10EEEvNT_8ArgumentE,@function
_ZN2ck27kernel_gemm_xdl_cshuffle_v3INS_28GridwiseGemm_xdl_cshuffle_v3INS_13tensor_layout4gemm8RowMajorENS3_11ColumnMajorES4_DF16_NS_9f8_fnuz_tEfDF16_DF16_NS_16tensor_operation12element_wise11PassThroughES9_S9_LNS7_6device18GemmSpecializationE0ELi64ELi32ELi32ELi256ELi8ELi16ELi16ELi16ELi2ELi2ENS_8SequenceIJLi32ELi2ELi1EEEENSC_IJLi1ELi0ELi2EEEESE_Li2ELi8ELi8ELb0ELi0ENSC_IJLi16ELi4ELi1EEEESE_SE_Li2ELi16ELi16ELb0ELi0ELi1ELi1ENSC_IJLi1ELi16ELi1ELi4EEEELi4ELNS_26BlockGemmPipelineSchedulerE1ELNS_24BlockGemmPipelineVersionE0EDF16_DF16_Lb0ELb0ELb0ELi0ELb0EEELb1ELNS_25InMemoryDataOperationEnumE0ELi2ELNS_10TailNumberE10EEEvNT_8ArgumentE: ; @_ZN2ck27kernel_gemm_xdl_cshuffle_v3INS_28GridwiseGemm_xdl_cshuffle_v3INS_13tensor_layout4gemm8RowMajorENS3_11ColumnMajorES4_DF16_NS_9f8_fnuz_tEfDF16_DF16_NS_16tensor_operation12element_wise11PassThroughES9_S9_LNS7_6device18GemmSpecializationE0ELi64ELi32ELi32ELi256ELi8ELi16ELi16ELi16ELi2ELi2ENS_8SequenceIJLi32ELi2ELi1EEEENSC_IJLi1ELi0ELi2EEEESE_Li2ELi8ELi8ELb0ELi0ENSC_IJLi16ELi4ELi1EEEESE_SE_Li2ELi16ELi16ELb0ELi0ELi1ELi1ENSC_IJLi1ELi16ELi1ELi4EEEELi4ELNS_26BlockGemmPipelineSchedulerE1ELNS_24BlockGemmPipelineVersionE0EDF16_DF16_Lb0ELb0ELb0ELi0ELb0EEELb1ELNS_25InMemoryDataOperationEnumE0ELi2ELNS_10TailNumberE10EEEvNT_8ArgumentE
; %bb.0:
	s_endpgm
	.section	.rodata,"a",@progbits
	.p2align	6, 0x0
	.amdhsa_kernel _ZN2ck27kernel_gemm_xdl_cshuffle_v3INS_28GridwiseGemm_xdl_cshuffle_v3INS_13tensor_layout4gemm8RowMajorENS3_11ColumnMajorES4_DF16_NS_9f8_fnuz_tEfDF16_DF16_NS_16tensor_operation12element_wise11PassThroughES9_S9_LNS7_6device18GemmSpecializationE0ELi64ELi32ELi32ELi256ELi8ELi16ELi16ELi16ELi2ELi2ENS_8SequenceIJLi32ELi2ELi1EEEENSC_IJLi1ELi0ELi2EEEESE_Li2ELi8ELi8ELb0ELi0ENSC_IJLi16ELi4ELi1EEEESE_SE_Li2ELi16ELi16ELb0ELi0ELi1ELi1ENSC_IJLi1ELi16ELi1ELi4EEEELi4ELNS_26BlockGemmPipelineSchedulerE1ELNS_24BlockGemmPipelineVersionE0EDF16_DF16_Lb0ELb0ELb0ELi0ELb0EEELb1ELNS_25InMemoryDataOperationEnumE0ELi2ELNS_10TailNumberE10EEEvNT_8ArgumentE
		.amdhsa_group_segment_fixed_size 0
		.amdhsa_private_segment_fixed_size 0
		.amdhsa_kernarg_size 112
		.amdhsa_user_sgpr_count 2
		.amdhsa_user_sgpr_dispatch_ptr 0
		.amdhsa_user_sgpr_queue_ptr 0
		.amdhsa_user_sgpr_kernarg_segment_ptr 1
		.amdhsa_user_sgpr_dispatch_id 0
		.amdhsa_user_sgpr_private_segment_size 0
		.amdhsa_wavefront_size32 1
		.amdhsa_uses_dynamic_stack 0
		.amdhsa_enable_private_segment 0
		.amdhsa_system_sgpr_workgroup_id_x 1
		.amdhsa_system_sgpr_workgroup_id_y 0
		.amdhsa_system_sgpr_workgroup_id_z 0
		.amdhsa_system_sgpr_workgroup_info 0
		.amdhsa_system_vgpr_workitem_id 0
		.amdhsa_next_free_vgpr 1
		.amdhsa_next_free_sgpr 1
		.amdhsa_reserve_vcc 0
		.amdhsa_float_round_mode_32 0
		.amdhsa_float_round_mode_16_64 0
		.amdhsa_float_denorm_mode_32 3
		.amdhsa_float_denorm_mode_16_64 3
		.amdhsa_fp16_overflow 0
		.amdhsa_workgroup_processor_mode 1
		.amdhsa_memory_ordered 1
		.amdhsa_forward_progress 1
		.amdhsa_inst_pref_size 1
		.amdhsa_round_robin_scheduling 0
		.amdhsa_exception_fp_ieee_invalid_op 0
		.amdhsa_exception_fp_denorm_src 0
		.amdhsa_exception_fp_ieee_div_zero 0
		.amdhsa_exception_fp_ieee_overflow 0
		.amdhsa_exception_fp_ieee_underflow 0
		.amdhsa_exception_fp_ieee_inexact 0
		.amdhsa_exception_int_div_zero 0
	.end_amdhsa_kernel
	.section	.text._ZN2ck27kernel_gemm_xdl_cshuffle_v3INS_28GridwiseGemm_xdl_cshuffle_v3INS_13tensor_layout4gemm8RowMajorENS3_11ColumnMajorES4_DF16_NS_9f8_fnuz_tEfDF16_DF16_NS_16tensor_operation12element_wise11PassThroughES9_S9_LNS7_6device18GemmSpecializationE0ELi64ELi32ELi32ELi256ELi8ELi16ELi16ELi16ELi2ELi2ENS_8SequenceIJLi32ELi2ELi1EEEENSC_IJLi1ELi0ELi2EEEESE_Li2ELi8ELi8ELb0ELi0ENSC_IJLi16ELi4ELi1EEEESE_SE_Li2ELi16ELi16ELb0ELi0ELi1ELi1ENSC_IJLi1ELi16ELi1ELi4EEEELi4ELNS_26BlockGemmPipelineSchedulerE1ELNS_24BlockGemmPipelineVersionE0EDF16_DF16_Lb0ELb0ELb0ELi0ELb0EEELb1ELNS_25InMemoryDataOperationEnumE0ELi2ELNS_10TailNumberE10EEEvNT_8ArgumentE,"axG",@progbits,_ZN2ck27kernel_gemm_xdl_cshuffle_v3INS_28GridwiseGemm_xdl_cshuffle_v3INS_13tensor_layout4gemm8RowMajorENS3_11ColumnMajorES4_DF16_NS_9f8_fnuz_tEfDF16_DF16_NS_16tensor_operation12element_wise11PassThroughES9_S9_LNS7_6device18GemmSpecializationE0ELi64ELi32ELi32ELi256ELi8ELi16ELi16ELi16ELi2ELi2ENS_8SequenceIJLi32ELi2ELi1EEEENSC_IJLi1ELi0ELi2EEEESE_Li2ELi8ELi8ELb0ELi0ENSC_IJLi16ELi4ELi1EEEESE_SE_Li2ELi16ELi16ELb0ELi0ELi1ELi1ENSC_IJLi1ELi16ELi1ELi4EEEELi4ELNS_26BlockGemmPipelineSchedulerE1ELNS_24BlockGemmPipelineVersionE0EDF16_DF16_Lb0ELb0ELb0ELi0ELb0EEELb1ELNS_25InMemoryDataOperationEnumE0ELi2ELNS_10TailNumberE10EEEvNT_8ArgumentE,comdat
.Lfunc_end2:
	.size	_ZN2ck27kernel_gemm_xdl_cshuffle_v3INS_28GridwiseGemm_xdl_cshuffle_v3INS_13tensor_layout4gemm8RowMajorENS3_11ColumnMajorES4_DF16_NS_9f8_fnuz_tEfDF16_DF16_NS_16tensor_operation12element_wise11PassThroughES9_S9_LNS7_6device18GemmSpecializationE0ELi64ELi32ELi32ELi256ELi8ELi16ELi16ELi16ELi2ELi2ENS_8SequenceIJLi32ELi2ELi1EEEENSC_IJLi1ELi0ELi2EEEESE_Li2ELi8ELi8ELb0ELi0ENSC_IJLi16ELi4ELi1EEEESE_SE_Li2ELi16ELi16ELb0ELi0ELi1ELi1ENSC_IJLi1ELi16ELi1ELi4EEEELi4ELNS_26BlockGemmPipelineSchedulerE1ELNS_24BlockGemmPipelineVersionE0EDF16_DF16_Lb0ELb0ELb0ELi0ELb0EEELb1ELNS_25InMemoryDataOperationEnumE0ELi2ELNS_10TailNumberE10EEEvNT_8ArgumentE, .Lfunc_end2-_ZN2ck27kernel_gemm_xdl_cshuffle_v3INS_28GridwiseGemm_xdl_cshuffle_v3INS_13tensor_layout4gemm8RowMajorENS3_11ColumnMajorES4_DF16_NS_9f8_fnuz_tEfDF16_DF16_NS_16tensor_operation12element_wise11PassThroughES9_S9_LNS7_6device18GemmSpecializationE0ELi64ELi32ELi32ELi256ELi8ELi16ELi16ELi16ELi2ELi2ENS_8SequenceIJLi32ELi2ELi1EEEENSC_IJLi1ELi0ELi2EEEESE_Li2ELi8ELi8ELb0ELi0ENSC_IJLi16ELi4ELi1EEEESE_SE_Li2ELi16ELi16ELb0ELi0ELi1ELi1ENSC_IJLi1ELi16ELi1ELi4EEEELi4ELNS_26BlockGemmPipelineSchedulerE1ELNS_24BlockGemmPipelineVersionE0EDF16_DF16_Lb0ELb0ELb0ELi0ELb0EEELb1ELNS_25InMemoryDataOperationEnumE0ELi2ELNS_10TailNumberE10EEEvNT_8ArgumentE
                                        ; -- End function
	.set _ZN2ck27kernel_gemm_xdl_cshuffle_v3INS_28GridwiseGemm_xdl_cshuffle_v3INS_13tensor_layout4gemm8RowMajorENS3_11ColumnMajorES4_DF16_NS_9f8_fnuz_tEfDF16_DF16_NS_16tensor_operation12element_wise11PassThroughES9_S9_LNS7_6device18GemmSpecializationE0ELi64ELi32ELi32ELi256ELi8ELi16ELi16ELi16ELi2ELi2ENS_8SequenceIJLi32ELi2ELi1EEEENSC_IJLi1ELi0ELi2EEEESE_Li2ELi8ELi8ELb0ELi0ENSC_IJLi16ELi4ELi1EEEESE_SE_Li2ELi16ELi16ELb0ELi0ELi1ELi1ENSC_IJLi1ELi16ELi1ELi4EEEELi4ELNS_26BlockGemmPipelineSchedulerE1ELNS_24BlockGemmPipelineVersionE0EDF16_DF16_Lb0ELb0ELb0ELi0ELb0EEELb1ELNS_25InMemoryDataOperationEnumE0ELi2ELNS_10TailNumberE10EEEvNT_8ArgumentE.num_vgpr, 0
	.set _ZN2ck27kernel_gemm_xdl_cshuffle_v3INS_28GridwiseGemm_xdl_cshuffle_v3INS_13tensor_layout4gemm8RowMajorENS3_11ColumnMajorES4_DF16_NS_9f8_fnuz_tEfDF16_DF16_NS_16tensor_operation12element_wise11PassThroughES9_S9_LNS7_6device18GemmSpecializationE0ELi64ELi32ELi32ELi256ELi8ELi16ELi16ELi16ELi2ELi2ENS_8SequenceIJLi32ELi2ELi1EEEENSC_IJLi1ELi0ELi2EEEESE_Li2ELi8ELi8ELb0ELi0ENSC_IJLi16ELi4ELi1EEEESE_SE_Li2ELi16ELi16ELb0ELi0ELi1ELi1ENSC_IJLi1ELi16ELi1ELi4EEEELi4ELNS_26BlockGemmPipelineSchedulerE1ELNS_24BlockGemmPipelineVersionE0EDF16_DF16_Lb0ELb0ELb0ELi0ELb0EEELb1ELNS_25InMemoryDataOperationEnumE0ELi2ELNS_10TailNumberE10EEEvNT_8ArgumentE.num_agpr, 0
	.set _ZN2ck27kernel_gemm_xdl_cshuffle_v3INS_28GridwiseGemm_xdl_cshuffle_v3INS_13tensor_layout4gemm8RowMajorENS3_11ColumnMajorES4_DF16_NS_9f8_fnuz_tEfDF16_DF16_NS_16tensor_operation12element_wise11PassThroughES9_S9_LNS7_6device18GemmSpecializationE0ELi64ELi32ELi32ELi256ELi8ELi16ELi16ELi16ELi2ELi2ENS_8SequenceIJLi32ELi2ELi1EEEENSC_IJLi1ELi0ELi2EEEESE_Li2ELi8ELi8ELb0ELi0ENSC_IJLi16ELi4ELi1EEEESE_SE_Li2ELi16ELi16ELb0ELi0ELi1ELi1ENSC_IJLi1ELi16ELi1ELi4EEEELi4ELNS_26BlockGemmPipelineSchedulerE1ELNS_24BlockGemmPipelineVersionE0EDF16_DF16_Lb0ELb0ELb0ELi0ELb0EEELb1ELNS_25InMemoryDataOperationEnumE0ELi2ELNS_10TailNumberE10EEEvNT_8ArgumentE.numbered_sgpr, 0
	.set _ZN2ck27kernel_gemm_xdl_cshuffle_v3INS_28GridwiseGemm_xdl_cshuffle_v3INS_13tensor_layout4gemm8RowMajorENS3_11ColumnMajorES4_DF16_NS_9f8_fnuz_tEfDF16_DF16_NS_16tensor_operation12element_wise11PassThroughES9_S9_LNS7_6device18GemmSpecializationE0ELi64ELi32ELi32ELi256ELi8ELi16ELi16ELi16ELi2ELi2ENS_8SequenceIJLi32ELi2ELi1EEEENSC_IJLi1ELi0ELi2EEEESE_Li2ELi8ELi8ELb0ELi0ENSC_IJLi16ELi4ELi1EEEESE_SE_Li2ELi16ELi16ELb0ELi0ELi1ELi1ENSC_IJLi1ELi16ELi1ELi4EEEELi4ELNS_26BlockGemmPipelineSchedulerE1ELNS_24BlockGemmPipelineVersionE0EDF16_DF16_Lb0ELb0ELb0ELi0ELb0EEELb1ELNS_25InMemoryDataOperationEnumE0ELi2ELNS_10TailNumberE10EEEvNT_8ArgumentE.num_named_barrier, 0
	.set _ZN2ck27kernel_gemm_xdl_cshuffle_v3INS_28GridwiseGemm_xdl_cshuffle_v3INS_13tensor_layout4gemm8RowMajorENS3_11ColumnMajorES4_DF16_NS_9f8_fnuz_tEfDF16_DF16_NS_16tensor_operation12element_wise11PassThroughES9_S9_LNS7_6device18GemmSpecializationE0ELi64ELi32ELi32ELi256ELi8ELi16ELi16ELi16ELi2ELi2ENS_8SequenceIJLi32ELi2ELi1EEEENSC_IJLi1ELi0ELi2EEEESE_Li2ELi8ELi8ELb0ELi0ENSC_IJLi16ELi4ELi1EEEESE_SE_Li2ELi16ELi16ELb0ELi0ELi1ELi1ENSC_IJLi1ELi16ELi1ELi4EEEELi4ELNS_26BlockGemmPipelineSchedulerE1ELNS_24BlockGemmPipelineVersionE0EDF16_DF16_Lb0ELb0ELb0ELi0ELb0EEELb1ELNS_25InMemoryDataOperationEnumE0ELi2ELNS_10TailNumberE10EEEvNT_8ArgumentE.private_seg_size, 0
	.set _ZN2ck27kernel_gemm_xdl_cshuffle_v3INS_28GridwiseGemm_xdl_cshuffle_v3INS_13tensor_layout4gemm8RowMajorENS3_11ColumnMajorES4_DF16_NS_9f8_fnuz_tEfDF16_DF16_NS_16tensor_operation12element_wise11PassThroughES9_S9_LNS7_6device18GemmSpecializationE0ELi64ELi32ELi32ELi256ELi8ELi16ELi16ELi16ELi2ELi2ENS_8SequenceIJLi32ELi2ELi1EEEENSC_IJLi1ELi0ELi2EEEESE_Li2ELi8ELi8ELb0ELi0ENSC_IJLi16ELi4ELi1EEEESE_SE_Li2ELi16ELi16ELb0ELi0ELi1ELi1ENSC_IJLi1ELi16ELi1ELi4EEEELi4ELNS_26BlockGemmPipelineSchedulerE1ELNS_24BlockGemmPipelineVersionE0EDF16_DF16_Lb0ELb0ELb0ELi0ELb0EEELb1ELNS_25InMemoryDataOperationEnumE0ELi2ELNS_10TailNumberE10EEEvNT_8ArgumentE.uses_vcc, 0
	.set _ZN2ck27kernel_gemm_xdl_cshuffle_v3INS_28GridwiseGemm_xdl_cshuffle_v3INS_13tensor_layout4gemm8RowMajorENS3_11ColumnMajorES4_DF16_NS_9f8_fnuz_tEfDF16_DF16_NS_16tensor_operation12element_wise11PassThroughES9_S9_LNS7_6device18GemmSpecializationE0ELi64ELi32ELi32ELi256ELi8ELi16ELi16ELi16ELi2ELi2ENS_8SequenceIJLi32ELi2ELi1EEEENSC_IJLi1ELi0ELi2EEEESE_Li2ELi8ELi8ELb0ELi0ENSC_IJLi16ELi4ELi1EEEESE_SE_Li2ELi16ELi16ELb0ELi0ELi1ELi1ENSC_IJLi1ELi16ELi1ELi4EEEELi4ELNS_26BlockGemmPipelineSchedulerE1ELNS_24BlockGemmPipelineVersionE0EDF16_DF16_Lb0ELb0ELb0ELi0ELb0EEELb1ELNS_25InMemoryDataOperationEnumE0ELi2ELNS_10TailNumberE10EEEvNT_8ArgumentE.uses_flat_scratch, 0
	.set _ZN2ck27kernel_gemm_xdl_cshuffle_v3INS_28GridwiseGemm_xdl_cshuffle_v3INS_13tensor_layout4gemm8RowMajorENS3_11ColumnMajorES4_DF16_NS_9f8_fnuz_tEfDF16_DF16_NS_16tensor_operation12element_wise11PassThroughES9_S9_LNS7_6device18GemmSpecializationE0ELi64ELi32ELi32ELi256ELi8ELi16ELi16ELi16ELi2ELi2ENS_8SequenceIJLi32ELi2ELi1EEEENSC_IJLi1ELi0ELi2EEEESE_Li2ELi8ELi8ELb0ELi0ENSC_IJLi16ELi4ELi1EEEESE_SE_Li2ELi16ELi16ELb0ELi0ELi1ELi1ENSC_IJLi1ELi16ELi1ELi4EEEELi4ELNS_26BlockGemmPipelineSchedulerE1ELNS_24BlockGemmPipelineVersionE0EDF16_DF16_Lb0ELb0ELb0ELi0ELb0EEELb1ELNS_25InMemoryDataOperationEnumE0ELi2ELNS_10TailNumberE10EEEvNT_8ArgumentE.has_dyn_sized_stack, 0
	.set _ZN2ck27kernel_gemm_xdl_cshuffle_v3INS_28GridwiseGemm_xdl_cshuffle_v3INS_13tensor_layout4gemm8RowMajorENS3_11ColumnMajorES4_DF16_NS_9f8_fnuz_tEfDF16_DF16_NS_16tensor_operation12element_wise11PassThroughES9_S9_LNS7_6device18GemmSpecializationE0ELi64ELi32ELi32ELi256ELi8ELi16ELi16ELi16ELi2ELi2ENS_8SequenceIJLi32ELi2ELi1EEEENSC_IJLi1ELi0ELi2EEEESE_Li2ELi8ELi8ELb0ELi0ENSC_IJLi16ELi4ELi1EEEESE_SE_Li2ELi16ELi16ELb0ELi0ELi1ELi1ENSC_IJLi1ELi16ELi1ELi4EEEELi4ELNS_26BlockGemmPipelineSchedulerE1ELNS_24BlockGemmPipelineVersionE0EDF16_DF16_Lb0ELb0ELb0ELi0ELb0EEELb1ELNS_25InMemoryDataOperationEnumE0ELi2ELNS_10TailNumberE10EEEvNT_8ArgumentE.has_recursion, 0
	.set _ZN2ck27kernel_gemm_xdl_cshuffle_v3INS_28GridwiseGemm_xdl_cshuffle_v3INS_13tensor_layout4gemm8RowMajorENS3_11ColumnMajorES4_DF16_NS_9f8_fnuz_tEfDF16_DF16_NS_16tensor_operation12element_wise11PassThroughES9_S9_LNS7_6device18GemmSpecializationE0ELi64ELi32ELi32ELi256ELi8ELi16ELi16ELi16ELi2ELi2ENS_8SequenceIJLi32ELi2ELi1EEEENSC_IJLi1ELi0ELi2EEEESE_Li2ELi8ELi8ELb0ELi0ENSC_IJLi16ELi4ELi1EEEESE_SE_Li2ELi16ELi16ELb0ELi0ELi1ELi1ENSC_IJLi1ELi16ELi1ELi4EEEELi4ELNS_26BlockGemmPipelineSchedulerE1ELNS_24BlockGemmPipelineVersionE0EDF16_DF16_Lb0ELb0ELb0ELi0ELb0EEELb1ELNS_25InMemoryDataOperationEnumE0ELi2ELNS_10TailNumberE10EEEvNT_8ArgumentE.has_indirect_call, 0
	.section	.AMDGPU.csdata,"",@progbits
; Kernel info:
; codeLenInByte = 4
; TotalNumSgprs: 0
; NumVgprs: 0
; ScratchSize: 0
; MemoryBound: 0
; FloatMode: 240
; IeeeMode: 1
; LDSByteSize: 0 bytes/workgroup (compile time only)
; SGPRBlocks: 0
; VGPRBlocks: 0
; NumSGPRsForWavesPerEU: 1
; NumVGPRsForWavesPerEU: 1
; Occupancy: 16
; WaveLimiterHint : 0
; COMPUTE_PGM_RSRC2:SCRATCH_EN: 0
; COMPUTE_PGM_RSRC2:USER_SGPR: 2
; COMPUTE_PGM_RSRC2:TRAP_HANDLER: 0
; COMPUTE_PGM_RSRC2:TGID_X_EN: 1
; COMPUTE_PGM_RSRC2:TGID_Y_EN: 0
; COMPUTE_PGM_RSRC2:TGID_Z_EN: 0
; COMPUTE_PGM_RSRC2:TIDIG_COMP_CNT: 0
	.section	.text._ZN2ck27kernel_gemm_xdl_cshuffle_v3INS_28GridwiseGemm_xdl_cshuffle_v3INS_13tensor_layout4gemm8RowMajorENS3_11ColumnMajorES4_DF16_NS_9f8_fnuz_tEfDF16_DF16_NS_16tensor_operation12element_wise11PassThroughES9_S9_LNS7_6device18GemmSpecializationE0ELi64ELi32ELi32ELi256ELi8ELi16ELi16ELi16ELi2ELi2ENS_8SequenceIJLi32ELi2ELi1EEEENSC_IJLi1ELi0ELi2EEEESE_Li2ELi8ELi8ELb0ELi0ENSC_IJLi16ELi4ELi1EEEESE_SE_Li2ELi16ELi16ELb0ELi0ELi1ELi1ENSC_IJLi1ELi16ELi1ELi4EEEELi4ELNS_26BlockGemmPipelineSchedulerE1ELNS_24BlockGemmPipelineVersionE0EDF16_DF16_Lb0ELb0ELb0ELi0ELb0EEELb0ELNS_25InMemoryDataOperationEnumE1ELi2ELNS_10TailNumberE10EEEvNT_8ArgumentE,"axG",@progbits,_ZN2ck27kernel_gemm_xdl_cshuffle_v3INS_28GridwiseGemm_xdl_cshuffle_v3INS_13tensor_layout4gemm8RowMajorENS3_11ColumnMajorES4_DF16_NS_9f8_fnuz_tEfDF16_DF16_NS_16tensor_operation12element_wise11PassThroughES9_S9_LNS7_6device18GemmSpecializationE0ELi64ELi32ELi32ELi256ELi8ELi16ELi16ELi16ELi2ELi2ENS_8SequenceIJLi32ELi2ELi1EEEENSC_IJLi1ELi0ELi2EEEESE_Li2ELi8ELi8ELb0ELi0ENSC_IJLi16ELi4ELi1EEEESE_SE_Li2ELi16ELi16ELb0ELi0ELi1ELi1ENSC_IJLi1ELi16ELi1ELi4EEEELi4ELNS_26BlockGemmPipelineSchedulerE1ELNS_24BlockGemmPipelineVersionE0EDF16_DF16_Lb0ELb0ELb0ELi0ELb0EEELb0ELNS_25InMemoryDataOperationEnumE1ELi2ELNS_10TailNumberE10EEEvNT_8ArgumentE,comdat
	.protected	_ZN2ck27kernel_gemm_xdl_cshuffle_v3INS_28GridwiseGemm_xdl_cshuffle_v3INS_13tensor_layout4gemm8RowMajorENS3_11ColumnMajorES4_DF16_NS_9f8_fnuz_tEfDF16_DF16_NS_16tensor_operation12element_wise11PassThroughES9_S9_LNS7_6device18GemmSpecializationE0ELi64ELi32ELi32ELi256ELi8ELi16ELi16ELi16ELi2ELi2ENS_8SequenceIJLi32ELi2ELi1EEEENSC_IJLi1ELi0ELi2EEEESE_Li2ELi8ELi8ELb0ELi0ENSC_IJLi16ELi4ELi1EEEESE_SE_Li2ELi16ELi16ELb0ELi0ELi1ELi1ENSC_IJLi1ELi16ELi1ELi4EEEELi4ELNS_26BlockGemmPipelineSchedulerE1ELNS_24BlockGemmPipelineVersionE0EDF16_DF16_Lb0ELb0ELb0ELi0ELb0EEELb0ELNS_25InMemoryDataOperationEnumE1ELi2ELNS_10TailNumberE10EEEvNT_8ArgumentE ; -- Begin function _ZN2ck27kernel_gemm_xdl_cshuffle_v3INS_28GridwiseGemm_xdl_cshuffle_v3INS_13tensor_layout4gemm8RowMajorENS3_11ColumnMajorES4_DF16_NS_9f8_fnuz_tEfDF16_DF16_NS_16tensor_operation12element_wise11PassThroughES9_S9_LNS7_6device18GemmSpecializationE0ELi64ELi32ELi32ELi256ELi8ELi16ELi16ELi16ELi2ELi2ENS_8SequenceIJLi32ELi2ELi1EEEENSC_IJLi1ELi0ELi2EEEESE_Li2ELi8ELi8ELb0ELi0ENSC_IJLi16ELi4ELi1EEEESE_SE_Li2ELi16ELi16ELb0ELi0ELi1ELi1ENSC_IJLi1ELi16ELi1ELi4EEEELi4ELNS_26BlockGemmPipelineSchedulerE1ELNS_24BlockGemmPipelineVersionE0EDF16_DF16_Lb0ELb0ELb0ELi0ELb0EEELb0ELNS_25InMemoryDataOperationEnumE1ELi2ELNS_10TailNumberE10EEEvNT_8ArgumentE
	.globl	_ZN2ck27kernel_gemm_xdl_cshuffle_v3INS_28GridwiseGemm_xdl_cshuffle_v3INS_13tensor_layout4gemm8RowMajorENS3_11ColumnMajorES4_DF16_NS_9f8_fnuz_tEfDF16_DF16_NS_16tensor_operation12element_wise11PassThroughES9_S9_LNS7_6device18GemmSpecializationE0ELi64ELi32ELi32ELi256ELi8ELi16ELi16ELi16ELi2ELi2ENS_8SequenceIJLi32ELi2ELi1EEEENSC_IJLi1ELi0ELi2EEEESE_Li2ELi8ELi8ELb0ELi0ENSC_IJLi16ELi4ELi1EEEESE_SE_Li2ELi16ELi16ELb0ELi0ELi1ELi1ENSC_IJLi1ELi16ELi1ELi4EEEELi4ELNS_26BlockGemmPipelineSchedulerE1ELNS_24BlockGemmPipelineVersionE0EDF16_DF16_Lb0ELb0ELb0ELi0ELb0EEELb0ELNS_25InMemoryDataOperationEnumE1ELi2ELNS_10TailNumberE10EEEvNT_8ArgumentE
	.p2align	8
	.type	_ZN2ck27kernel_gemm_xdl_cshuffle_v3INS_28GridwiseGemm_xdl_cshuffle_v3INS_13tensor_layout4gemm8RowMajorENS3_11ColumnMajorES4_DF16_NS_9f8_fnuz_tEfDF16_DF16_NS_16tensor_operation12element_wise11PassThroughES9_S9_LNS7_6device18GemmSpecializationE0ELi64ELi32ELi32ELi256ELi8ELi16ELi16ELi16ELi2ELi2ENS_8SequenceIJLi32ELi2ELi1EEEENSC_IJLi1ELi0ELi2EEEESE_Li2ELi8ELi8ELb0ELi0ENSC_IJLi16ELi4ELi1EEEESE_SE_Li2ELi16ELi16ELb0ELi0ELi1ELi1ENSC_IJLi1ELi16ELi1ELi4EEEELi4ELNS_26BlockGemmPipelineSchedulerE1ELNS_24BlockGemmPipelineVersionE0EDF16_DF16_Lb0ELb0ELb0ELi0ELb0EEELb0ELNS_25InMemoryDataOperationEnumE1ELi2ELNS_10TailNumberE10EEEvNT_8ArgumentE,@function
_ZN2ck27kernel_gemm_xdl_cshuffle_v3INS_28GridwiseGemm_xdl_cshuffle_v3INS_13tensor_layout4gemm8RowMajorENS3_11ColumnMajorES4_DF16_NS_9f8_fnuz_tEfDF16_DF16_NS_16tensor_operation12element_wise11PassThroughES9_S9_LNS7_6device18GemmSpecializationE0ELi64ELi32ELi32ELi256ELi8ELi16ELi16ELi16ELi2ELi2ENS_8SequenceIJLi32ELi2ELi1EEEENSC_IJLi1ELi0ELi2EEEESE_Li2ELi8ELi8ELb0ELi0ENSC_IJLi16ELi4ELi1EEEESE_SE_Li2ELi16ELi16ELb0ELi0ELi1ELi1ENSC_IJLi1ELi16ELi1ELi4EEEELi4ELNS_26BlockGemmPipelineSchedulerE1ELNS_24BlockGemmPipelineVersionE0EDF16_DF16_Lb0ELb0ELb0ELi0ELb0EEELb0ELNS_25InMemoryDataOperationEnumE1ELi2ELNS_10TailNumberE10EEEvNT_8ArgumentE: ; @_ZN2ck27kernel_gemm_xdl_cshuffle_v3INS_28GridwiseGemm_xdl_cshuffle_v3INS_13tensor_layout4gemm8RowMajorENS3_11ColumnMajorES4_DF16_NS_9f8_fnuz_tEfDF16_DF16_NS_16tensor_operation12element_wise11PassThroughES9_S9_LNS7_6device18GemmSpecializationE0ELi64ELi32ELi32ELi256ELi8ELi16ELi16ELi16ELi2ELi2ENS_8SequenceIJLi32ELi2ELi1EEEENSC_IJLi1ELi0ELi2EEEESE_Li2ELi8ELi8ELb0ELi0ENSC_IJLi16ELi4ELi1EEEESE_SE_Li2ELi16ELi16ELb0ELi0ELi1ELi1ENSC_IJLi1ELi16ELi1ELi4EEEELi4ELNS_26BlockGemmPipelineSchedulerE1ELNS_24BlockGemmPipelineVersionE0EDF16_DF16_Lb0ELb0ELb0ELi0ELb0EEELb0ELNS_25InMemoryDataOperationEnumE1ELi2ELNS_10TailNumberE10EEEvNT_8ArgumentE
; %bb.0:
	s_endpgm
	.section	.rodata,"a",@progbits
	.p2align	6, 0x0
	.amdhsa_kernel _ZN2ck27kernel_gemm_xdl_cshuffle_v3INS_28GridwiseGemm_xdl_cshuffle_v3INS_13tensor_layout4gemm8RowMajorENS3_11ColumnMajorES4_DF16_NS_9f8_fnuz_tEfDF16_DF16_NS_16tensor_operation12element_wise11PassThroughES9_S9_LNS7_6device18GemmSpecializationE0ELi64ELi32ELi32ELi256ELi8ELi16ELi16ELi16ELi2ELi2ENS_8SequenceIJLi32ELi2ELi1EEEENSC_IJLi1ELi0ELi2EEEESE_Li2ELi8ELi8ELb0ELi0ENSC_IJLi16ELi4ELi1EEEESE_SE_Li2ELi16ELi16ELb0ELi0ELi1ELi1ENSC_IJLi1ELi16ELi1ELi4EEEELi4ELNS_26BlockGemmPipelineSchedulerE1ELNS_24BlockGemmPipelineVersionE0EDF16_DF16_Lb0ELb0ELb0ELi0ELb0EEELb0ELNS_25InMemoryDataOperationEnumE1ELi2ELNS_10TailNumberE10EEEvNT_8ArgumentE
		.amdhsa_group_segment_fixed_size 0
		.amdhsa_private_segment_fixed_size 0
		.amdhsa_kernarg_size 112
		.amdhsa_user_sgpr_count 2
		.amdhsa_user_sgpr_dispatch_ptr 0
		.amdhsa_user_sgpr_queue_ptr 0
		.amdhsa_user_sgpr_kernarg_segment_ptr 1
		.amdhsa_user_sgpr_dispatch_id 0
		.amdhsa_user_sgpr_private_segment_size 0
		.amdhsa_wavefront_size32 1
		.amdhsa_uses_dynamic_stack 0
		.amdhsa_enable_private_segment 0
		.amdhsa_system_sgpr_workgroup_id_x 1
		.amdhsa_system_sgpr_workgroup_id_y 0
		.amdhsa_system_sgpr_workgroup_id_z 0
		.amdhsa_system_sgpr_workgroup_info 0
		.amdhsa_system_vgpr_workitem_id 0
		.amdhsa_next_free_vgpr 1
		.amdhsa_next_free_sgpr 1
		.amdhsa_reserve_vcc 0
		.amdhsa_float_round_mode_32 0
		.amdhsa_float_round_mode_16_64 0
		.amdhsa_float_denorm_mode_32 3
		.amdhsa_float_denorm_mode_16_64 3
		.amdhsa_fp16_overflow 0
		.amdhsa_workgroup_processor_mode 1
		.amdhsa_memory_ordered 1
		.amdhsa_forward_progress 1
		.amdhsa_inst_pref_size 1
		.amdhsa_round_robin_scheduling 0
		.amdhsa_exception_fp_ieee_invalid_op 0
		.amdhsa_exception_fp_denorm_src 0
		.amdhsa_exception_fp_ieee_div_zero 0
		.amdhsa_exception_fp_ieee_overflow 0
		.amdhsa_exception_fp_ieee_underflow 0
		.amdhsa_exception_fp_ieee_inexact 0
		.amdhsa_exception_int_div_zero 0
	.end_amdhsa_kernel
	.section	.text._ZN2ck27kernel_gemm_xdl_cshuffle_v3INS_28GridwiseGemm_xdl_cshuffle_v3INS_13tensor_layout4gemm8RowMajorENS3_11ColumnMajorES4_DF16_NS_9f8_fnuz_tEfDF16_DF16_NS_16tensor_operation12element_wise11PassThroughES9_S9_LNS7_6device18GemmSpecializationE0ELi64ELi32ELi32ELi256ELi8ELi16ELi16ELi16ELi2ELi2ENS_8SequenceIJLi32ELi2ELi1EEEENSC_IJLi1ELi0ELi2EEEESE_Li2ELi8ELi8ELb0ELi0ENSC_IJLi16ELi4ELi1EEEESE_SE_Li2ELi16ELi16ELb0ELi0ELi1ELi1ENSC_IJLi1ELi16ELi1ELi4EEEELi4ELNS_26BlockGemmPipelineSchedulerE1ELNS_24BlockGemmPipelineVersionE0EDF16_DF16_Lb0ELb0ELb0ELi0ELb0EEELb0ELNS_25InMemoryDataOperationEnumE1ELi2ELNS_10TailNumberE10EEEvNT_8ArgumentE,"axG",@progbits,_ZN2ck27kernel_gemm_xdl_cshuffle_v3INS_28GridwiseGemm_xdl_cshuffle_v3INS_13tensor_layout4gemm8RowMajorENS3_11ColumnMajorES4_DF16_NS_9f8_fnuz_tEfDF16_DF16_NS_16tensor_operation12element_wise11PassThroughES9_S9_LNS7_6device18GemmSpecializationE0ELi64ELi32ELi32ELi256ELi8ELi16ELi16ELi16ELi2ELi2ENS_8SequenceIJLi32ELi2ELi1EEEENSC_IJLi1ELi0ELi2EEEESE_Li2ELi8ELi8ELb0ELi0ENSC_IJLi16ELi4ELi1EEEESE_SE_Li2ELi16ELi16ELb0ELi0ELi1ELi1ENSC_IJLi1ELi16ELi1ELi4EEEELi4ELNS_26BlockGemmPipelineSchedulerE1ELNS_24BlockGemmPipelineVersionE0EDF16_DF16_Lb0ELb0ELb0ELi0ELb0EEELb0ELNS_25InMemoryDataOperationEnumE1ELi2ELNS_10TailNumberE10EEEvNT_8ArgumentE,comdat
.Lfunc_end3:
	.size	_ZN2ck27kernel_gemm_xdl_cshuffle_v3INS_28GridwiseGemm_xdl_cshuffle_v3INS_13tensor_layout4gemm8RowMajorENS3_11ColumnMajorES4_DF16_NS_9f8_fnuz_tEfDF16_DF16_NS_16tensor_operation12element_wise11PassThroughES9_S9_LNS7_6device18GemmSpecializationE0ELi64ELi32ELi32ELi256ELi8ELi16ELi16ELi16ELi2ELi2ENS_8SequenceIJLi32ELi2ELi1EEEENSC_IJLi1ELi0ELi2EEEESE_Li2ELi8ELi8ELb0ELi0ENSC_IJLi16ELi4ELi1EEEESE_SE_Li2ELi16ELi16ELb0ELi0ELi1ELi1ENSC_IJLi1ELi16ELi1ELi4EEEELi4ELNS_26BlockGemmPipelineSchedulerE1ELNS_24BlockGemmPipelineVersionE0EDF16_DF16_Lb0ELb0ELb0ELi0ELb0EEELb0ELNS_25InMemoryDataOperationEnumE1ELi2ELNS_10TailNumberE10EEEvNT_8ArgumentE, .Lfunc_end3-_ZN2ck27kernel_gemm_xdl_cshuffle_v3INS_28GridwiseGemm_xdl_cshuffle_v3INS_13tensor_layout4gemm8RowMajorENS3_11ColumnMajorES4_DF16_NS_9f8_fnuz_tEfDF16_DF16_NS_16tensor_operation12element_wise11PassThroughES9_S9_LNS7_6device18GemmSpecializationE0ELi64ELi32ELi32ELi256ELi8ELi16ELi16ELi16ELi2ELi2ENS_8SequenceIJLi32ELi2ELi1EEEENSC_IJLi1ELi0ELi2EEEESE_Li2ELi8ELi8ELb0ELi0ENSC_IJLi16ELi4ELi1EEEESE_SE_Li2ELi16ELi16ELb0ELi0ELi1ELi1ENSC_IJLi1ELi16ELi1ELi4EEEELi4ELNS_26BlockGemmPipelineSchedulerE1ELNS_24BlockGemmPipelineVersionE0EDF16_DF16_Lb0ELb0ELb0ELi0ELb0EEELb0ELNS_25InMemoryDataOperationEnumE1ELi2ELNS_10TailNumberE10EEEvNT_8ArgumentE
                                        ; -- End function
	.set _ZN2ck27kernel_gemm_xdl_cshuffle_v3INS_28GridwiseGemm_xdl_cshuffle_v3INS_13tensor_layout4gemm8RowMajorENS3_11ColumnMajorES4_DF16_NS_9f8_fnuz_tEfDF16_DF16_NS_16tensor_operation12element_wise11PassThroughES9_S9_LNS7_6device18GemmSpecializationE0ELi64ELi32ELi32ELi256ELi8ELi16ELi16ELi16ELi2ELi2ENS_8SequenceIJLi32ELi2ELi1EEEENSC_IJLi1ELi0ELi2EEEESE_Li2ELi8ELi8ELb0ELi0ENSC_IJLi16ELi4ELi1EEEESE_SE_Li2ELi16ELi16ELb0ELi0ELi1ELi1ENSC_IJLi1ELi16ELi1ELi4EEEELi4ELNS_26BlockGemmPipelineSchedulerE1ELNS_24BlockGemmPipelineVersionE0EDF16_DF16_Lb0ELb0ELb0ELi0ELb0EEELb0ELNS_25InMemoryDataOperationEnumE1ELi2ELNS_10TailNumberE10EEEvNT_8ArgumentE.num_vgpr, 0
	.set _ZN2ck27kernel_gemm_xdl_cshuffle_v3INS_28GridwiseGemm_xdl_cshuffle_v3INS_13tensor_layout4gemm8RowMajorENS3_11ColumnMajorES4_DF16_NS_9f8_fnuz_tEfDF16_DF16_NS_16tensor_operation12element_wise11PassThroughES9_S9_LNS7_6device18GemmSpecializationE0ELi64ELi32ELi32ELi256ELi8ELi16ELi16ELi16ELi2ELi2ENS_8SequenceIJLi32ELi2ELi1EEEENSC_IJLi1ELi0ELi2EEEESE_Li2ELi8ELi8ELb0ELi0ENSC_IJLi16ELi4ELi1EEEESE_SE_Li2ELi16ELi16ELb0ELi0ELi1ELi1ENSC_IJLi1ELi16ELi1ELi4EEEELi4ELNS_26BlockGemmPipelineSchedulerE1ELNS_24BlockGemmPipelineVersionE0EDF16_DF16_Lb0ELb0ELb0ELi0ELb0EEELb0ELNS_25InMemoryDataOperationEnumE1ELi2ELNS_10TailNumberE10EEEvNT_8ArgumentE.num_agpr, 0
	.set _ZN2ck27kernel_gemm_xdl_cshuffle_v3INS_28GridwiseGemm_xdl_cshuffle_v3INS_13tensor_layout4gemm8RowMajorENS3_11ColumnMajorES4_DF16_NS_9f8_fnuz_tEfDF16_DF16_NS_16tensor_operation12element_wise11PassThroughES9_S9_LNS7_6device18GemmSpecializationE0ELi64ELi32ELi32ELi256ELi8ELi16ELi16ELi16ELi2ELi2ENS_8SequenceIJLi32ELi2ELi1EEEENSC_IJLi1ELi0ELi2EEEESE_Li2ELi8ELi8ELb0ELi0ENSC_IJLi16ELi4ELi1EEEESE_SE_Li2ELi16ELi16ELb0ELi0ELi1ELi1ENSC_IJLi1ELi16ELi1ELi4EEEELi4ELNS_26BlockGemmPipelineSchedulerE1ELNS_24BlockGemmPipelineVersionE0EDF16_DF16_Lb0ELb0ELb0ELi0ELb0EEELb0ELNS_25InMemoryDataOperationEnumE1ELi2ELNS_10TailNumberE10EEEvNT_8ArgumentE.numbered_sgpr, 0
	.set _ZN2ck27kernel_gemm_xdl_cshuffle_v3INS_28GridwiseGemm_xdl_cshuffle_v3INS_13tensor_layout4gemm8RowMajorENS3_11ColumnMajorES4_DF16_NS_9f8_fnuz_tEfDF16_DF16_NS_16tensor_operation12element_wise11PassThroughES9_S9_LNS7_6device18GemmSpecializationE0ELi64ELi32ELi32ELi256ELi8ELi16ELi16ELi16ELi2ELi2ENS_8SequenceIJLi32ELi2ELi1EEEENSC_IJLi1ELi0ELi2EEEESE_Li2ELi8ELi8ELb0ELi0ENSC_IJLi16ELi4ELi1EEEESE_SE_Li2ELi16ELi16ELb0ELi0ELi1ELi1ENSC_IJLi1ELi16ELi1ELi4EEEELi4ELNS_26BlockGemmPipelineSchedulerE1ELNS_24BlockGemmPipelineVersionE0EDF16_DF16_Lb0ELb0ELb0ELi0ELb0EEELb0ELNS_25InMemoryDataOperationEnumE1ELi2ELNS_10TailNumberE10EEEvNT_8ArgumentE.num_named_barrier, 0
	.set _ZN2ck27kernel_gemm_xdl_cshuffle_v3INS_28GridwiseGemm_xdl_cshuffle_v3INS_13tensor_layout4gemm8RowMajorENS3_11ColumnMajorES4_DF16_NS_9f8_fnuz_tEfDF16_DF16_NS_16tensor_operation12element_wise11PassThroughES9_S9_LNS7_6device18GemmSpecializationE0ELi64ELi32ELi32ELi256ELi8ELi16ELi16ELi16ELi2ELi2ENS_8SequenceIJLi32ELi2ELi1EEEENSC_IJLi1ELi0ELi2EEEESE_Li2ELi8ELi8ELb0ELi0ENSC_IJLi16ELi4ELi1EEEESE_SE_Li2ELi16ELi16ELb0ELi0ELi1ELi1ENSC_IJLi1ELi16ELi1ELi4EEEELi4ELNS_26BlockGemmPipelineSchedulerE1ELNS_24BlockGemmPipelineVersionE0EDF16_DF16_Lb0ELb0ELb0ELi0ELb0EEELb0ELNS_25InMemoryDataOperationEnumE1ELi2ELNS_10TailNumberE10EEEvNT_8ArgumentE.private_seg_size, 0
	.set _ZN2ck27kernel_gemm_xdl_cshuffle_v3INS_28GridwiseGemm_xdl_cshuffle_v3INS_13tensor_layout4gemm8RowMajorENS3_11ColumnMajorES4_DF16_NS_9f8_fnuz_tEfDF16_DF16_NS_16tensor_operation12element_wise11PassThroughES9_S9_LNS7_6device18GemmSpecializationE0ELi64ELi32ELi32ELi256ELi8ELi16ELi16ELi16ELi2ELi2ENS_8SequenceIJLi32ELi2ELi1EEEENSC_IJLi1ELi0ELi2EEEESE_Li2ELi8ELi8ELb0ELi0ENSC_IJLi16ELi4ELi1EEEESE_SE_Li2ELi16ELi16ELb0ELi0ELi1ELi1ENSC_IJLi1ELi16ELi1ELi4EEEELi4ELNS_26BlockGemmPipelineSchedulerE1ELNS_24BlockGemmPipelineVersionE0EDF16_DF16_Lb0ELb0ELb0ELi0ELb0EEELb0ELNS_25InMemoryDataOperationEnumE1ELi2ELNS_10TailNumberE10EEEvNT_8ArgumentE.uses_vcc, 0
	.set _ZN2ck27kernel_gemm_xdl_cshuffle_v3INS_28GridwiseGemm_xdl_cshuffle_v3INS_13tensor_layout4gemm8RowMajorENS3_11ColumnMajorES4_DF16_NS_9f8_fnuz_tEfDF16_DF16_NS_16tensor_operation12element_wise11PassThroughES9_S9_LNS7_6device18GemmSpecializationE0ELi64ELi32ELi32ELi256ELi8ELi16ELi16ELi16ELi2ELi2ENS_8SequenceIJLi32ELi2ELi1EEEENSC_IJLi1ELi0ELi2EEEESE_Li2ELi8ELi8ELb0ELi0ENSC_IJLi16ELi4ELi1EEEESE_SE_Li2ELi16ELi16ELb0ELi0ELi1ELi1ENSC_IJLi1ELi16ELi1ELi4EEEELi4ELNS_26BlockGemmPipelineSchedulerE1ELNS_24BlockGemmPipelineVersionE0EDF16_DF16_Lb0ELb0ELb0ELi0ELb0EEELb0ELNS_25InMemoryDataOperationEnumE1ELi2ELNS_10TailNumberE10EEEvNT_8ArgumentE.uses_flat_scratch, 0
	.set _ZN2ck27kernel_gemm_xdl_cshuffle_v3INS_28GridwiseGemm_xdl_cshuffle_v3INS_13tensor_layout4gemm8RowMajorENS3_11ColumnMajorES4_DF16_NS_9f8_fnuz_tEfDF16_DF16_NS_16tensor_operation12element_wise11PassThroughES9_S9_LNS7_6device18GemmSpecializationE0ELi64ELi32ELi32ELi256ELi8ELi16ELi16ELi16ELi2ELi2ENS_8SequenceIJLi32ELi2ELi1EEEENSC_IJLi1ELi0ELi2EEEESE_Li2ELi8ELi8ELb0ELi0ENSC_IJLi16ELi4ELi1EEEESE_SE_Li2ELi16ELi16ELb0ELi0ELi1ELi1ENSC_IJLi1ELi16ELi1ELi4EEEELi4ELNS_26BlockGemmPipelineSchedulerE1ELNS_24BlockGemmPipelineVersionE0EDF16_DF16_Lb0ELb0ELb0ELi0ELb0EEELb0ELNS_25InMemoryDataOperationEnumE1ELi2ELNS_10TailNumberE10EEEvNT_8ArgumentE.has_dyn_sized_stack, 0
	.set _ZN2ck27kernel_gemm_xdl_cshuffle_v3INS_28GridwiseGemm_xdl_cshuffle_v3INS_13tensor_layout4gemm8RowMajorENS3_11ColumnMajorES4_DF16_NS_9f8_fnuz_tEfDF16_DF16_NS_16tensor_operation12element_wise11PassThroughES9_S9_LNS7_6device18GemmSpecializationE0ELi64ELi32ELi32ELi256ELi8ELi16ELi16ELi16ELi2ELi2ENS_8SequenceIJLi32ELi2ELi1EEEENSC_IJLi1ELi0ELi2EEEESE_Li2ELi8ELi8ELb0ELi0ENSC_IJLi16ELi4ELi1EEEESE_SE_Li2ELi16ELi16ELb0ELi0ELi1ELi1ENSC_IJLi1ELi16ELi1ELi4EEEELi4ELNS_26BlockGemmPipelineSchedulerE1ELNS_24BlockGemmPipelineVersionE0EDF16_DF16_Lb0ELb0ELb0ELi0ELb0EEELb0ELNS_25InMemoryDataOperationEnumE1ELi2ELNS_10TailNumberE10EEEvNT_8ArgumentE.has_recursion, 0
	.set _ZN2ck27kernel_gemm_xdl_cshuffle_v3INS_28GridwiseGemm_xdl_cshuffle_v3INS_13tensor_layout4gemm8RowMajorENS3_11ColumnMajorES4_DF16_NS_9f8_fnuz_tEfDF16_DF16_NS_16tensor_operation12element_wise11PassThroughES9_S9_LNS7_6device18GemmSpecializationE0ELi64ELi32ELi32ELi256ELi8ELi16ELi16ELi16ELi2ELi2ENS_8SequenceIJLi32ELi2ELi1EEEENSC_IJLi1ELi0ELi2EEEESE_Li2ELi8ELi8ELb0ELi0ENSC_IJLi16ELi4ELi1EEEESE_SE_Li2ELi16ELi16ELb0ELi0ELi1ELi1ENSC_IJLi1ELi16ELi1ELi4EEEELi4ELNS_26BlockGemmPipelineSchedulerE1ELNS_24BlockGemmPipelineVersionE0EDF16_DF16_Lb0ELb0ELb0ELi0ELb0EEELb0ELNS_25InMemoryDataOperationEnumE1ELi2ELNS_10TailNumberE10EEEvNT_8ArgumentE.has_indirect_call, 0
	.section	.AMDGPU.csdata,"",@progbits
; Kernel info:
; codeLenInByte = 4
; TotalNumSgprs: 0
; NumVgprs: 0
; ScratchSize: 0
; MemoryBound: 0
; FloatMode: 240
; IeeeMode: 1
; LDSByteSize: 0 bytes/workgroup (compile time only)
; SGPRBlocks: 0
; VGPRBlocks: 0
; NumSGPRsForWavesPerEU: 1
; NumVGPRsForWavesPerEU: 1
; Occupancy: 16
; WaveLimiterHint : 0
; COMPUTE_PGM_RSRC2:SCRATCH_EN: 0
; COMPUTE_PGM_RSRC2:USER_SGPR: 2
; COMPUTE_PGM_RSRC2:TRAP_HANDLER: 0
; COMPUTE_PGM_RSRC2:TGID_X_EN: 1
; COMPUTE_PGM_RSRC2:TGID_Y_EN: 0
; COMPUTE_PGM_RSRC2:TGID_Z_EN: 0
; COMPUTE_PGM_RSRC2:TIDIG_COMP_CNT: 0
	.section	.text._ZN2ck27kernel_gemm_xdl_cshuffle_v3INS_28GridwiseGemm_xdl_cshuffle_v3INS_13tensor_layout4gemm8RowMajorENS3_11ColumnMajorES4_DF16_NS_9f8_fnuz_tEfDF16_DF16_NS_16tensor_operation12element_wise11PassThroughES9_S9_LNS7_6device18GemmSpecializationE0ELi64ELi32ELi32ELi256ELi8ELi16ELi16ELi16ELi2ELi2ENS_8SequenceIJLi32ELi2ELi1EEEENSC_IJLi1ELi0ELi2EEEESE_Li2ELi8ELi8ELb0ELi0ENSC_IJLi16ELi4ELi1EEEESE_SE_Li2ELi16ELi16ELb0ELi0ELi1ELi1ENSC_IJLi1ELi16ELi1ELi4EEEELi4ELNS_26BlockGemmPipelineSchedulerE1ELNS_24BlockGemmPipelineVersionE0EDF16_DF16_Lb0ELb0ELb0ELi0ELb0EEELb0ELNS_25InMemoryDataOperationEnumE0ELi2ELNS_10TailNumberE10EEEvNT_8ArgumentE,"axG",@progbits,_ZN2ck27kernel_gemm_xdl_cshuffle_v3INS_28GridwiseGemm_xdl_cshuffle_v3INS_13tensor_layout4gemm8RowMajorENS3_11ColumnMajorES4_DF16_NS_9f8_fnuz_tEfDF16_DF16_NS_16tensor_operation12element_wise11PassThroughES9_S9_LNS7_6device18GemmSpecializationE0ELi64ELi32ELi32ELi256ELi8ELi16ELi16ELi16ELi2ELi2ENS_8SequenceIJLi32ELi2ELi1EEEENSC_IJLi1ELi0ELi2EEEESE_Li2ELi8ELi8ELb0ELi0ENSC_IJLi16ELi4ELi1EEEESE_SE_Li2ELi16ELi16ELb0ELi0ELi1ELi1ENSC_IJLi1ELi16ELi1ELi4EEEELi4ELNS_26BlockGemmPipelineSchedulerE1ELNS_24BlockGemmPipelineVersionE0EDF16_DF16_Lb0ELb0ELb0ELi0ELb0EEELb0ELNS_25InMemoryDataOperationEnumE0ELi2ELNS_10TailNumberE10EEEvNT_8ArgumentE,comdat
	.protected	_ZN2ck27kernel_gemm_xdl_cshuffle_v3INS_28GridwiseGemm_xdl_cshuffle_v3INS_13tensor_layout4gemm8RowMajorENS3_11ColumnMajorES4_DF16_NS_9f8_fnuz_tEfDF16_DF16_NS_16tensor_operation12element_wise11PassThroughES9_S9_LNS7_6device18GemmSpecializationE0ELi64ELi32ELi32ELi256ELi8ELi16ELi16ELi16ELi2ELi2ENS_8SequenceIJLi32ELi2ELi1EEEENSC_IJLi1ELi0ELi2EEEESE_Li2ELi8ELi8ELb0ELi0ENSC_IJLi16ELi4ELi1EEEESE_SE_Li2ELi16ELi16ELb0ELi0ELi1ELi1ENSC_IJLi1ELi16ELi1ELi4EEEELi4ELNS_26BlockGemmPipelineSchedulerE1ELNS_24BlockGemmPipelineVersionE0EDF16_DF16_Lb0ELb0ELb0ELi0ELb0EEELb0ELNS_25InMemoryDataOperationEnumE0ELi2ELNS_10TailNumberE10EEEvNT_8ArgumentE ; -- Begin function _ZN2ck27kernel_gemm_xdl_cshuffle_v3INS_28GridwiseGemm_xdl_cshuffle_v3INS_13tensor_layout4gemm8RowMajorENS3_11ColumnMajorES4_DF16_NS_9f8_fnuz_tEfDF16_DF16_NS_16tensor_operation12element_wise11PassThroughES9_S9_LNS7_6device18GemmSpecializationE0ELi64ELi32ELi32ELi256ELi8ELi16ELi16ELi16ELi2ELi2ENS_8SequenceIJLi32ELi2ELi1EEEENSC_IJLi1ELi0ELi2EEEESE_Li2ELi8ELi8ELb0ELi0ENSC_IJLi16ELi4ELi1EEEESE_SE_Li2ELi16ELi16ELb0ELi0ELi1ELi1ENSC_IJLi1ELi16ELi1ELi4EEEELi4ELNS_26BlockGemmPipelineSchedulerE1ELNS_24BlockGemmPipelineVersionE0EDF16_DF16_Lb0ELb0ELb0ELi0ELb0EEELb0ELNS_25InMemoryDataOperationEnumE0ELi2ELNS_10TailNumberE10EEEvNT_8ArgumentE
	.globl	_ZN2ck27kernel_gemm_xdl_cshuffle_v3INS_28GridwiseGemm_xdl_cshuffle_v3INS_13tensor_layout4gemm8RowMajorENS3_11ColumnMajorES4_DF16_NS_9f8_fnuz_tEfDF16_DF16_NS_16tensor_operation12element_wise11PassThroughES9_S9_LNS7_6device18GemmSpecializationE0ELi64ELi32ELi32ELi256ELi8ELi16ELi16ELi16ELi2ELi2ENS_8SequenceIJLi32ELi2ELi1EEEENSC_IJLi1ELi0ELi2EEEESE_Li2ELi8ELi8ELb0ELi0ENSC_IJLi16ELi4ELi1EEEESE_SE_Li2ELi16ELi16ELb0ELi0ELi1ELi1ENSC_IJLi1ELi16ELi1ELi4EEEELi4ELNS_26BlockGemmPipelineSchedulerE1ELNS_24BlockGemmPipelineVersionE0EDF16_DF16_Lb0ELb0ELb0ELi0ELb0EEELb0ELNS_25InMemoryDataOperationEnumE0ELi2ELNS_10TailNumberE10EEEvNT_8ArgumentE
	.p2align	8
	.type	_ZN2ck27kernel_gemm_xdl_cshuffle_v3INS_28GridwiseGemm_xdl_cshuffle_v3INS_13tensor_layout4gemm8RowMajorENS3_11ColumnMajorES4_DF16_NS_9f8_fnuz_tEfDF16_DF16_NS_16tensor_operation12element_wise11PassThroughES9_S9_LNS7_6device18GemmSpecializationE0ELi64ELi32ELi32ELi256ELi8ELi16ELi16ELi16ELi2ELi2ENS_8SequenceIJLi32ELi2ELi1EEEENSC_IJLi1ELi0ELi2EEEESE_Li2ELi8ELi8ELb0ELi0ENSC_IJLi16ELi4ELi1EEEESE_SE_Li2ELi16ELi16ELb0ELi0ELi1ELi1ENSC_IJLi1ELi16ELi1ELi4EEEELi4ELNS_26BlockGemmPipelineSchedulerE1ELNS_24BlockGemmPipelineVersionE0EDF16_DF16_Lb0ELb0ELb0ELi0ELb0EEELb0ELNS_25InMemoryDataOperationEnumE0ELi2ELNS_10TailNumberE10EEEvNT_8ArgumentE,@function
_ZN2ck27kernel_gemm_xdl_cshuffle_v3INS_28GridwiseGemm_xdl_cshuffle_v3INS_13tensor_layout4gemm8RowMajorENS3_11ColumnMajorES4_DF16_NS_9f8_fnuz_tEfDF16_DF16_NS_16tensor_operation12element_wise11PassThroughES9_S9_LNS7_6device18GemmSpecializationE0ELi64ELi32ELi32ELi256ELi8ELi16ELi16ELi16ELi2ELi2ENS_8SequenceIJLi32ELi2ELi1EEEENSC_IJLi1ELi0ELi2EEEESE_Li2ELi8ELi8ELb0ELi0ENSC_IJLi16ELi4ELi1EEEESE_SE_Li2ELi16ELi16ELb0ELi0ELi1ELi1ENSC_IJLi1ELi16ELi1ELi4EEEELi4ELNS_26BlockGemmPipelineSchedulerE1ELNS_24BlockGemmPipelineVersionE0EDF16_DF16_Lb0ELb0ELb0ELi0ELb0EEELb0ELNS_25InMemoryDataOperationEnumE0ELi2ELNS_10TailNumberE10EEEvNT_8ArgumentE: ; @_ZN2ck27kernel_gemm_xdl_cshuffle_v3INS_28GridwiseGemm_xdl_cshuffle_v3INS_13tensor_layout4gemm8RowMajorENS3_11ColumnMajorES4_DF16_NS_9f8_fnuz_tEfDF16_DF16_NS_16tensor_operation12element_wise11PassThroughES9_S9_LNS7_6device18GemmSpecializationE0ELi64ELi32ELi32ELi256ELi8ELi16ELi16ELi16ELi2ELi2ENS_8SequenceIJLi32ELi2ELi1EEEENSC_IJLi1ELi0ELi2EEEESE_Li2ELi8ELi8ELb0ELi0ENSC_IJLi16ELi4ELi1EEEESE_SE_Li2ELi16ELi16ELb0ELi0ELi1ELi1ENSC_IJLi1ELi16ELi1ELi4EEEELi4ELNS_26BlockGemmPipelineSchedulerE1ELNS_24BlockGemmPipelineVersionE0EDF16_DF16_Lb0ELb0ELb0ELi0ELb0EEELb0ELNS_25InMemoryDataOperationEnumE0ELi2ELNS_10TailNumberE10EEEvNT_8ArgumentE
; %bb.0:
	s_endpgm
	.section	.rodata,"a",@progbits
	.p2align	6, 0x0
	.amdhsa_kernel _ZN2ck27kernel_gemm_xdl_cshuffle_v3INS_28GridwiseGemm_xdl_cshuffle_v3INS_13tensor_layout4gemm8RowMajorENS3_11ColumnMajorES4_DF16_NS_9f8_fnuz_tEfDF16_DF16_NS_16tensor_operation12element_wise11PassThroughES9_S9_LNS7_6device18GemmSpecializationE0ELi64ELi32ELi32ELi256ELi8ELi16ELi16ELi16ELi2ELi2ENS_8SequenceIJLi32ELi2ELi1EEEENSC_IJLi1ELi0ELi2EEEESE_Li2ELi8ELi8ELb0ELi0ENSC_IJLi16ELi4ELi1EEEESE_SE_Li2ELi16ELi16ELb0ELi0ELi1ELi1ENSC_IJLi1ELi16ELi1ELi4EEEELi4ELNS_26BlockGemmPipelineSchedulerE1ELNS_24BlockGemmPipelineVersionE0EDF16_DF16_Lb0ELb0ELb0ELi0ELb0EEELb0ELNS_25InMemoryDataOperationEnumE0ELi2ELNS_10TailNumberE10EEEvNT_8ArgumentE
		.amdhsa_group_segment_fixed_size 0
		.amdhsa_private_segment_fixed_size 0
		.amdhsa_kernarg_size 112
		.amdhsa_user_sgpr_count 2
		.amdhsa_user_sgpr_dispatch_ptr 0
		.amdhsa_user_sgpr_queue_ptr 0
		.amdhsa_user_sgpr_kernarg_segment_ptr 1
		.amdhsa_user_sgpr_dispatch_id 0
		.amdhsa_user_sgpr_private_segment_size 0
		.amdhsa_wavefront_size32 1
		.amdhsa_uses_dynamic_stack 0
		.amdhsa_enable_private_segment 0
		.amdhsa_system_sgpr_workgroup_id_x 1
		.amdhsa_system_sgpr_workgroup_id_y 0
		.amdhsa_system_sgpr_workgroup_id_z 0
		.amdhsa_system_sgpr_workgroup_info 0
		.amdhsa_system_vgpr_workitem_id 0
		.amdhsa_next_free_vgpr 1
		.amdhsa_next_free_sgpr 1
		.amdhsa_reserve_vcc 0
		.amdhsa_float_round_mode_32 0
		.amdhsa_float_round_mode_16_64 0
		.amdhsa_float_denorm_mode_32 3
		.amdhsa_float_denorm_mode_16_64 3
		.amdhsa_fp16_overflow 0
		.amdhsa_workgroup_processor_mode 1
		.amdhsa_memory_ordered 1
		.amdhsa_forward_progress 1
		.amdhsa_inst_pref_size 1
		.amdhsa_round_robin_scheduling 0
		.amdhsa_exception_fp_ieee_invalid_op 0
		.amdhsa_exception_fp_denorm_src 0
		.amdhsa_exception_fp_ieee_div_zero 0
		.amdhsa_exception_fp_ieee_overflow 0
		.amdhsa_exception_fp_ieee_underflow 0
		.amdhsa_exception_fp_ieee_inexact 0
		.amdhsa_exception_int_div_zero 0
	.end_amdhsa_kernel
	.section	.text._ZN2ck27kernel_gemm_xdl_cshuffle_v3INS_28GridwiseGemm_xdl_cshuffle_v3INS_13tensor_layout4gemm8RowMajorENS3_11ColumnMajorES4_DF16_NS_9f8_fnuz_tEfDF16_DF16_NS_16tensor_operation12element_wise11PassThroughES9_S9_LNS7_6device18GemmSpecializationE0ELi64ELi32ELi32ELi256ELi8ELi16ELi16ELi16ELi2ELi2ENS_8SequenceIJLi32ELi2ELi1EEEENSC_IJLi1ELi0ELi2EEEESE_Li2ELi8ELi8ELb0ELi0ENSC_IJLi16ELi4ELi1EEEESE_SE_Li2ELi16ELi16ELb0ELi0ELi1ELi1ENSC_IJLi1ELi16ELi1ELi4EEEELi4ELNS_26BlockGemmPipelineSchedulerE1ELNS_24BlockGemmPipelineVersionE0EDF16_DF16_Lb0ELb0ELb0ELi0ELb0EEELb0ELNS_25InMemoryDataOperationEnumE0ELi2ELNS_10TailNumberE10EEEvNT_8ArgumentE,"axG",@progbits,_ZN2ck27kernel_gemm_xdl_cshuffle_v3INS_28GridwiseGemm_xdl_cshuffle_v3INS_13tensor_layout4gemm8RowMajorENS3_11ColumnMajorES4_DF16_NS_9f8_fnuz_tEfDF16_DF16_NS_16tensor_operation12element_wise11PassThroughES9_S9_LNS7_6device18GemmSpecializationE0ELi64ELi32ELi32ELi256ELi8ELi16ELi16ELi16ELi2ELi2ENS_8SequenceIJLi32ELi2ELi1EEEENSC_IJLi1ELi0ELi2EEEESE_Li2ELi8ELi8ELb0ELi0ENSC_IJLi16ELi4ELi1EEEESE_SE_Li2ELi16ELi16ELb0ELi0ELi1ELi1ENSC_IJLi1ELi16ELi1ELi4EEEELi4ELNS_26BlockGemmPipelineSchedulerE1ELNS_24BlockGemmPipelineVersionE0EDF16_DF16_Lb0ELb0ELb0ELi0ELb0EEELb0ELNS_25InMemoryDataOperationEnumE0ELi2ELNS_10TailNumberE10EEEvNT_8ArgumentE,comdat
.Lfunc_end4:
	.size	_ZN2ck27kernel_gemm_xdl_cshuffle_v3INS_28GridwiseGemm_xdl_cshuffle_v3INS_13tensor_layout4gemm8RowMajorENS3_11ColumnMajorES4_DF16_NS_9f8_fnuz_tEfDF16_DF16_NS_16tensor_operation12element_wise11PassThroughES9_S9_LNS7_6device18GemmSpecializationE0ELi64ELi32ELi32ELi256ELi8ELi16ELi16ELi16ELi2ELi2ENS_8SequenceIJLi32ELi2ELi1EEEENSC_IJLi1ELi0ELi2EEEESE_Li2ELi8ELi8ELb0ELi0ENSC_IJLi16ELi4ELi1EEEESE_SE_Li2ELi16ELi16ELb0ELi0ELi1ELi1ENSC_IJLi1ELi16ELi1ELi4EEEELi4ELNS_26BlockGemmPipelineSchedulerE1ELNS_24BlockGemmPipelineVersionE0EDF16_DF16_Lb0ELb0ELb0ELi0ELb0EEELb0ELNS_25InMemoryDataOperationEnumE0ELi2ELNS_10TailNumberE10EEEvNT_8ArgumentE, .Lfunc_end4-_ZN2ck27kernel_gemm_xdl_cshuffle_v3INS_28GridwiseGemm_xdl_cshuffle_v3INS_13tensor_layout4gemm8RowMajorENS3_11ColumnMajorES4_DF16_NS_9f8_fnuz_tEfDF16_DF16_NS_16tensor_operation12element_wise11PassThroughES9_S9_LNS7_6device18GemmSpecializationE0ELi64ELi32ELi32ELi256ELi8ELi16ELi16ELi16ELi2ELi2ENS_8SequenceIJLi32ELi2ELi1EEEENSC_IJLi1ELi0ELi2EEEESE_Li2ELi8ELi8ELb0ELi0ENSC_IJLi16ELi4ELi1EEEESE_SE_Li2ELi16ELi16ELb0ELi0ELi1ELi1ENSC_IJLi1ELi16ELi1ELi4EEEELi4ELNS_26BlockGemmPipelineSchedulerE1ELNS_24BlockGemmPipelineVersionE0EDF16_DF16_Lb0ELb0ELb0ELi0ELb0EEELb0ELNS_25InMemoryDataOperationEnumE0ELi2ELNS_10TailNumberE10EEEvNT_8ArgumentE
                                        ; -- End function
	.set _ZN2ck27kernel_gemm_xdl_cshuffle_v3INS_28GridwiseGemm_xdl_cshuffle_v3INS_13tensor_layout4gemm8RowMajorENS3_11ColumnMajorES4_DF16_NS_9f8_fnuz_tEfDF16_DF16_NS_16tensor_operation12element_wise11PassThroughES9_S9_LNS7_6device18GemmSpecializationE0ELi64ELi32ELi32ELi256ELi8ELi16ELi16ELi16ELi2ELi2ENS_8SequenceIJLi32ELi2ELi1EEEENSC_IJLi1ELi0ELi2EEEESE_Li2ELi8ELi8ELb0ELi0ENSC_IJLi16ELi4ELi1EEEESE_SE_Li2ELi16ELi16ELb0ELi0ELi1ELi1ENSC_IJLi1ELi16ELi1ELi4EEEELi4ELNS_26BlockGemmPipelineSchedulerE1ELNS_24BlockGemmPipelineVersionE0EDF16_DF16_Lb0ELb0ELb0ELi0ELb0EEELb0ELNS_25InMemoryDataOperationEnumE0ELi2ELNS_10TailNumberE10EEEvNT_8ArgumentE.num_vgpr, 0
	.set _ZN2ck27kernel_gemm_xdl_cshuffle_v3INS_28GridwiseGemm_xdl_cshuffle_v3INS_13tensor_layout4gemm8RowMajorENS3_11ColumnMajorES4_DF16_NS_9f8_fnuz_tEfDF16_DF16_NS_16tensor_operation12element_wise11PassThroughES9_S9_LNS7_6device18GemmSpecializationE0ELi64ELi32ELi32ELi256ELi8ELi16ELi16ELi16ELi2ELi2ENS_8SequenceIJLi32ELi2ELi1EEEENSC_IJLi1ELi0ELi2EEEESE_Li2ELi8ELi8ELb0ELi0ENSC_IJLi16ELi4ELi1EEEESE_SE_Li2ELi16ELi16ELb0ELi0ELi1ELi1ENSC_IJLi1ELi16ELi1ELi4EEEELi4ELNS_26BlockGemmPipelineSchedulerE1ELNS_24BlockGemmPipelineVersionE0EDF16_DF16_Lb0ELb0ELb0ELi0ELb0EEELb0ELNS_25InMemoryDataOperationEnumE0ELi2ELNS_10TailNumberE10EEEvNT_8ArgumentE.num_agpr, 0
	.set _ZN2ck27kernel_gemm_xdl_cshuffle_v3INS_28GridwiseGemm_xdl_cshuffle_v3INS_13tensor_layout4gemm8RowMajorENS3_11ColumnMajorES4_DF16_NS_9f8_fnuz_tEfDF16_DF16_NS_16tensor_operation12element_wise11PassThroughES9_S9_LNS7_6device18GemmSpecializationE0ELi64ELi32ELi32ELi256ELi8ELi16ELi16ELi16ELi2ELi2ENS_8SequenceIJLi32ELi2ELi1EEEENSC_IJLi1ELi0ELi2EEEESE_Li2ELi8ELi8ELb0ELi0ENSC_IJLi16ELi4ELi1EEEESE_SE_Li2ELi16ELi16ELb0ELi0ELi1ELi1ENSC_IJLi1ELi16ELi1ELi4EEEELi4ELNS_26BlockGemmPipelineSchedulerE1ELNS_24BlockGemmPipelineVersionE0EDF16_DF16_Lb0ELb0ELb0ELi0ELb0EEELb0ELNS_25InMemoryDataOperationEnumE0ELi2ELNS_10TailNumberE10EEEvNT_8ArgumentE.numbered_sgpr, 0
	.set _ZN2ck27kernel_gemm_xdl_cshuffle_v3INS_28GridwiseGemm_xdl_cshuffle_v3INS_13tensor_layout4gemm8RowMajorENS3_11ColumnMajorES4_DF16_NS_9f8_fnuz_tEfDF16_DF16_NS_16tensor_operation12element_wise11PassThroughES9_S9_LNS7_6device18GemmSpecializationE0ELi64ELi32ELi32ELi256ELi8ELi16ELi16ELi16ELi2ELi2ENS_8SequenceIJLi32ELi2ELi1EEEENSC_IJLi1ELi0ELi2EEEESE_Li2ELi8ELi8ELb0ELi0ENSC_IJLi16ELi4ELi1EEEESE_SE_Li2ELi16ELi16ELb0ELi0ELi1ELi1ENSC_IJLi1ELi16ELi1ELi4EEEELi4ELNS_26BlockGemmPipelineSchedulerE1ELNS_24BlockGemmPipelineVersionE0EDF16_DF16_Lb0ELb0ELb0ELi0ELb0EEELb0ELNS_25InMemoryDataOperationEnumE0ELi2ELNS_10TailNumberE10EEEvNT_8ArgumentE.num_named_barrier, 0
	.set _ZN2ck27kernel_gemm_xdl_cshuffle_v3INS_28GridwiseGemm_xdl_cshuffle_v3INS_13tensor_layout4gemm8RowMajorENS3_11ColumnMajorES4_DF16_NS_9f8_fnuz_tEfDF16_DF16_NS_16tensor_operation12element_wise11PassThroughES9_S9_LNS7_6device18GemmSpecializationE0ELi64ELi32ELi32ELi256ELi8ELi16ELi16ELi16ELi2ELi2ENS_8SequenceIJLi32ELi2ELi1EEEENSC_IJLi1ELi0ELi2EEEESE_Li2ELi8ELi8ELb0ELi0ENSC_IJLi16ELi4ELi1EEEESE_SE_Li2ELi16ELi16ELb0ELi0ELi1ELi1ENSC_IJLi1ELi16ELi1ELi4EEEELi4ELNS_26BlockGemmPipelineSchedulerE1ELNS_24BlockGemmPipelineVersionE0EDF16_DF16_Lb0ELb0ELb0ELi0ELb0EEELb0ELNS_25InMemoryDataOperationEnumE0ELi2ELNS_10TailNumberE10EEEvNT_8ArgumentE.private_seg_size, 0
	.set _ZN2ck27kernel_gemm_xdl_cshuffle_v3INS_28GridwiseGemm_xdl_cshuffle_v3INS_13tensor_layout4gemm8RowMajorENS3_11ColumnMajorES4_DF16_NS_9f8_fnuz_tEfDF16_DF16_NS_16tensor_operation12element_wise11PassThroughES9_S9_LNS7_6device18GemmSpecializationE0ELi64ELi32ELi32ELi256ELi8ELi16ELi16ELi16ELi2ELi2ENS_8SequenceIJLi32ELi2ELi1EEEENSC_IJLi1ELi0ELi2EEEESE_Li2ELi8ELi8ELb0ELi0ENSC_IJLi16ELi4ELi1EEEESE_SE_Li2ELi16ELi16ELb0ELi0ELi1ELi1ENSC_IJLi1ELi16ELi1ELi4EEEELi4ELNS_26BlockGemmPipelineSchedulerE1ELNS_24BlockGemmPipelineVersionE0EDF16_DF16_Lb0ELb0ELb0ELi0ELb0EEELb0ELNS_25InMemoryDataOperationEnumE0ELi2ELNS_10TailNumberE10EEEvNT_8ArgumentE.uses_vcc, 0
	.set _ZN2ck27kernel_gemm_xdl_cshuffle_v3INS_28GridwiseGemm_xdl_cshuffle_v3INS_13tensor_layout4gemm8RowMajorENS3_11ColumnMajorES4_DF16_NS_9f8_fnuz_tEfDF16_DF16_NS_16tensor_operation12element_wise11PassThroughES9_S9_LNS7_6device18GemmSpecializationE0ELi64ELi32ELi32ELi256ELi8ELi16ELi16ELi16ELi2ELi2ENS_8SequenceIJLi32ELi2ELi1EEEENSC_IJLi1ELi0ELi2EEEESE_Li2ELi8ELi8ELb0ELi0ENSC_IJLi16ELi4ELi1EEEESE_SE_Li2ELi16ELi16ELb0ELi0ELi1ELi1ENSC_IJLi1ELi16ELi1ELi4EEEELi4ELNS_26BlockGemmPipelineSchedulerE1ELNS_24BlockGemmPipelineVersionE0EDF16_DF16_Lb0ELb0ELb0ELi0ELb0EEELb0ELNS_25InMemoryDataOperationEnumE0ELi2ELNS_10TailNumberE10EEEvNT_8ArgumentE.uses_flat_scratch, 0
	.set _ZN2ck27kernel_gemm_xdl_cshuffle_v3INS_28GridwiseGemm_xdl_cshuffle_v3INS_13tensor_layout4gemm8RowMajorENS3_11ColumnMajorES4_DF16_NS_9f8_fnuz_tEfDF16_DF16_NS_16tensor_operation12element_wise11PassThroughES9_S9_LNS7_6device18GemmSpecializationE0ELi64ELi32ELi32ELi256ELi8ELi16ELi16ELi16ELi2ELi2ENS_8SequenceIJLi32ELi2ELi1EEEENSC_IJLi1ELi0ELi2EEEESE_Li2ELi8ELi8ELb0ELi0ENSC_IJLi16ELi4ELi1EEEESE_SE_Li2ELi16ELi16ELb0ELi0ELi1ELi1ENSC_IJLi1ELi16ELi1ELi4EEEELi4ELNS_26BlockGemmPipelineSchedulerE1ELNS_24BlockGemmPipelineVersionE0EDF16_DF16_Lb0ELb0ELb0ELi0ELb0EEELb0ELNS_25InMemoryDataOperationEnumE0ELi2ELNS_10TailNumberE10EEEvNT_8ArgumentE.has_dyn_sized_stack, 0
	.set _ZN2ck27kernel_gemm_xdl_cshuffle_v3INS_28GridwiseGemm_xdl_cshuffle_v3INS_13tensor_layout4gemm8RowMajorENS3_11ColumnMajorES4_DF16_NS_9f8_fnuz_tEfDF16_DF16_NS_16tensor_operation12element_wise11PassThroughES9_S9_LNS7_6device18GemmSpecializationE0ELi64ELi32ELi32ELi256ELi8ELi16ELi16ELi16ELi2ELi2ENS_8SequenceIJLi32ELi2ELi1EEEENSC_IJLi1ELi0ELi2EEEESE_Li2ELi8ELi8ELb0ELi0ENSC_IJLi16ELi4ELi1EEEESE_SE_Li2ELi16ELi16ELb0ELi0ELi1ELi1ENSC_IJLi1ELi16ELi1ELi4EEEELi4ELNS_26BlockGemmPipelineSchedulerE1ELNS_24BlockGemmPipelineVersionE0EDF16_DF16_Lb0ELb0ELb0ELi0ELb0EEELb0ELNS_25InMemoryDataOperationEnumE0ELi2ELNS_10TailNumberE10EEEvNT_8ArgumentE.has_recursion, 0
	.set _ZN2ck27kernel_gemm_xdl_cshuffle_v3INS_28GridwiseGemm_xdl_cshuffle_v3INS_13tensor_layout4gemm8RowMajorENS3_11ColumnMajorES4_DF16_NS_9f8_fnuz_tEfDF16_DF16_NS_16tensor_operation12element_wise11PassThroughES9_S9_LNS7_6device18GemmSpecializationE0ELi64ELi32ELi32ELi256ELi8ELi16ELi16ELi16ELi2ELi2ENS_8SequenceIJLi32ELi2ELi1EEEENSC_IJLi1ELi0ELi2EEEESE_Li2ELi8ELi8ELb0ELi0ENSC_IJLi16ELi4ELi1EEEESE_SE_Li2ELi16ELi16ELb0ELi0ELi1ELi1ENSC_IJLi1ELi16ELi1ELi4EEEELi4ELNS_26BlockGemmPipelineSchedulerE1ELNS_24BlockGemmPipelineVersionE0EDF16_DF16_Lb0ELb0ELb0ELi0ELb0EEELb0ELNS_25InMemoryDataOperationEnumE0ELi2ELNS_10TailNumberE10EEEvNT_8ArgumentE.has_indirect_call, 0
	.section	.AMDGPU.csdata,"",@progbits
; Kernel info:
; codeLenInByte = 4
; TotalNumSgprs: 0
; NumVgprs: 0
; ScratchSize: 0
; MemoryBound: 0
; FloatMode: 240
; IeeeMode: 1
; LDSByteSize: 0 bytes/workgroup (compile time only)
; SGPRBlocks: 0
; VGPRBlocks: 0
; NumSGPRsForWavesPerEU: 1
; NumVGPRsForWavesPerEU: 1
; Occupancy: 16
; WaveLimiterHint : 0
; COMPUTE_PGM_RSRC2:SCRATCH_EN: 0
; COMPUTE_PGM_RSRC2:USER_SGPR: 2
; COMPUTE_PGM_RSRC2:TRAP_HANDLER: 0
; COMPUTE_PGM_RSRC2:TGID_X_EN: 1
; COMPUTE_PGM_RSRC2:TGID_Y_EN: 0
; COMPUTE_PGM_RSRC2:TGID_Z_EN: 0
; COMPUTE_PGM_RSRC2:TIDIG_COMP_CNT: 0
	.text
	.p2align	2                               ; -- Begin function _ZN2ck35ThreadGroupTensorSliceTransfer_v4r1INS_15ThisThreadBlockILi64EEENS_16tensor_operation12element_wise11PassThroughES5_LNS_25InMemoryDataOperationEnumE0ENS_8SequenceIJLi32ELi32ELi8EEEENS7_IJLi32ELi2ELi1EEEENS7_IJLi1ELi0ELi2EEEEDF16_DF16_RKNS_16TensorDescriptorINS_5TupleIJNS_5EmbedINSC_IJiiEEENSC_IJiNS_17integral_constantIiLi1EEEEEELb0EEENS_7UnMergeISE_Lb0EEENS_11PassThroughIiEEEEENSC_IJNS7_IJLi0EEEENS7_IJLi2EEEENS7_IJLi1EEEEEEENSC_IJNS7_IJLi1ELi2EEEENS7_IJLi3ELi4EEEENS7_IJLi5EEEEEEENS7_IJLi3ELi5ELi4EEEElEEKNSB_INSC_IJNSD_INSC_IJNSF_IiLi32EEES10_NSF_IiLi8EEEEEENSC_IJS11_NSF_IiLi256EEESG_EEELb0EEENS_3XorINSC_IJS10_S10_EEELb1EEENSL_IS11_EENSJ_INSC_IJS10_SG_EEELb0EEENSL_IS10_EES19_S1C_NS_21Merge_v3_division_modIS1A_EES19_EEENSC_IJSO_NS7_IJLi2ELi1EEEENS7_IJLi3EEEESU_NS7_IJLi4EEEENS7_IJLi6EEEENS7_IJLi7EEEENS7_IJLi9ELi8EEEENS7_IJLi10EEEEEEENSC_IJNS7_IJLi1ELi2ELi3EEEENS7_IJLi4ELi5EEEES1J_NS7_IJLi7ELi8EEEENS7_IJLi9EEEES1M_NS7_IJLi11EEEENS7_IJLi12EEEENS7_IJLi13EEEEEEENS7_IJLi11ELi12ELi13EEEENSF_IlLl8192EEEEESA_NS7_IJLi0ELi1ELi2EEEELi2ELi2ELi8ELi8ELi1ELi1ELb0ELb1ELi1EiE8RunWriteINS_13DynamicBufferILNS_16AddressSpaceEnumE2EDF16_S1X_Lb1ELNS_22AmdBufferCoherenceEnumE0EiEELi0EEEvRS1Z_RT_NSF_IiXT0_EEE
	.type	_ZN2ck35ThreadGroupTensorSliceTransfer_v4r1INS_15ThisThreadBlockILi64EEENS_16tensor_operation12element_wise11PassThroughES5_LNS_25InMemoryDataOperationEnumE0ENS_8SequenceIJLi32ELi32ELi8EEEENS7_IJLi32ELi2ELi1EEEENS7_IJLi1ELi0ELi2EEEEDF16_DF16_RKNS_16TensorDescriptorINS_5TupleIJNS_5EmbedINSC_IJiiEEENSC_IJiNS_17integral_constantIiLi1EEEEEELb0EEENS_7UnMergeISE_Lb0EEENS_11PassThroughIiEEEEENSC_IJNS7_IJLi0EEEENS7_IJLi2EEEENS7_IJLi1EEEEEEENSC_IJNS7_IJLi1ELi2EEEENS7_IJLi3ELi4EEEENS7_IJLi5EEEEEEENS7_IJLi3ELi5ELi4EEEElEEKNSB_INSC_IJNSD_INSC_IJNSF_IiLi32EEES10_NSF_IiLi8EEEEEENSC_IJS11_NSF_IiLi256EEESG_EEELb0EEENS_3XorINSC_IJS10_S10_EEELb1EEENSL_IS11_EENSJ_INSC_IJS10_SG_EEELb0EEENSL_IS10_EES19_S1C_NS_21Merge_v3_division_modIS1A_EES19_EEENSC_IJSO_NS7_IJLi2ELi1EEEENS7_IJLi3EEEESU_NS7_IJLi4EEEENS7_IJLi6EEEENS7_IJLi7EEEENS7_IJLi9ELi8EEEENS7_IJLi10EEEEEEENSC_IJNS7_IJLi1ELi2ELi3EEEENS7_IJLi4ELi5EEEES1J_NS7_IJLi7ELi8EEEENS7_IJLi9EEEES1M_NS7_IJLi11EEEENS7_IJLi12EEEENS7_IJLi13EEEEEEENS7_IJLi11ELi12ELi13EEEENSF_IlLl8192EEEEESA_NS7_IJLi0ELi1ELi2EEEELi2ELi2ELi8ELi8ELi1ELi1ELb0ELb1ELi1EiE8RunWriteINS_13DynamicBufferILNS_16AddressSpaceEnumE2EDF16_S1X_Lb1ELNS_22AmdBufferCoherenceEnumE0EiEELi0EEEvRS1Z_RT_NSF_IiXT0_EEE,@function
_ZN2ck35ThreadGroupTensorSliceTransfer_v4r1INS_15ThisThreadBlockILi64EEENS_16tensor_operation12element_wise11PassThroughES5_LNS_25InMemoryDataOperationEnumE0ENS_8SequenceIJLi32ELi32ELi8EEEENS7_IJLi32ELi2ELi1EEEENS7_IJLi1ELi0ELi2EEEEDF16_DF16_RKNS_16TensorDescriptorINS_5TupleIJNS_5EmbedINSC_IJiiEEENSC_IJiNS_17integral_constantIiLi1EEEEEELb0EEENS_7UnMergeISE_Lb0EEENS_11PassThroughIiEEEEENSC_IJNS7_IJLi0EEEENS7_IJLi2EEEENS7_IJLi1EEEEEEENSC_IJNS7_IJLi1ELi2EEEENS7_IJLi3ELi4EEEENS7_IJLi5EEEEEEENS7_IJLi3ELi5ELi4EEEElEEKNSB_INSC_IJNSD_INSC_IJNSF_IiLi32EEES10_NSF_IiLi8EEEEEENSC_IJS11_NSF_IiLi256EEESG_EEELb0EEENS_3XorINSC_IJS10_S10_EEELb1EEENSL_IS11_EENSJ_INSC_IJS10_SG_EEELb0EEENSL_IS10_EES19_S1C_NS_21Merge_v3_division_modIS1A_EES19_EEENSC_IJSO_NS7_IJLi2ELi1EEEENS7_IJLi3EEEESU_NS7_IJLi4EEEENS7_IJLi6EEEENS7_IJLi7EEEENS7_IJLi9ELi8EEEENS7_IJLi10EEEEEEENSC_IJNS7_IJLi1ELi2ELi3EEEENS7_IJLi4ELi5EEEES1J_NS7_IJLi7ELi8EEEENS7_IJLi9EEEES1M_NS7_IJLi11EEEENS7_IJLi12EEEENS7_IJLi13EEEEEEENS7_IJLi11ELi12ELi13EEEENSF_IlLl8192EEEEESA_NS7_IJLi0ELi1ELi2EEEELi2ELi2ELi8ELi8ELi1ELi1ELb0ELb1ELi1EiE8RunWriteINS_13DynamicBufferILNS_16AddressSpaceEnumE2EDF16_S1X_Lb1ELNS_22AmdBufferCoherenceEnumE0EiEELi0EEEvRS1Z_RT_NSF_IiXT0_EEE: ; @_ZN2ck35ThreadGroupTensorSliceTransfer_v4r1INS_15ThisThreadBlockILi64EEENS_16tensor_operation12element_wise11PassThroughES5_LNS_25InMemoryDataOperationEnumE0ENS_8SequenceIJLi32ELi32ELi8EEEENS7_IJLi32ELi2ELi1EEEENS7_IJLi1ELi0ELi2EEEEDF16_DF16_RKNS_16TensorDescriptorINS_5TupleIJNS_5EmbedINSC_IJiiEEENSC_IJiNS_17integral_constantIiLi1EEEEEELb0EEENS_7UnMergeISE_Lb0EEENS_11PassThroughIiEEEEENSC_IJNS7_IJLi0EEEENS7_IJLi2EEEENS7_IJLi1EEEEEEENSC_IJNS7_IJLi1ELi2EEEENS7_IJLi3ELi4EEEENS7_IJLi5EEEEEEENS7_IJLi3ELi5ELi4EEEElEEKNSB_INSC_IJNSD_INSC_IJNSF_IiLi32EEES10_NSF_IiLi8EEEEEENSC_IJS11_NSF_IiLi256EEESG_EEELb0EEENS_3XorINSC_IJS10_S10_EEELb1EEENSL_IS11_EENSJ_INSC_IJS10_SG_EEELb0EEENSL_IS10_EES19_S1C_NS_21Merge_v3_division_modIS1A_EES19_EEENSC_IJSO_NS7_IJLi2ELi1EEEENS7_IJLi3EEEESU_NS7_IJLi4EEEENS7_IJLi6EEEENS7_IJLi7EEEENS7_IJLi9ELi8EEEENS7_IJLi10EEEEEEENSC_IJNS7_IJLi1ELi2ELi3EEEENS7_IJLi4ELi5EEEES1J_NS7_IJLi7ELi8EEEENS7_IJLi9EEEES1M_NS7_IJLi11EEEENS7_IJLi12EEEENS7_IJLi13EEEEEEENS7_IJLi11ELi12ELi13EEEENSF_IlLl8192EEEEESA_NS7_IJLi0ELi1ELi2EEEELi2ELi2ELi8ELi8ELi1ELi1ELb0ELb1ELi1EiE8RunWriteINS_13DynamicBufferILNS_16AddressSpaceEnumE2EDF16_S1X_Lb1ELNS_22AmdBufferCoherenceEnumE0EiEELi0EEEvRS1Z_RT_NSF_IiXT0_EEE
; %bb.0:
	s_wait_loadcnt_dscnt 0x0
	s_wait_expcnt 0x0
	s_wait_samplecnt 0x0
	s_wait_bvhcnt 0x0
	s_wait_kmcnt 0x0
	s_clause 0x1f
	flat_load_u8 v100, v[0:1] offset:272
	flat_load_u8 v101, v[0:1] offset:280
	;; [unrolled: 1-line block ×16, first 2 shown]
	flat_load_b128 v[4:7], v[0:1]
	flat_load_b128 v[8:11], v[0:1] offset:16
	flat_load_b128 v[12:15], v[0:1] offset:32
	;; [unrolled: 1-line block ×15, first 2 shown]
	s_wait_loadcnt_dscnt 0x1f1f
	v_and_b32_e32 v100, 1, v100
	s_delay_alu instid0(VALU_DEP_1)
	v_cmp_eq_u32_e32 vcc_lo, 1, v100
	s_wait_loadcnt_dscnt 0x1e1e
	v_and_b32_e32 v101, 1, v101
	s_wait_loadcnt_dscnt 0x1d1d
	v_and_b32_e32 v102, 1, v102
	s_wait_loadcnt_dscnt 0xf0f
	s_wait_alu 0xfffd
	v_dual_cndmask_b32 v4, 0, v4 :: v_dual_and_b32 v103, 1, v103
	v_dual_cndmask_b32 v7, 0, v7 :: v_dual_cndmask_b32 v6, 0, v6
	v_cmp_eq_u32_e64 s0, 1, v101
	v_cndmask_b32_e32 v5, 0, v5, vcc_lo
	v_cmp_eq_u32_e32 vcc_lo, 1, v102
	v_and_b32_e32 v112, 1, v112
	v_and_b32_e32 v113, 1, v113
	;; [unrolled: 1-line block ×3, first 2 shown]
	s_wait_loadcnt_dscnt 0xd0d
	s_wait_alu 0xfffd
	v_dual_cndmask_b32 v12, 0, v12 :: v_dual_and_b32 v115, 1, v115
	s_wait_alu 0xf1ff
	v_cndmask_b32_e64 v11, 0, v11, s0
	v_cndmask_b32_e32 v15, 0, v15, vcc_lo
	v_cmp_eq_u32_e64 s1, 1, v103
	v_cndmask_b32_e64 v10, 0, v10, s0
	v_cndmask_b32_e64 v9, 0, v9, s0
	;; [unrolled: 1-line block ×3, first 2 shown]
	v_cmp_eq_u32_e64 s0, 1, v112
	v_dual_cndmask_b32 v14, 0, v14 :: v_dual_cndmask_b32 v13, 0, v13
	v_cmp_eq_u32_e32 vcc_lo, 1, v113
	v_and_b32_e32 v116, 1, v116
	v_and_b32_e32 v117, 1, v117
	;; [unrolled: 1-line block ×3, first 2 shown]
	s_wait_loadcnt_dscnt 0xa0a
	s_wait_alu 0xfffd
	v_dual_cndmask_b32 v24, 0, v24 :: v_dual_and_b32 v119, 1, v119
	s_wait_alu 0xf1ff
	v_cndmask_b32_e64 v19, 0, v19, s1
	v_cndmask_b32_e64 v23, 0, v23, s0
	v_cndmask_b32_e32 v27, 0, v27, vcc_lo
	v_cndmask_b32_e64 v18, 0, v18, s1
	v_cndmask_b32_e64 v17, 0, v17, s1
	;; [unrolled: 1-line block ×3, first 2 shown]
	v_cmp_eq_u32_e64 s1, 1, v114
	v_cmp_eq_u32_e64 s2, 1, v115
	v_cndmask_b32_e64 v22, 0, v22, s0
	v_cndmask_b32_e64 v21, 0, v21, s0
	v_cndmask_b32_e64 v20, 0, v20, s0
	v_cmp_eq_u32_e64 s0, 1, v116
	v_dual_cndmask_b32 v26, 0, v26 :: v_dual_cndmask_b32 v25, 0, v25
	v_cmp_eq_u32_e32 vcc_lo, 1, v117
	v_and_b32_e32 v128, 1, v128
	v_and_b32_e32 v129, 1, v129
	;; [unrolled: 1-line block ×3, first 2 shown]
	s_wait_loadcnt_dscnt 0x909
	s_wait_alu 0xf1ff
	v_cndmask_b32_e64 v31, 0, v31, s1
	s_wait_loadcnt_dscnt 0x808
	v_cndmask_b32_e64 v35, 0, v35, s2
	s_wait_loadcnt_dscnt 0x707
	;; [unrolled: 2-line block ×3, first 2 shown]
	s_wait_alu 0xfffd
	v_cndmask_b32_e32 v51, 0, v51, vcc_lo
	v_cndmask_b32_e64 v30, 0, v30, s1
	v_cndmask_b32_e64 v29, 0, v29, s1
	;; [unrolled: 1-line block ×3, first 2 shown]
	v_cmp_eq_u32_e64 s1, 1, v118
	v_cmp_eq_u32_e64 s3, 1, v119
	v_cndmask_b32_e64 v34, 0, v34, s2
	v_cndmask_b32_e64 v33, 0, v33, s2
	;; [unrolled: 1-line block ×3, first 2 shown]
	v_cmp_eq_u32_e64 s2, 1, v128
	v_cndmask_b32_e64 v38, 0, v38, s0
	v_cndmask_b32_e64 v37, 0, v37, s0
	;; [unrolled: 1-line block ×3, first 2 shown]
	v_cndmask_b32_e32 v50, 0, v50, vcc_lo
	v_cmp_eq_u32_e64 s0, 1, v129
	v_dual_cndmask_b32 v49, 0, v49 :: v_dual_cndmask_b32 v48, 0, v48
	v_cmp_eq_u32_e32 vcc_lo, 1, v130
	v_and_b32_e32 v100, 1, v131
	s_wait_loadcnt_dscnt 0x505
	s_wait_alu 0xf1ff
	v_cndmask_b32_e64 v55, 0, v55, s1
	s_wait_loadcnt_dscnt 0x404
	v_cndmask_b32_e64 v67, 0, v67, s3
	s_wait_loadcnt_dscnt 0x303
	;; [unrolled: 2-line block ×4, first 2 shown]
	s_wait_alu 0xfffd
	v_cndmask_b32_e32 v87, 0, v87, vcc_lo
	v_cndmask_b32_e64 v54, 0, v54, s1
	v_cndmask_b32_e64 v53, 0, v53, s1
	;; [unrolled: 1-line block ×12, first 2 shown]
	s_clause 0xd
	flat_store_b128 v[0:1], v[4:7]
	flat_store_b128 v[0:1], v[8:11] offset:16
	flat_store_b128 v[0:1], v[12:15] offset:32
	;; [unrolled: 1-line block ×13, first 2 shown]
	s_clause 0x5
	flat_load_b128 v[4:7], v[0:1]
	flat_load_b128 v[8:11], v[0:1] offset:16
	flat_load_b128 v[12:15], v[0:1] offset:32
	flat_load_b128 v[16:19], v[0:1] offset:48
	flat_load_b128 v[20:23], v[0:1] offset:64
	flat_load_b128 v[24:27], v[0:1] offset:80
	v_cndmask_b32_e32 v85, 0, v85, vcc_lo
	v_cmp_eq_u32_e64 s4, 1, v100
	v_cndmask_b32_e32 v86, 0, v86, vcc_lo
	v_cndmask_b32_e32 v84, 0, v84, vcc_lo
	s_wait_loadcnt_dscnt 0x614
	s_wait_alu 0xf1ff
	v_cndmask_b32_e64 v99, 0, v99, s4
	v_cndmask_b32_e64 v98, 0, v98, s4
	;; [unrolled: 1-line block ×4, first 2 shown]
	s_clause 0x1
	flat_store_b128 v[0:1], v[84:87] offset:224
	flat_store_b128 v[0:1], v[96:99] offset:240
	s_clause 0x9
	flat_load_b128 v[28:31], v[0:1] offset:96
	flat_load_b128 v[32:35], v[0:1] offset:112
	;; [unrolled: 1-line block ×10, first 2 shown]
	s_wait_loadcnt_dscnt 0xf11
	flat_store_b128 v[0:1], v[4:7] offset:416
	s_wait_loadcnt_dscnt 0xe11
	flat_store_b128 v[0:1], v[8:11] offset:432
	;; [unrolled: 2-line block ×6, first 2 shown]
	flat_load_b32 v8, v[0:1] offset:712
	s_wait_loadcnt_dscnt 0xa10
	flat_store_b128 v[0:1], v[28:31] offset:512
	s_wait_loadcnt_dscnt 0x910
	flat_store_b128 v[0:1], v[32:35] offset:528
	;; [unrolled: 2-line block ×10, first 2 shown]
	flat_load_b64 v[10:11], v[2:3]
	flat_load_b128 v[4:7], v[0:1] offset:416
	s_wait_loadcnt_dscnt 0x20c
	v_ashrrev_i32_e32 v9, 31, v8
	s_delay_alu instid0(VALU_DEP_1) | instskip(SKIP_1) | instid1(VALU_DEP_1)
	v_lshlrev_b64_e32 v[8:9], 1, v[8:9]
	s_wait_loadcnt_dscnt 0x101
	v_add_co_u32 v8, vcc_lo, v10, v8
	s_wait_alu 0xfffd
	s_delay_alu instid0(VALU_DEP_2)
	v_add_co_ci_u32_e64 v9, null, v11, v9, vcc_lo
	s_wait_loadcnt_dscnt 0x0
	flat_store_b128 v[8:9], v[4:7]
	s_clause 0x4
	flat_load_b32 v8, v[0:1] offset:760
	flat_load_b32 v9, v[0:1] offset:748
	flat_load_b32 v13, v[0:1] offset:728
	flat_load_b128 v[4:7], v[0:1] offset:732
	flat_load_b96 v[10:12], v[0:1] offset:712
	s_wait_loadcnt_dscnt 0x101
	v_add_nc_u32_e32 v5, 1, v8
	v_sub_nc_u32_e32 v16, v4, v7
	s_delay_alu instid0(VALU_DEP_2) | instskip(NEXT) | instid1(VALU_DEP_1)
	v_sub_nc_u32_e32 v6, v5, v9
	v_add_nc_u32_e32 v15, v13, v6
	s_delay_alu instid0(VALU_DEP_1) | instskip(SKIP_1) | instid1(VALU_DEP_2)
	v_ashrrev_i32_e32 v6, 31, v15
	v_mov_b32_e32 v14, v15
	v_lshrrev_b32_e32 v6, 27, v6
	s_delay_alu instid0(VALU_DEP_1) | instskip(NEXT) | instid1(VALU_DEP_1)
	v_add_nc_u32_e32 v6, v15, v6
	v_and_b32_e32 v6, 0xffffffe0, v6
	s_delay_alu instid0(VALU_DEP_1) | instskip(SKIP_4) | instid1(VALU_DEP_2)
	v_sub_nc_u32_e32 v4, v15, v6
	flat_load_b128 v[6:9], v[0:1] offset:432
	v_xor_b32_e32 v13, v16, v4
	s_wait_loadcnt_dscnt 0x101
	v_sub_nc_u32_e32 v4, v15, v12
	v_sub_nc_u32_e32 v11, v13, v11
	s_delay_alu instid0(VALU_DEP_2) | instskip(NEXT) | instid1(VALU_DEP_2)
	v_lshlrev_b32_e32 v12, 8, v4
	v_dual_mov_b32 v4, 0 :: v_dual_lshlrev_b32 v11, 3, v11
	s_delay_alu instid0(VALU_DEP_1)
	v_add3_u32 v12, v12, v11, v10
	s_clause 0x3
	flat_store_b32 v[0:1], v5 offset:760
	flat_store_b64 v[0:1], v[4:5] offset:744
	flat_store_b64 v[0:1], v[15:16] offset:728
	flat_store_b96 v[0:1], v[12:14] offset:712
	flat_load_b64 v[10:11], v[2:3]
	v_ashrrev_i32_e32 v13, 31, v12
	s_delay_alu instid0(VALU_DEP_1) | instskip(SKIP_1) | instid1(VALU_DEP_1)
	v_lshlrev_b64_e32 v[12:13], 1, v[12:13]
	s_wait_loadcnt_dscnt 0x0
	v_add_co_u32 v10, vcc_lo, v10, v12
	s_wait_alu 0xfffd
	s_delay_alu instid0(VALU_DEP_2)
	v_add_co_ci_u32_e64 v11, null, v11, v13, vcc_lo
	flat_store_b128 v[10:11], v[6:9]
	s_clause 0x4
	flat_load_b32 v5, v[0:1] offset:760
	flat_load_b32 v13, v[0:1] offset:748
	;; [unrolled: 1-line block ×3, first 2 shown]
	flat_load_b128 v[6:9], v[0:1] offset:732
	flat_load_b96 v[10:12], v[0:1] offset:712
	s_wait_loadcnt_dscnt 0x404
	v_add_nc_u32_e32 v5, 1, v5
	s_wait_loadcnt_dscnt 0x101
	v_sub_nc_u32_e32 v16, v6, v9
	s_delay_alu instid0(VALU_DEP_2) | instskip(NEXT) | instid1(VALU_DEP_1)
	v_sub_nc_u32_e32 v7, v5, v13
	v_add_nc_u32_e32 v15, v14, v7
	s_delay_alu instid0(VALU_DEP_1) | instskip(SKIP_3) | instid1(VALU_DEP_3)
	v_ashrrev_i32_e32 v7, 31, v15
	v_mov_b32_e32 v14, v15
	s_wait_loadcnt_dscnt 0x0
	v_sub_nc_u32_e32 v12, v15, v12
	v_lshrrev_b32_e32 v7, 27, v7
	s_delay_alu instid0(VALU_DEP_2) | instskip(NEXT) | instid1(VALU_DEP_2)
	v_lshlrev_b32_e32 v12, 8, v12
	v_add_nc_u32_e32 v7, v15, v7
	s_delay_alu instid0(VALU_DEP_1) | instskip(NEXT) | instid1(VALU_DEP_1)
	v_and_b32_e32 v7, 0xffffffe0, v7
	v_sub_nc_u32_e32 v6, v15, v7
	s_delay_alu instid0(VALU_DEP_1) | instskip(SKIP_2) | instid1(VALU_DEP_1)
	v_xor_b32_e32 v13, v16, v6
	flat_load_b128 v[6:9], v[0:1] offset:448
	v_sub_nc_u32_e32 v11, v13, v11
	v_lshlrev_b32_e32 v11, 3, v11
	s_delay_alu instid0(VALU_DEP_1)
	v_add3_u32 v12, v12, v11, v10
	s_clause 0x3
	flat_store_b32 v[0:1], v5 offset:760
	flat_store_b64 v[0:1], v[4:5] offset:744
	flat_store_b64 v[0:1], v[15:16] offset:728
	flat_store_b96 v[0:1], v[12:14] offset:712
	flat_load_b64 v[10:11], v[2:3]
	v_ashrrev_i32_e32 v13, 31, v12
	s_delay_alu instid0(VALU_DEP_1) | instskip(SKIP_1) | instid1(VALU_DEP_1)
	v_lshlrev_b64_e32 v[12:13], 1, v[12:13]
	s_wait_loadcnt_dscnt 0x0
	v_add_co_u32 v10, vcc_lo, v10, v12
	s_wait_alu 0xfffd
	s_delay_alu instid0(VALU_DEP_2)
	v_add_co_ci_u32_e64 v11, null, v11, v13, vcc_lo
	flat_store_b128 v[10:11], v[6:9]
	s_clause 0x4
	flat_load_b32 v5, v[0:1] offset:760
	flat_load_b32 v13, v[0:1] offset:748
	flat_load_b32 v14, v[0:1] offset:728
	flat_load_b128 v[6:9], v[0:1] offset:732
	flat_load_b96 v[10:12], v[0:1] offset:712
	s_wait_loadcnt_dscnt 0x404
	v_add_nc_u32_e32 v5, 1, v5
	s_wait_loadcnt_dscnt 0x101
	v_sub_nc_u32_e32 v16, v6, v9
	s_delay_alu instid0(VALU_DEP_2) | instskip(NEXT) | instid1(VALU_DEP_1)
	v_sub_nc_u32_e32 v7, v5, v13
	v_add_nc_u32_e32 v15, v14, v7
	s_delay_alu instid0(VALU_DEP_1) | instskip(SKIP_3) | instid1(VALU_DEP_3)
	v_ashrrev_i32_e32 v7, 31, v15
	s_wait_loadcnt_dscnt 0x0
	v_sub_nc_u32_e32 v12, v15, v12
	v_mov_b32_e32 v14, v15
	v_lshrrev_b32_e32 v7, 27, v7
	s_delay_alu instid0(VALU_DEP_3) | instskip(NEXT) | instid1(VALU_DEP_2)
	v_lshlrev_b32_e32 v12, 8, v12
	v_add_nc_u32_e32 v7, v15, v7
	s_delay_alu instid0(VALU_DEP_1) | instskip(NEXT) | instid1(VALU_DEP_1)
	v_and_b32_e32 v7, 0xffffffe0, v7
	v_sub_nc_u32_e32 v6, v15, v7
	s_delay_alu instid0(VALU_DEP_1) | instskip(SKIP_2) | instid1(VALU_DEP_1)
	v_xor_b32_e32 v13, v16, v6
	flat_load_b128 v[6:9], v[0:1] offset:464
	v_sub_nc_u32_e32 v11, v13, v11
	v_lshlrev_b32_e32 v11, 3, v11
	s_delay_alu instid0(VALU_DEP_1)
	v_add3_u32 v12, v12, v11, v10
	s_clause 0x3
	flat_store_b32 v[0:1], v5 offset:760
	flat_store_b64 v[0:1], v[4:5] offset:744
	flat_store_b64 v[0:1], v[15:16] offset:728
	flat_store_b96 v[0:1], v[12:14] offset:712
	flat_load_b64 v[10:11], v[2:3]
	v_ashrrev_i32_e32 v13, 31, v12
	s_delay_alu instid0(VALU_DEP_1) | instskip(SKIP_1) | instid1(VALU_DEP_1)
	v_lshlrev_b64_e32 v[12:13], 1, v[12:13]
	s_wait_loadcnt_dscnt 0x0
	v_add_co_u32 v10, vcc_lo, v10, v12
	s_wait_alu 0xfffd
	s_delay_alu instid0(VALU_DEP_2)
	v_add_co_ci_u32_e64 v11, null, v11, v13, vcc_lo
	flat_store_b128 v[10:11], v[6:9]
	s_clause 0x4
	flat_load_b32 v5, v[0:1] offset:760
	flat_load_b32 v13, v[0:1] offset:748
	flat_load_b32 v14, v[0:1] offset:728
	flat_load_b128 v[6:9], v[0:1] offset:732
	flat_load_b96 v[10:12], v[0:1] offset:712
	s_wait_loadcnt_dscnt 0x404
	v_add_nc_u32_e32 v5, 1, v5
	s_wait_loadcnt_dscnt 0x101
	v_sub_nc_u32_e32 v16, v6, v9
	s_delay_alu instid0(VALU_DEP_2) | instskip(NEXT) | instid1(VALU_DEP_1)
	v_sub_nc_u32_e32 v7, v5, v13
	v_add_nc_u32_e32 v15, v14, v7
	s_delay_alu instid0(VALU_DEP_1) | instskip(SKIP_3) | instid1(VALU_DEP_3)
	v_ashrrev_i32_e32 v7, 31, v15
	s_wait_loadcnt_dscnt 0x0
	v_sub_nc_u32_e32 v12, v15, v12
	v_mov_b32_e32 v14, v15
	v_lshrrev_b32_e32 v7, 27, v7
	s_delay_alu instid0(VALU_DEP_3) | instskip(NEXT) | instid1(VALU_DEP_2)
	;; [unrolled: 47-line block ×13, first 2 shown]
	v_lshlrev_b32_e32 v12, 8, v12
	v_add_nc_u32_e32 v7, v15, v7
	s_delay_alu instid0(VALU_DEP_1) | instskip(NEXT) | instid1(VALU_DEP_1)
	v_and_b32_e32 v7, 0xffffffe0, v7
	v_sub_nc_u32_e32 v6, v15, v7
	s_delay_alu instid0(VALU_DEP_1) | instskip(SKIP_2) | instid1(VALU_DEP_1)
	v_xor_b32_e32 v13, v16, v6
	flat_load_b128 v[6:9], v[0:1] offset:656
	v_sub_nc_u32_e32 v11, v13, v11
	v_lshlrev_b32_e32 v11, 3, v11
	s_delay_alu instid0(VALU_DEP_1)
	v_add3_u32 v12, v12, v11, v10
	s_clause 0x3
	flat_store_b32 v[0:1], v5 offset:760
	flat_store_b64 v[0:1], v[4:5] offset:744
	flat_store_b64 v[0:1], v[15:16] offset:728
	flat_store_b96 v[0:1], v[12:14] offset:712
	flat_load_b64 v[2:3], v[2:3]
	v_ashrrev_i32_e32 v13, 31, v12
	s_delay_alu instid0(VALU_DEP_1) | instskip(SKIP_1) | instid1(VALU_DEP_1)
	v_lshlrev_b64_e32 v[10:11], 1, v[12:13]
	s_wait_loadcnt_dscnt 0x0
	v_add_co_u32 v2, vcc_lo, v2, v10
	s_wait_alu 0xfffd
	s_delay_alu instid0(VALU_DEP_2)
	v_add_co_ci_u32_e64 v3, null, v3, v11, vcc_lo
	flat_store_b128 v[2:3], v[6:9]
	s_clause 0x3
	flat_load_b32 v5, v[0:1] offset:760
	flat_load_b64 v[2:3], v[0:1] offset:744
	flat_load_b64 v[9:10], v[0:1] offset:728
	flat_load_b96 v[6:8], v[0:1] offset:712
	s_wait_loadcnt_dscnt 0x303
	v_add_nc_u32_e32 v5, -15, v5
	s_wait_loadcnt_dscnt 0x101
	v_sub_nc_u32_e32 v12, v10, v2
	s_delay_alu instid0(VALU_DEP_2) | instskip(NEXT) | instid1(VALU_DEP_1)
	v_sub_nc_u32_e32 v3, v5, v3
	v_add_nc_u32_e32 v11, v9, v3
	s_delay_alu instid0(VALU_DEP_1) | instskip(SKIP_1) | instid1(VALU_DEP_2)
	v_ashrrev_i32_e32 v3, 31, v11
	v_mov_b32_e32 v10, v11
	v_lshrrev_b32_e32 v3, 27, v3
	s_delay_alu instid0(VALU_DEP_1) | instskip(NEXT) | instid1(VALU_DEP_1)
	v_add_nc_u32_e32 v3, v11, v3
	v_and_b32_e32 v3, 0xffffffe0, v3
	s_delay_alu instid0(VALU_DEP_1) | instskip(NEXT) | instid1(VALU_DEP_1)
	v_sub_nc_u32_e32 v2, v11, v3
	v_xor_b32_e32 v9, v12, v2
	s_wait_loadcnt_dscnt 0x0
	v_sub_nc_u32_e32 v2, v11, v8
	s_delay_alu instid0(VALU_DEP_2) | instskip(NEXT) | instid1(VALU_DEP_2)
	v_sub_nc_u32_e32 v3, v9, v7
	v_lshlrev_b32_e32 v2, 8, v2
	s_delay_alu instid0(VALU_DEP_2) | instskip(NEXT) | instid1(VALU_DEP_1)
	v_lshlrev_b32_e32 v3, 3, v3
	v_add3_u32 v8, v2, v3, v6
	s_clause 0x3
	flat_store_b32 v[0:1], v5 offset:760
	flat_store_b64 v[0:1], v[4:5] offset:744
	flat_store_b64 v[0:1], v[11:12] offset:728
	flat_store_b96 v[0:1], v[8:10] offset:712
	s_wait_dscnt 0x0
	s_setpc_b64 s[30:31]
.Lfunc_end5:
	.size	_ZN2ck35ThreadGroupTensorSliceTransfer_v4r1INS_15ThisThreadBlockILi64EEENS_16tensor_operation12element_wise11PassThroughES5_LNS_25InMemoryDataOperationEnumE0ENS_8SequenceIJLi32ELi32ELi8EEEENS7_IJLi32ELi2ELi1EEEENS7_IJLi1ELi0ELi2EEEEDF16_DF16_RKNS_16TensorDescriptorINS_5TupleIJNS_5EmbedINSC_IJiiEEENSC_IJiNS_17integral_constantIiLi1EEEEEELb0EEENS_7UnMergeISE_Lb0EEENS_11PassThroughIiEEEEENSC_IJNS7_IJLi0EEEENS7_IJLi2EEEENS7_IJLi1EEEEEEENSC_IJNS7_IJLi1ELi2EEEENS7_IJLi3ELi4EEEENS7_IJLi5EEEEEEENS7_IJLi3ELi5ELi4EEEElEEKNSB_INSC_IJNSD_INSC_IJNSF_IiLi32EEES10_NSF_IiLi8EEEEEENSC_IJS11_NSF_IiLi256EEESG_EEELb0EEENS_3XorINSC_IJS10_S10_EEELb1EEENSL_IS11_EENSJ_INSC_IJS10_SG_EEELb0EEENSL_IS10_EES19_S1C_NS_21Merge_v3_division_modIS1A_EES19_EEENSC_IJSO_NS7_IJLi2ELi1EEEENS7_IJLi3EEEESU_NS7_IJLi4EEEENS7_IJLi6EEEENS7_IJLi7EEEENS7_IJLi9ELi8EEEENS7_IJLi10EEEEEEENSC_IJNS7_IJLi1ELi2ELi3EEEENS7_IJLi4ELi5EEEES1J_NS7_IJLi7ELi8EEEENS7_IJLi9EEEES1M_NS7_IJLi11EEEENS7_IJLi12EEEENS7_IJLi13EEEEEEENS7_IJLi11ELi12ELi13EEEENSF_IlLl8192EEEEESA_NS7_IJLi0ELi1ELi2EEEELi2ELi2ELi8ELi8ELi1ELi1ELb0ELb1ELi1EiE8RunWriteINS_13DynamicBufferILNS_16AddressSpaceEnumE2EDF16_S1X_Lb1ELNS_22AmdBufferCoherenceEnumE0EiEELi0EEEvRS1Z_RT_NSF_IiXT0_EEE, .Lfunc_end5-_ZN2ck35ThreadGroupTensorSliceTransfer_v4r1INS_15ThisThreadBlockILi64EEENS_16tensor_operation12element_wise11PassThroughES5_LNS_25InMemoryDataOperationEnumE0ENS_8SequenceIJLi32ELi32ELi8EEEENS7_IJLi32ELi2ELi1EEEENS7_IJLi1ELi0ELi2EEEEDF16_DF16_RKNS_16TensorDescriptorINS_5TupleIJNS_5EmbedINSC_IJiiEEENSC_IJiNS_17integral_constantIiLi1EEEEEELb0EEENS_7UnMergeISE_Lb0EEENS_11PassThroughIiEEEEENSC_IJNS7_IJLi0EEEENS7_IJLi2EEEENS7_IJLi1EEEEEEENSC_IJNS7_IJLi1ELi2EEEENS7_IJLi3ELi4EEEENS7_IJLi5EEEEEEENS7_IJLi3ELi5ELi4EEEElEEKNSB_INSC_IJNSD_INSC_IJNSF_IiLi32EEES10_NSF_IiLi8EEEEEENSC_IJS11_NSF_IiLi256EEESG_EEELb0EEENS_3XorINSC_IJS10_S10_EEELb1EEENSL_IS11_EENSJ_INSC_IJS10_SG_EEELb0EEENSL_IS10_EES19_S1C_NS_21Merge_v3_division_modIS1A_EES19_EEENSC_IJSO_NS7_IJLi2ELi1EEEENS7_IJLi3EEEESU_NS7_IJLi4EEEENS7_IJLi6EEEENS7_IJLi7EEEENS7_IJLi9ELi8EEEENS7_IJLi10EEEEEEENSC_IJNS7_IJLi1ELi2ELi3EEEENS7_IJLi4ELi5EEEES1J_NS7_IJLi7ELi8EEEENS7_IJLi9EEEES1M_NS7_IJLi11EEEENS7_IJLi12EEEENS7_IJLi13EEEEEEENS7_IJLi11ELi12ELi13EEEENSF_IlLl8192EEEEESA_NS7_IJLi0ELi1ELi2EEEELi2ELi2ELi8ELi8ELi1ELi1ELb0ELb1ELi1EiE8RunWriteINS_13DynamicBufferILNS_16AddressSpaceEnumE2EDF16_S1X_Lb1ELNS_22AmdBufferCoherenceEnumE0EiEELi0EEEvRS1Z_RT_NSF_IiXT0_EEE
                                        ; -- End function
	.set .L_ZN2ck35ThreadGroupTensorSliceTransfer_v4r1INS_15ThisThreadBlockILi64EEENS_16tensor_operation12element_wise11PassThroughES5_LNS_25InMemoryDataOperationEnumE0ENS_8SequenceIJLi32ELi32ELi8EEEENS7_IJLi32ELi2ELi1EEEENS7_IJLi1ELi0ELi2EEEEDF16_DF16_RKNS_16TensorDescriptorINS_5TupleIJNS_5EmbedINSC_IJiiEEENSC_IJiNS_17integral_constantIiLi1EEEEEELb0EEENS_7UnMergeISE_Lb0EEENS_11PassThroughIiEEEEENSC_IJNS7_IJLi0EEEENS7_IJLi2EEEENS7_IJLi1EEEEEEENSC_IJNS7_IJLi1ELi2EEEENS7_IJLi3ELi4EEEENS7_IJLi5EEEEEEENS7_IJLi3ELi5ELi4EEEElEEKNSB_INSC_IJNSD_INSC_IJNSF_IiLi32EEES10_NSF_IiLi8EEEEEENSC_IJS11_NSF_IiLi256EEESG_EEELb0EEENS_3XorINSC_IJS10_S10_EEELb1EEENSL_IS11_EENSJ_INSC_IJS10_SG_EEELb0EEENSL_IS10_EES19_S1C_NS_21Merge_v3_division_modIS1A_EES19_EEENSC_IJSO_NS7_IJLi2ELi1EEEENS7_IJLi3EEEESU_NS7_IJLi4EEEENS7_IJLi6EEEENS7_IJLi7EEEENS7_IJLi9ELi8EEEENS7_IJLi10EEEEEEENSC_IJNS7_IJLi1ELi2ELi3EEEENS7_IJLi4ELi5EEEES1J_NS7_IJLi7ELi8EEEENS7_IJLi9EEEES1M_NS7_IJLi11EEEENS7_IJLi12EEEENS7_IJLi13EEEEEEENS7_IJLi11ELi12ELi13EEEENSF_IlLl8192EEEEESA_NS7_IJLi0ELi1ELi2EEEELi2ELi2ELi8ELi8ELi1ELi1ELb0ELb1ELi1EiE8RunWriteINS_13DynamicBufferILNS_16AddressSpaceEnumE2EDF16_S1X_Lb1ELNS_22AmdBufferCoherenceEnumE0EiEELi0EEEvRS1Z_RT_NSF_IiXT0_EEE.num_vgpr, 132
	.set .L_ZN2ck35ThreadGroupTensorSliceTransfer_v4r1INS_15ThisThreadBlockILi64EEENS_16tensor_operation12element_wise11PassThroughES5_LNS_25InMemoryDataOperationEnumE0ENS_8SequenceIJLi32ELi32ELi8EEEENS7_IJLi32ELi2ELi1EEEENS7_IJLi1ELi0ELi2EEEEDF16_DF16_RKNS_16TensorDescriptorINS_5TupleIJNS_5EmbedINSC_IJiiEEENSC_IJiNS_17integral_constantIiLi1EEEEEELb0EEENS_7UnMergeISE_Lb0EEENS_11PassThroughIiEEEEENSC_IJNS7_IJLi0EEEENS7_IJLi2EEEENS7_IJLi1EEEEEEENSC_IJNS7_IJLi1ELi2EEEENS7_IJLi3ELi4EEEENS7_IJLi5EEEEEEENS7_IJLi3ELi5ELi4EEEElEEKNSB_INSC_IJNSD_INSC_IJNSF_IiLi32EEES10_NSF_IiLi8EEEEEENSC_IJS11_NSF_IiLi256EEESG_EEELb0EEENS_3XorINSC_IJS10_S10_EEELb1EEENSL_IS11_EENSJ_INSC_IJS10_SG_EEELb0EEENSL_IS10_EES19_S1C_NS_21Merge_v3_division_modIS1A_EES19_EEENSC_IJSO_NS7_IJLi2ELi1EEEENS7_IJLi3EEEESU_NS7_IJLi4EEEENS7_IJLi6EEEENS7_IJLi7EEEENS7_IJLi9ELi8EEEENS7_IJLi10EEEEEEENSC_IJNS7_IJLi1ELi2ELi3EEEENS7_IJLi4ELi5EEEES1J_NS7_IJLi7ELi8EEEENS7_IJLi9EEEES1M_NS7_IJLi11EEEENS7_IJLi12EEEENS7_IJLi13EEEEEEENS7_IJLi11ELi12ELi13EEEENSF_IlLl8192EEEEESA_NS7_IJLi0ELi1ELi2EEEELi2ELi2ELi8ELi8ELi1ELi1ELb0ELb1ELi1EiE8RunWriteINS_13DynamicBufferILNS_16AddressSpaceEnumE2EDF16_S1X_Lb1ELNS_22AmdBufferCoherenceEnumE0EiEELi0EEEvRS1Z_RT_NSF_IiXT0_EEE.num_agpr, 0
	.set .L_ZN2ck35ThreadGroupTensorSliceTransfer_v4r1INS_15ThisThreadBlockILi64EEENS_16tensor_operation12element_wise11PassThroughES5_LNS_25InMemoryDataOperationEnumE0ENS_8SequenceIJLi32ELi32ELi8EEEENS7_IJLi32ELi2ELi1EEEENS7_IJLi1ELi0ELi2EEEEDF16_DF16_RKNS_16TensorDescriptorINS_5TupleIJNS_5EmbedINSC_IJiiEEENSC_IJiNS_17integral_constantIiLi1EEEEEELb0EEENS_7UnMergeISE_Lb0EEENS_11PassThroughIiEEEEENSC_IJNS7_IJLi0EEEENS7_IJLi2EEEENS7_IJLi1EEEEEEENSC_IJNS7_IJLi1ELi2EEEENS7_IJLi3ELi4EEEENS7_IJLi5EEEEEEENS7_IJLi3ELi5ELi4EEEElEEKNSB_INSC_IJNSD_INSC_IJNSF_IiLi32EEES10_NSF_IiLi8EEEEEENSC_IJS11_NSF_IiLi256EEESG_EEELb0EEENS_3XorINSC_IJS10_S10_EEELb1EEENSL_IS11_EENSJ_INSC_IJS10_SG_EEELb0EEENSL_IS10_EES19_S1C_NS_21Merge_v3_division_modIS1A_EES19_EEENSC_IJSO_NS7_IJLi2ELi1EEEENS7_IJLi3EEEESU_NS7_IJLi4EEEENS7_IJLi6EEEENS7_IJLi7EEEENS7_IJLi9ELi8EEEENS7_IJLi10EEEEEEENSC_IJNS7_IJLi1ELi2ELi3EEEENS7_IJLi4ELi5EEEES1J_NS7_IJLi7ELi8EEEENS7_IJLi9EEEES1M_NS7_IJLi11EEEENS7_IJLi12EEEENS7_IJLi13EEEEEEENS7_IJLi11ELi12ELi13EEEENSF_IlLl8192EEEEESA_NS7_IJLi0ELi1ELi2EEEELi2ELi2ELi8ELi8ELi1ELi1ELb0ELb1ELi1EiE8RunWriteINS_13DynamicBufferILNS_16AddressSpaceEnumE2EDF16_S1X_Lb1ELNS_22AmdBufferCoherenceEnumE0EiEELi0EEEvRS1Z_RT_NSF_IiXT0_EEE.numbered_sgpr, 32
	.set .L_ZN2ck35ThreadGroupTensorSliceTransfer_v4r1INS_15ThisThreadBlockILi64EEENS_16tensor_operation12element_wise11PassThroughES5_LNS_25InMemoryDataOperationEnumE0ENS_8SequenceIJLi32ELi32ELi8EEEENS7_IJLi32ELi2ELi1EEEENS7_IJLi1ELi0ELi2EEEEDF16_DF16_RKNS_16TensorDescriptorINS_5TupleIJNS_5EmbedINSC_IJiiEEENSC_IJiNS_17integral_constantIiLi1EEEEEELb0EEENS_7UnMergeISE_Lb0EEENS_11PassThroughIiEEEEENSC_IJNS7_IJLi0EEEENS7_IJLi2EEEENS7_IJLi1EEEEEEENSC_IJNS7_IJLi1ELi2EEEENS7_IJLi3ELi4EEEENS7_IJLi5EEEEEEENS7_IJLi3ELi5ELi4EEEElEEKNSB_INSC_IJNSD_INSC_IJNSF_IiLi32EEES10_NSF_IiLi8EEEEEENSC_IJS11_NSF_IiLi256EEESG_EEELb0EEENS_3XorINSC_IJS10_S10_EEELb1EEENSL_IS11_EENSJ_INSC_IJS10_SG_EEELb0EEENSL_IS10_EES19_S1C_NS_21Merge_v3_division_modIS1A_EES19_EEENSC_IJSO_NS7_IJLi2ELi1EEEENS7_IJLi3EEEESU_NS7_IJLi4EEEENS7_IJLi6EEEENS7_IJLi7EEEENS7_IJLi9ELi8EEEENS7_IJLi10EEEEEEENSC_IJNS7_IJLi1ELi2ELi3EEEENS7_IJLi4ELi5EEEES1J_NS7_IJLi7ELi8EEEENS7_IJLi9EEEES1M_NS7_IJLi11EEEENS7_IJLi12EEEENS7_IJLi13EEEEEEENS7_IJLi11ELi12ELi13EEEENSF_IlLl8192EEEEESA_NS7_IJLi0ELi1ELi2EEEELi2ELi2ELi8ELi8ELi1ELi1ELb0ELb1ELi1EiE8RunWriteINS_13DynamicBufferILNS_16AddressSpaceEnumE2EDF16_S1X_Lb1ELNS_22AmdBufferCoherenceEnumE0EiEELi0EEEvRS1Z_RT_NSF_IiXT0_EEE.num_named_barrier, 0
	.set .L_ZN2ck35ThreadGroupTensorSliceTransfer_v4r1INS_15ThisThreadBlockILi64EEENS_16tensor_operation12element_wise11PassThroughES5_LNS_25InMemoryDataOperationEnumE0ENS_8SequenceIJLi32ELi32ELi8EEEENS7_IJLi32ELi2ELi1EEEENS7_IJLi1ELi0ELi2EEEEDF16_DF16_RKNS_16TensorDescriptorINS_5TupleIJNS_5EmbedINSC_IJiiEEENSC_IJiNS_17integral_constantIiLi1EEEEEELb0EEENS_7UnMergeISE_Lb0EEENS_11PassThroughIiEEEEENSC_IJNS7_IJLi0EEEENS7_IJLi2EEEENS7_IJLi1EEEEEEENSC_IJNS7_IJLi1ELi2EEEENS7_IJLi3ELi4EEEENS7_IJLi5EEEEEEENS7_IJLi3ELi5ELi4EEEElEEKNSB_INSC_IJNSD_INSC_IJNSF_IiLi32EEES10_NSF_IiLi8EEEEEENSC_IJS11_NSF_IiLi256EEESG_EEELb0EEENS_3XorINSC_IJS10_S10_EEELb1EEENSL_IS11_EENSJ_INSC_IJS10_SG_EEELb0EEENSL_IS10_EES19_S1C_NS_21Merge_v3_division_modIS1A_EES19_EEENSC_IJSO_NS7_IJLi2ELi1EEEENS7_IJLi3EEEESU_NS7_IJLi4EEEENS7_IJLi6EEEENS7_IJLi7EEEENS7_IJLi9ELi8EEEENS7_IJLi10EEEEEEENSC_IJNS7_IJLi1ELi2ELi3EEEENS7_IJLi4ELi5EEEES1J_NS7_IJLi7ELi8EEEENS7_IJLi9EEEES1M_NS7_IJLi11EEEENS7_IJLi12EEEENS7_IJLi13EEEEEEENS7_IJLi11ELi12ELi13EEEENSF_IlLl8192EEEEESA_NS7_IJLi0ELi1ELi2EEEELi2ELi2ELi8ELi8ELi1ELi1ELb0ELb1ELi1EiE8RunWriteINS_13DynamicBufferILNS_16AddressSpaceEnumE2EDF16_S1X_Lb1ELNS_22AmdBufferCoherenceEnumE0EiEELi0EEEvRS1Z_RT_NSF_IiXT0_EEE.private_seg_size, 0
	.set .L_ZN2ck35ThreadGroupTensorSliceTransfer_v4r1INS_15ThisThreadBlockILi64EEENS_16tensor_operation12element_wise11PassThroughES5_LNS_25InMemoryDataOperationEnumE0ENS_8SequenceIJLi32ELi32ELi8EEEENS7_IJLi32ELi2ELi1EEEENS7_IJLi1ELi0ELi2EEEEDF16_DF16_RKNS_16TensorDescriptorINS_5TupleIJNS_5EmbedINSC_IJiiEEENSC_IJiNS_17integral_constantIiLi1EEEEEELb0EEENS_7UnMergeISE_Lb0EEENS_11PassThroughIiEEEEENSC_IJNS7_IJLi0EEEENS7_IJLi2EEEENS7_IJLi1EEEEEEENSC_IJNS7_IJLi1ELi2EEEENS7_IJLi3ELi4EEEENS7_IJLi5EEEEEEENS7_IJLi3ELi5ELi4EEEElEEKNSB_INSC_IJNSD_INSC_IJNSF_IiLi32EEES10_NSF_IiLi8EEEEEENSC_IJS11_NSF_IiLi256EEESG_EEELb0EEENS_3XorINSC_IJS10_S10_EEELb1EEENSL_IS11_EENSJ_INSC_IJS10_SG_EEELb0EEENSL_IS10_EES19_S1C_NS_21Merge_v3_division_modIS1A_EES19_EEENSC_IJSO_NS7_IJLi2ELi1EEEENS7_IJLi3EEEESU_NS7_IJLi4EEEENS7_IJLi6EEEENS7_IJLi7EEEENS7_IJLi9ELi8EEEENS7_IJLi10EEEEEEENSC_IJNS7_IJLi1ELi2ELi3EEEENS7_IJLi4ELi5EEEES1J_NS7_IJLi7ELi8EEEENS7_IJLi9EEEES1M_NS7_IJLi11EEEENS7_IJLi12EEEENS7_IJLi13EEEEEEENS7_IJLi11ELi12ELi13EEEENSF_IlLl8192EEEEESA_NS7_IJLi0ELi1ELi2EEEELi2ELi2ELi8ELi8ELi1ELi1ELb0ELb1ELi1EiE8RunWriteINS_13DynamicBufferILNS_16AddressSpaceEnumE2EDF16_S1X_Lb1ELNS_22AmdBufferCoherenceEnumE0EiEELi0EEEvRS1Z_RT_NSF_IiXT0_EEE.uses_vcc, 1
	.set .L_ZN2ck35ThreadGroupTensorSliceTransfer_v4r1INS_15ThisThreadBlockILi64EEENS_16tensor_operation12element_wise11PassThroughES5_LNS_25InMemoryDataOperationEnumE0ENS_8SequenceIJLi32ELi32ELi8EEEENS7_IJLi32ELi2ELi1EEEENS7_IJLi1ELi0ELi2EEEEDF16_DF16_RKNS_16TensorDescriptorINS_5TupleIJNS_5EmbedINSC_IJiiEEENSC_IJiNS_17integral_constantIiLi1EEEEEELb0EEENS_7UnMergeISE_Lb0EEENS_11PassThroughIiEEEEENSC_IJNS7_IJLi0EEEENS7_IJLi2EEEENS7_IJLi1EEEEEEENSC_IJNS7_IJLi1ELi2EEEENS7_IJLi3ELi4EEEENS7_IJLi5EEEEEEENS7_IJLi3ELi5ELi4EEEElEEKNSB_INSC_IJNSD_INSC_IJNSF_IiLi32EEES10_NSF_IiLi8EEEEEENSC_IJS11_NSF_IiLi256EEESG_EEELb0EEENS_3XorINSC_IJS10_S10_EEELb1EEENSL_IS11_EENSJ_INSC_IJS10_SG_EEELb0EEENSL_IS10_EES19_S1C_NS_21Merge_v3_division_modIS1A_EES19_EEENSC_IJSO_NS7_IJLi2ELi1EEEENS7_IJLi3EEEESU_NS7_IJLi4EEEENS7_IJLi6EEEENS7_IJLi7EEEENS7_IJLi9ELi8EEEENS7_IJLi10EEEEEEENSC_IJNS7_IJLi1ELi2ELi3EEEENS7_IJLi4ELi5EEEES1J_NS7_IJLi7ELi8EEEENS7_IJLi9EEEES1M_NS7_IJLi11EEEENS7_IJLi12EEEENS7_IJLi13EEEEEEENS7_IJLi11ELi12ELi13EEEENSF_IlLl8192EEEEESA_NS7_IJLi0ELi1ELi2EEEELi2ELi2ELi8ELi8ELi1ELi1ELb0ELb1ELi1EiE8RunWriteINS_13DynamicBufferILNS_16AddressSpaceEnumE2EDF16_S1X_Lb1ELNS_22AmdBufferCoherenceEnumE0EiEELi0EEEvRS1Z_RT_NSF_IiXT0_EEE.uses_flat_scratch, 1
	.set .L_ZN2ck35ThreadGroupTensorSliceTransfer_v4r1INS_15ThisThreadBlockILi64EEENS_16tensor_operation12element_wise11PassThroughES5_LNS_25InMemoryDataOperationEnumE0ENS_8SequenceIJLi32ELi32ELi8EEEENS7_IJLi32ELi2ELi1EEEENS7_IJLi1ELi0ELi2EEEEDF16_DF16_RKNS_16TensorDescriptorINS_5TupleIJNS_5EmbedINSC_IJiiEEENSC_IJiNS_17integral_constantIiLi1EEEEEELb0EEENS_7UnMergeISE_Lb0EEENS_11PassThroughIiEEEEENSC_IJNS7_IJLi0EEEENS7_IJLi2EEEENS7_IJLi1EEEEEEENSC_IJNS7_IJLi1ELi2EEEENS7_IJLi3ELi4EEEENS7_IJLi5EEEEEEENS7_IJLi3ELi5ELi4EEEElEEKNSB_INSC_IJNSD_INSC_IJNSF_IiLi32EEES10_NSF_IiLi8EEEEEENSC_IJS11_NSF_IiLi256EEESG_EEELb0EEENS_3XorINSC_IJS10_S10_EEELb1EEENSL_IS11_EENSJ_INSC_IJS10_SG_EEELb0EEENSL_IS10_EES19_S1C_NS_21Merge_v3_division_modIS1A_EES19_EEENSC_IJSO_NS7_IJLi2ELi1EEEENS7_IJLi3EEEESU_NS7_IJLi4EEEENS7_IJLi6EEEENS7_IJLi7EEEENS7_IJLi9ELi8EEEENS7_IJLi10EEEEEEENSC_IJNS7_IJLi1ELi2ELi3EEEENS7_IJLi4ELi5EEEES1J_NS7_IJLi7ELi8EEEENS7_IJLi9EEEES1M_NS7_IJLi11EEEENS7_IJLi12EEEENS7_IJLi13EEEEEEENS7_IJLi11ELi12ELi13EEEENSF_IlLl8192EEEEESA_NS7_IJLi0ELi1ELi2EEEELi2ELi2ELi8ELi8ELi1ELi1ELb0ELb1ELi1EiE8RunWriteINS_13DynamicBufferILNS_16AddressSpaceEnumE2EDF16_S1X_Lb1ELNS_22AmdBufferCoherenceEnumE0EiEELi0EEEvRS1Z_RT_NSF_IiXT0_EEE.has_dyn_sized_stack, 0
	.set .L_ZN2ck35ThreadGroupTensorSliceTransfer_v4r1INS_15ThisThreadBlockILi64EEENS_16tensor_operation12element_wise11PassThroughES5_LNS_25InMemoryDataOperationEnumE0ENS_8SequenceIJLi32ELi32ELi8EEEENS7_IJLi32ELi2ELi1EEEENS7_IJLi1ELi0ELi2EEEEDF16_DF16_RKNS_16TensorDescriptorINS_5TupleIJNS_5EmbedINSC_IJiiEEENSC_IJiNS_17integral_constantIiLi1EEEEEELb0EEENS_7UnMergeISE_Lb0EEENS_11PassThroughIiEEEEENSC_IJNS7_IJLi0EEEENS7_IJLi2EEEENS7_IJLi1EEEEEEENSC_IJNS7_IJLi1ELi2EEEENS7_IJLi3ELi4EEEENS7_IJLi5EEEEEEENS7_IJLi3ELi5ELi4EEEElEEKNSB_INSC_IJNSD_INSC_IJNSF_IiLi32EEES10_NSF_IiLi8EEEEEENSC_IJS11_NSF_IiLi256EEESG_EEELb0EEENS_3XorINSC_IJS10_S10_EEELb1EEENSL_IS11_EENSJ_INSC_IJS10_SG_EEELb0EEENSL_IS10_EES19_S1C_NS_21Merge_v3_division_modIS1A_EES19_EEENSC_IJSO_NS7_IJLi2ELi1EEEENS7_IJLi3EEEESU_NS7_IJLi4EEEENS7_IJLi6EEEENS7_IJLi7EEEENS7_IJLi9ELi8EEEENS7_IJLi10EEEEEEENSC_IJNS7_IJLi1ELi2ELi3EEEENS7_IJLi4ELi5EEEES1J_NS7_IJLi7ELi8EEEENS7_IJLi9EEEES1M_NS7_IJLi11EEEENS7_IJLi12EEEENS7_IJLi13EEEEEEENS7_IJLi11ELi12ELi13EEEENSF_IlLl8192EEEEESA_NS7_IJLi0ELi1ELi2EEEELi2ELi2ELi8ELi8ELi1ELi1ELb0ELb1ELi1EiE8RunWriteINS_13DynamicBufferILNS_16AddressSpaceEnumE2EDF16_S1X_Lb1ELNS_22AmdBufferCoherenceEnumE0EiEELi0EEEvRS1Z_RT_NSF_IiXT0_EEE.has_recursion, 0
	.set .L_ZN2ck35ThreadGroupTensorSliceTransfer_v4r1INS_15ThisThreadBlockILi64EEENS_16tensor_operation12element_wise11PassThroughES5_LNS_25InMemoryDataOperationEnumE0ENS_8SequenceIJLi32ELi32ELi8EEEENS7_IJLi32ELi2ELi1EEEENS7_IJLi1ELi0ELi2EEEEDF16_DF16_RKNS_16TensorDescriptorINS_5TupleIJNS_5EmbedINSC_IJiiEEENSC_IJiNS_17integral_constantIiLi1EEEEEELb0EEENS_7UnMergeISE_Lb0EEENS_11PassThroughIiEEEEENSC_IJNS7_IJLi0EEEENS7_IJLi2EEEENS7_IJLi1EEEEEEENSC_IJNS7_IJLi1ELi2EEEENS7_IJLi3ELi4EEEENS7_IJLi5EEEEEEENS7_IJLi3ELi5ELi4EEEElEEKNSB_INSC_IJNSD_INSC_IJNSF_IiLi32EEES10_NSF_IiLi8EEEEEENSC_IJS11_NSF_IiLi256EEESG_EEELb0EEENS_3XorINSC_IJS10_S10_EEELb1EEENSL_IS11_EENSJ_INSC_IJS10_SG_EEELb0EEENSL_IS10_EES19_S1C_NS_21Merge_v3_division_modIS1A_EES19_EEENSC_IJSO_NS7_IJLi2ELi1EEEENS7_IJLi3EEEESU_NS7_IJLi4EEEENS7_IJLi6EEEENS7_IJLi7EEEENS7_IJLi9ELi8EEEENS7_IJLi10EEEEEEENSC_IJNS7_IJLi1ELi2ELi3EEEENS7_IJLi4ELi5EEEES1J_NS7_IJLi7ELi8EEEENS7_IJLi9EEEES1M_NS7_IJLi11EEEENS7_IJLi12EEEENS7_IJLi13EEEEEEENS7_IJLi11ELi12ELi13EEEENSF_IlLl8192EEEEESA_NS7_IJLi0ELi1ELi2EEEELi2ELi2ELi8ELi8ELi1ELi1ELb0ELb1ELi1EiE8RunWriteINS_13DynamicBufferILNS_16AddressSpaceEnumE2EDF16_S1X_Lb1ELNS_22AmdBufferCoherenceEnumE0EiEELi0EEEvRS1Z_RT_NSF_IiXT0_EEE.has_indirect_call, 0
	.section	.AMDGPU.csdata,"",@progbits
; Function info:
; codeLenInByte = 6592
; TotalNumSgprs: 34
; NumVgprs: 132
; ScratchSize: 0
; MemoryBound: 0
	.text
	.p2align	2                               ; -- Begin function _ZNK2ck32ThreadwiseTensorSliceTransfer_v4INS_9f8_fnuz_tEDF16_KNS_16TensorDescriptorINS_5TupleIJNS_5EmbedINS3_IJNS_17integral_constantIiLi16EEENS5_IiLi32EEES6_EEENS3_IJS6_NS5_IiLi256EEENS5_IiLi1EEEEEELb0EEENS_3XorINS3_IJS7_S6_EEELb1EEENS_11PassThroughIS6_EENS_7UnMergeINS3_IJS6_SA_EEELb0EEENSG_IS7_EESH_SH_NS_21Merge_v3_division_modINS3_IJS7_SA_EEEEESH_NSM_INS3_IJS6_S6_EEEEENSI_INS3_IJSA_NS5_IiLi2EEES6_EEELb0EEEEEENS3_IJNS_8SequenceIJLi0EEEENSV_IJLi2ELi1EEEENSV_IJLi3EEEENSV_IJLi5EEEENSV_IJLi4EEEENSV_IJLi6EEEENSV_IJLi7EEEENSV_IJLi9ELi8EEEENSV_IJLi10EEEENSV_IJLi11ELi13EEEENSV_IJLi12EEEEEEENS3_IJNSV_IJLi1ELi2ELi3EEEENSV_IJLi4ELi5EEEES11_NSV_IJLi7ELi8EEEENSV_IJLi9EEEES14_NSV_IJLi11EEEES16_NSV_IJLi13EEEENSV_IJLi14EEEENSV_IJLi15ELi16ELi17EEEEEEENSV_IJLi15ELi16ELi17ELi14EEEENS5_IlLl8192EEEEEKNS2_INS3_IJNS4_INS3_IJSA_SA_SA_NS5_IiLi128EEEEEENS3_IJS1L_S1L_S1L_SA_EEELb0EEEEEENS3_IJSW_EEENS3_IJNSV_IJLi1ELi2ELi3ELi4EEEEEEES1R_NS5_IlLl128EEEEENSV_IJLi1ELi1ELi1ELi128EEEENSV_IJLi0ELi1ELi2ELi3EEEELi3ELi16ELi16ELb0EE3RunINS3_IJNS5_IiLi0EEES20_S20_S20_EEES21_NS_13DynamicBufferILNS_16AddressSpaceEnumE2ES1_S1I_Lb1ELNS_22AmdBufferCoherenceEnumE0EiEENS_12StaticBufferILS23_4EDF16_Li128ELb1EEEEEvRS1K_RKT_RKT1_RS1V_RKT0_RT2_
	.type	_ZNK2ck32ThreadwiseTensorSliceTransfer_v4INS_9f8_fnuz_tEDF16_KNS_16TensorDescriptorINS_5TupleIJNS_5EmbedINS3_IJNS_17integral_constantIiLi16EEENS5_IiLi32EEES6_EEENS3_IJS6_NS5_IiLi256EEENS5_IiLi1EEEEEELb0EEENS_3XorINS3_IJS7_S6_EEELb1EEENS_11PassThroughIS6_EENS_7UnMergeINS3_IJS6_SA_EEELb0EEENSG_IS7_EESH_SH_NS_21Merge_v3_division_modINS3_IJS7_SA_EEEEESH_NSM_INS3_IJS6_S6_EEEEENSI_INS3_IJSA_NS5_IiLi2EEES6_EEELb0EEEEEENS3_IJNS_8SequenceIJLi0EEEENSV_IJLi2ELi1EEEENSV_IJLi3EEEENSV_IJLi5EEEENSV_IJLi4EEEENSV_IJLi6EEEENSV_IJLi7EEEENSV_IJLi9ELi8EEEENSV_IJLi10EEEENSV_IJLi11ELi13EEEENSV_IJLi12EEEEEEENS3_IJNSV_IJLi1ELi2ELi3EEEENSV_IJLi4ELi5EEEES11_NSV_IJLi7ELi8EEEENSV_IJLi9EEEES14_NSV_IJLi11EEEES16_NSV_IJLi13EEEENSV_IJLi14EEEENSV_IJLi15ELi16ELi17EEEEEEENSV_IJLi15ELi16ELi17ELi14EEEENS5_IlLl8192EEEEEKNS2_INS3_IJNS4_INS3_IJSA_SA_SA_NS5_IiLi128EEEEEENS3_IJS1L_S1L_S1L_SA_EEELb0EEEEEENS3_IJSW_EEENS3_IJNSV_IJLi1ELi2ELi3ELi4EEEEEEES1R_NS5_IlLl128EEEEENSV_IJLi1ELi1ELi1ELi128EEEENSV_IJLi0ELi1ELi2ELi3EEEELi3ELi16ELi16ELb0EE3RunINS3_IJNS5_IiLi0EEES20_S20_S20_EEES21_NS_13DynamicBufferILNS_16AddressSpaceEnumE2ES1_S1I_Lb1ELNS_22AmdBufferCoherenceEnumE0EiEENS_12StaticBufferILS23_4EDF16_Li128ELb1EEEEEvRS1K_RKT_RKT1_RS1V_RKT0_RT2_,@function
_ZNK2ck32ThreadwiseTensorSliceTransfer_v4INS_9f8_fnuz_tEDF16_KNS_16TensorDescriptorINS_5TupleIJNS_5EmbedINS3_IJNS_17integral_constantIiLi16EEENS5_IiLi32EEES6_EEENS3_IJS6_NS5_IiLi256EEENS5_IiLi1EEEEEELb0EEENS_3XorINS3_IJS7_S6_EEELb1EEENS_11PassThroughIS6_EENS_7UnMergeINS3_IJS6_SA_EEELb0EEENSG_IS7_EESH_SH_NS_21Merge_v3_division_modINS3_IJS7_SA_EEEEESH_NSM_INS3_IJS6_S6_EEEEENSI_INS3_IJSA_NS5_IiLi2EEES6_EEELb0EEEEEENS3_IJNS_8SequenceIJLi0EEEENSV_IJLi2ELi1EEEENSV_IJLi3EEEENSV_IJLi5EEEENSV_IJLi4EEEENSV_IJLi6EEEENSV_IJLi7EEEENSV_IJLi9ELi8EEEENSV_IJLi10EEEENSV_IJLi11ELi13EEEENSV_IJLi12EEEEEEENS3_IJNSV_IJLi1ELi2ELi3EEEENSV_IJLi4ELi5EEEES11_NSV_IJLi7ELi8EEEENSV_IJLi9EEEES14_NSV_IJLi11EEEES16_NSV_IJLi13EEEENSV_IJLi14EEEENSV_IJLi15ELi16ELi17EEEEEEENSV_IJLi15ELi16ELi17ELi14EEEENS5_IlLl8192EEEEEKNS2_INS3_IJNS4_INS3_IJSA_SA_SA_NS5_IiLi128EEEEEENS3_IJS1L_S1L_S1L_SA_EEELb0EEEEEENS3_IJSW_EEENS3_IJNSV_IJLi1ELi2ELi3ELi4EEEEEEES1R_NS5_IlLl128EEEEENSV_IJLi1ELi1ELi1ELi128EEEENSV_IJLi0ELi1ELi2ELi3EEEELi3ELi16ELi16ELb0EE3RunINS3_IJNS5_IiLi0EEES20_S20_S20_EEES21_NS_13DynamicBufferILNS_16AddressSpaceEnumE2ES1_S1I_Lb1ELNS_22AmdBufferCoherenceEnumE0EiEENS_12StaticBufferILS23_4EDF16_Li128ELb1EEEEEvRS1K_RKT_RKT1_RS1V_RKT0_RT2_: ; @_ZNK2ck32ThreadwiseTensorSliceTransfer_v4INS_9f8_fnuz_tEDF16_KNS_16TensorDescriptorINS_5TupleIJNS_5EmbedINS3_IJNS_17integral_constantIiLi16EEENS5_IiLi32EEES6_EEENS3_IJS6_NS5_IiLi256EEENS5_IiLi1EEEEEELb0EEENS_3XorINS3_IJS7_S6_EEELb1EEENS_11PassThroughIS6_EENS_7UnMergeINS3_IJS6_SA_EEELb0EEENSG_IS7_EESH_SH_NS_21Merge_v3_division_modINS3_IJS7_SA_EEEEESH_NSM_INS3_IJS6_S6_EEEEENSI_INS3_IJSA_NS5_IiLi2EEES6_EEELb0EEEEEENS3_IJNS_8SequenceIJLi0EEEENSV_IJLi2ELi1EEEENSV_IJLi3EEEENSV_IJLi5EEEENSV_IJLi4EEEENSV_IJLi6EEEENSV_IJLi7EEEENSV_IJLi9ELi8EEEENSV_IJLi10EEEENSV_IJLi11ELi13EEEENSV_IJLi12EEEEEEENS3_IJNSV_IJLi1ELi2ELi3EEEENSV_IJLi4ELi5EEEES11_NSV_IJLi7ELi8EEEENSV_IJLi9EEEES14_NSV_IJLi11EEEES16_NSV_IJLi13EEEENSV_IJLi14EEEENSV_IJLi15ELi16ELi17EEEEEEENSV_IJLi15ELi16ELi17ELi14EEEENS5_IlLl8192EEEEEKNS2_INS3_IJNS4_INS3_IJSA_SA_SA_NS5_IiLi128EEEEEENS3_IJS1L_S1L_S1L_SA_EEELb0EEEEEENS3_IJSW_EEENS3_IJNSV_IJLi1ELi2ELi3ELi4EEEEEEES1R_NS5_IlLl128EEEEENSV_IJLi1ELi1ELi1ELi128EEEENSV_IJLi0ELi1ELi2ELi3EEEELi3ELi16ELi16ELb0EE3RunINS3_IJNS5_IiLi0EEES20_S20_S20_EEES21_NS_13DynamicBufferILNS_16AddressSpaceEnumE2ES1_S1I_Lb1ELNS_22AmdBufferCoherenceEnumE0EiEENS_12StaticBufferILS23_4EDF16_Li128ELb1EEEEEvRS1K_RKT_RKT1_RS1V_RKT0_RT2_
; %bb.0:
	s_wait_loadcnt_dscnt 0x0
	s_wait_expcnt 0x0
	s_wait_samplecnt 0x0
	s_wait_bvhcnt 0x0
	s_wait_kmcnt 0x0
	flat_load_b32 v6, v[0:1]
	flat_load_b64 v[10:11], v[2:3]
	s_mov_b32 s0, 0
	s_mov_b32 s1, exec_lo
	s_wait_loadcnt_dscnt 0x101
	v_ashrrev_i32_e32 v7, 31, v6
	s_wait_loadcnt_dscnt 0x0
	v_add_co_u32 v6, vcc_lo, v10, v6
	s_wait_alu 0xfffd
	s_delay_alu instid0(VALU_DEP_2) | instskip(SKIP_3) | instid1(VALU_DEP_1)
	v_add_co_ci_u32_e64 v7, null, v11, v7, vcc_lo
	flat_load_b128 v[6:9], v[6:7]
	s_wait_loadcnt_dscnt 0x0
	v_and_b32_e32 v13, 0xff, v6
	v_cmpx_lt_i16_e32 0x7f, v13
	s_wait_alu 0xfffe
	s_xor_b32 s1, exec_lo, s1
	s_cbranch_execz .LBB6_4
; %bb.1:
	s_mov_b32 s0, -1
	s_mov_b32 s2, exec_lo
	v_cmpx_eq_u16_e32 0x80, v13
; %bb.2:
	s_xor_b32 s0, exec_lo, -1
; %bb.3:
	s_wait_alu 0xfffe
	s_or_b32 exec_lo, exec_lo, s2
	s_delay_alu instid0(SALU_CYCLE_1)
	s_and_b32 s0, s0, exec_lo
                                        ; implicit-def: $vgpr13
.LBB6_4:
	s_wait_alu 0xfffe
	s_or_saveexec_b32 s1, s1
	v_mov_b32_e32 v12, 0x7f800001
	s_wait_alu 0xfffe
	s_xor_b32 exec_lo, exec_lo, s1
; %bb.5:
	v_cmp_ne_u16_e32 vcc_lo, 0, v13
	v_mov_b32_e32 v12, 0
	s_and_not1_b32 s0, s0, exec_lo
	s_and_b32 s2, vcc_lo, exec_lo
	s_wait_alu 0xfffe
	s_or_b32 s0, s0, s2
; %bb.6:
	s_or_b32 exec_lo, exec_lo, s1
	v_lshrrev_b32_e32 v13, 24, v9
	v_lshrrev_b32_e32 v14, 16, v9
	;; [unrolled: 1-line block ×12, first 2 shown]
	s_wait_alu 0xfffe
	s_and_saveexec_b32 s1, s0
	s_cbranch_execz .LBB6_8
; %bb.7:
	v_lshrrev_b16 v27, 3, v6
	s_delay_alu instid0(VALU_DEP_1) | instskip(NEXT) | instid1(VALU_DEP_1)
	v_and_b32_e32 v27, 15, v27
	v_cmp_eq_u16_e32 vcc_lo, 0, v27
	v_and_b32_e32 v12, 7, v6
	v_lshrrev_b16 v6, 7, v6
	s_delay_alu instid0(VALU_DEP_2) | instskip(NEXT) | instid1(VALU_DEP_2)
	v_clz_i32_u32_e32 v25, v12
	v_lshlrev_b32_e32 v6, 31, v6
	s_delay_alu instid0(VALU_DEP_2) | instskip(NEXT) | instid1(VALU_DEP_1)
	v_min_u32_e32 v25, 32, v25
	v_subrev_nc_u32_e32 v26, 28, v25
	v_sub_nc_u32_e32 v25, 29, v25
	s_wait_alu 0xfffd
	s_delay_alu instid0(VALU_DEP_1) | instskip(NEXT) | instid1(VALU_DEP_1)
	v_dual_cndmask_b32 v25, v27, v25 :: v_dual_lshlrev_b32 v26, v26, v12
	v_lshl_add_u32 v25, v25, 23, 0x3b800000
	s_delay_alu instid0(VALU_DEP_2) | instskip(NEXT) | instid1(VALU_DEP_1)
	v_and_b32_e32 v26, 7, v26
	v_cndmask_b32_e32 v12, v12, v26, vcc_lo
	s_delay_alu instid0(VALU_DEP_1) | instskip(NEXT) | instid1(VALU_DEP_1)
	v_lshlrev_b32_e32 v12, 20, v12
	v_or3_b32 v12, v6, v25, v12
.LBB6_8:
	s_wait_alu 0xfffe
	s_or_b32 exec_lo, exec_lo, s1
	v_and_b32_e32 v25, 0xff, v16
	s_mov_b32 s0, 0
	s_mov_b32 s1, exec_lo
	s_delay_alu instid0(VALU_DEP_1)
	v_cmpx_lt_i16_e32 0x7f, v25
	s_wait_alu 0xfffe
	s_xor_b32 s1, exec_lo, s1
	s_cbranch_execnz .LBB6_545
; %bb.9:
	s_wait_alu 0xfffe
	s_or_saveexec_b32 s1, s1
	v_mov_b32_e32 v6, 0x7f800001
	s_wait_alu 0xfffe
	s_xor_b32 exec_lo, exec_lo, s1
	s_cbranch_execnz .LBB6_548
.LBB6_10:
	s_or_b32 exec_lo, exec_lo, s1
	s_and_saveexec_b32 s1, s0
	s_cbranch_execz .LBB6_12
.LBB6_11:
	v_lshrrev_b16 v27, 3, v16
	s_delay_alu instid0(VALU_DEP_1) | instskip(NEXT) | instid1(VALU_DEP_1)
	v_and_b32_e32 v27, 15, v27
	v_cmp_eq_u16_e32 vcc_lo, 0, v27
	v_and_b32_e32 v6, 7, v16
	v_lshrrev_b16 v16, 7, v16
	s_delay_alu instid0(VALU_DEP_2) | instskip(NEXT) | instid1(VALU_DEP_2)
	v_clz_i32_u32_e32 v25, v6
	v_lshlrev_b32_e32 v16, 31, v16
	s_delay_alu instid0(VALU_DEP_2) | instskip(NEXT) | instid1(VALU_DEP_1)
	v_min_u32_e32 v25, 32, v25
	v_subrev_nc_u32_e32 v26, 28, v25
	v_sub_nc_u32_e32 v25, 29, v25
	s_wait_alu 0xfffd
	s_delay_alu instid0(VALU_DEP_1) | instskip(NEXT) | instid1(VALU_DEP_1)
	v_dual_cndmask_b32 v25, v27, v25 :: v_dual_lshlrev_b32 v26, v26, v6
	v_lshl_add_u32 v25, v25, 23, 0x3b800000
	s_delay_alu instid0(VALU_DEP_2) | instskip(NEXT) | instid1(VALU_DEP_1)
	v_and_b32_e32 v26, 7, v26
	v_cndmask_b32_e32 v6, v6, v26, vcc_lo
	s_delay_alu instid0(VALU_DEP_1) | instskip(NEXT) | instid1(VALU_DEP_1)
	v_lshlrev_b32_e32 v6, 20, v6
	v_or3_b32 v6, v16, v25, v6
.LBB6_12:
	s_wait_alu 0xfffe
	s_or_b32 exec_lo, exec_lo, s1
	v_and_b32_e32 v25, 0xff, v17
	s_mov_b32 s0, 0
	s_mov_b32 s1, exec_lo
	s_delay_alu instid0(VALU_DEP_1)
	v_cmpx_lt_i16_e32 0x7f, v25
	s_wait_alu 0xfffe
	s_xor_b32 s1, exec_lo, s1
	s_cbranch_execnz .LBB6_549
; %bb.13:
	s_wait_alu 0xfffe
	s_or_saveexec_b32 s1, s1
	v_mov_b32_e32 v16, 0x7f800001
	s_wait_alu 0xfffe
	s_xor_b32 exec_lo, exec_lo, s1
	s_cbranch_execnz .LBB6_552
.LBB6_14:
	s_or_b32 exec_lo, exec_lo, s1
	s_and_saveexec_b32 s1, s0
	s_cbranch_execz .LBB6_16
.LBB6_15:
	v_and_b32_e32 v16, 7, v17
	v_lshrrev_b16 v27, 3, v17
	v_lshrrev_b16 v17, 7, v17
	s_delay_alu instid0(VALU_DEP_3) | instskip(NEXT) | instid1(VALU_DEP_3)
	v_clz_i32_u32_e32 v25, v16
	v_and_b32_e32 v27, 15, v27
	s_delay_alu instid0(VALU_DEP_3) | instskip(NEXT) | instid1(VALU_DEP_3)
	v_lshlrev_b32_e32 v17, 31, v17
	v_min_u32_e32 v25, 32, v25
	s_delay_alu instid0(VALU_DEP_3) | instskip(NEXT) | instid1(VALU_DEP_2)
	v_cmp_eq_u16_e32 vcc_lo, 0, v27
	v_subrev_nc_u32_e32 v26, 28, v25
	v_sub_nc_u32_e32 v25, 29, v25
	s_wait_alu 0xfffd
	s_delay_alu instid0(VALU_DEP_1) | instskip(NEXT) | instid1(VALU_DEP_1)
	v_dual_cndmask_b32 v25, v27, v25 :: v_dual_lshlrev_b32 v26, v26, v16
	v_and_b32_e32 v26, 7, v26
	s_delay_alu instid0(VALU_DEP_2) | instskip(NEXT) | instid1(VALU_DEP_2)
	v_lshl_add_u32 v25, v25, 23, 0x3b800000
	v_cndmask_b32_e32 v16, v16, v26, vcc_lo
	s_delay_alu instid0(VALU_DEP_1) | instskip(NEXT) | instid1(VALU_DEP_1)
	v_lshlrev_b32_e32 v16, 20, v16
	v_or3_b32 v16, v17, v25, v16
.LBB6_16:
	s_wait_alu 0xfffe
	s_or_b32 exec_lo, exec_lo, s1
	s_mov_b32 s0, 0
	s_mov_b32 s1, exec_lo
	v_cmpx_lt_i16_e32 0x7f, v18
	s_wait_alu 0xfffe
	s_xor_b32 s1, exec_lo, s1
	s_cbranch_execnz .LBB6_553
; %bb.17:
	s_wait_alu 0xfffe
	s_or_saveexec_b32 s1, s1
	v_mov_b32_e32 v17, 0x7f800001
	s_wait_alu 0xfffe
	s_xor_b32 exec_lo, exec_lo, s1
	s_cbranch_execnz .LBB6_556
.LBB6_18:
	s_or_b32 exec_lo, exec_lo, s1
	s_and_saveexec_b32 s1, s0
	s_cbranch_execz .LBB6_20
.LBB6_19:
	v_and_b32_e32 v17, 7, v18
	v_lshrrev_b16 v27, 3, v18
	v_lshrrev_b16 v18, 7, v18
	s_delay_alu instid0(VALU_DEP_3) | instskip(NEXT) | instid1(VALU_DEP_3)
	v_clz_i32_u32_e32 v25, v17
	v_and_b32_e32 v27, 15, v27
	s_delay_alu instid0(VALU_DEP_3) | instskip(NEXT) | instid1(VALU_DEP_3)
	v_lshlrev_b32_e32 v18, 31, v18
	v_min_u32_e32 v25, 32, v25
	s_delay_alu instid0(VALU_DEP_3) | instskip(NEXT) | instid1(VALU_DEP_2)
	v_cmp_eq_u16_e32 vcc_lo, 0, v27
	v_subrev_nc_u32_e32 v26, 28, v25
	v_sub_nc_u32_e32 v25, 29, v25
	s_delay_alu instid0(VALU_DEP_2) | instskip(SKIP_1) | instid1(VALU_DEP_1)
	v_lshlrev_b32_e32 v26, v26, v17
	s_wait_alu 0xfffd
	v_dual_cndmask_b32 v25, v27, v25 :: v_dual_and_b32 v26, 7, v26
	s_delay_alu instid0(VALU_DEP_1) | instskip(NEXT) | instid1(VALU_DEP_2)
	v_lshl_add_u32 v25, v25, 23, 0x3b800000
	v_cndmask_b32_e32 v17, v17, v26, vcc_lo
	s_delay_alu instid0(VALU_DEP_1) | instskip(NEXT) | instid1(VALU_DEP_1)
	v_lshlrev_b32_e32 v17, 20, v17
	v_or3_b32 v17, v18, v25, v17
.LBB6_20:
	s_wait_alu 0xfffe
	s_or_b32 exec_lo, exec_lo, s1
	v_and_b32_e32 v25, 0xff, v7
	s_mov_b32 s0, 0
	s_mov_b32 s1, exec_lo
	s_delay_alu instid0(VALU_DEP_1)
	v_cmpx_lt_i16_e32 0x7f, v25
	s_wait_alu 0xfffe
	s_xor_b32 s1, exec_lo, s1
	s_cbranch_execnz .LBB6_557
; %bb.21:
	s_wait_alu 0xfffe
	s_or_saveexec_b32 s1, s1
	v_mov_b32_e32 v18, 0x7f800001
	s_wait_alu 0xfffe
	s_xor_b32 exec_lo, exec_lo, s1
	s_cbranch_execnz .LBB6_560
.LBB6_22:
	s_or_b32 exec_lo, exec_lo, s1
	s_and_saveexec_b32 s1, s0
	s_cbranch_execz .LBB6_24
.LBB6_23:
	v_lshrrev_b16 v27, 3, v7
	s_delay_alu instid0(VALU_DEP_1) | instskip(NEXT) | instid1(VALU_DEP_1)
	v_and_b32_e32 v27, 15, v27
	v_cmp_eq_u16_e32 vcc_lo, 0, v27
	v_and_b32_e32 v18, 7, v7
	v_lshrrev_b16 v7, 7, v7
	s_delay_alu instid0(VALU_DEP_2) | instskip(NEXT) | instid1(VALU_DEP_2)
	v_clz_i32_u32_e32 v25, v18
	v_lshlrev_b32_e32 v7, 31, v7
	s_delay_alu instid0(VALU_DEP_2) | instskip(NEXT) | instid1(VALU_DEP_1)
	v_min_u32_e32 v25, 32, v25
	v_subrev_nc_u32_e32 v26, 28, v25
	v_sub_nc_u32_e32 v25, 29, v25
	s_wait_alu 0xfffd
	s_delay_alu instid0(VALU_DEP_1) | instskip(NEXT) | instid1(VALU_DEP_1)
	v_dual_cndmask_b32 v25, v27, v25 :: v_dual_lshlrev_b32 v26, v26, v18
	v_lshl_add_u32 v25, v25, 23, 0x3b800000
	s_delay_alu instid0(VALU_DEP_2) | instskip(NEXT) | instid1(VALU_DEP_1)
	v_and_b32_e32 v26, 7, v26
	v_cndmask_b32_e32 v18, v18, v26, vcc_lo
	s_delay_alu instid0(VALU_DEP_1) | instskip(NEXT) | instid1(VALU_DEP_1)
	v_lshlrev_b32_e32 v18, 20, v18
	v_or3_b32 v18, v7, v25, v18
.LBB6_24:
	s_wait_alu 0xfffe
	s_or_b32 exec_lo, exec_lo, s1
	v_and_b32_e32 v25, 0xff, v21
	s_mov_b32 s0, 0
	s_mov_b32 s1, exec_lo
	s_delay_alu instid0(VALU_DEP_1)
	v_cmpx_lt_i16_e32 0x7f, v25
	s_wait_alu 0xfffe
	s_xor_b32 s1, exec_lo, s1
	s_cbranch_execnz .LBB6_561
; %bb.25:
	s_wait_alu 0xfffe
	s_or_saveexec_b32 s1, s1
	v_mov_b32_e32 v7, 0x7f800001
	s_wait_alu 0xfffe
	s_xor_b32 exec_lo, exec_lo, s1
	s_cbranch_execnz .LBB6_564
.LBB6_26:
	s_or_b32 exec_lo, exec_lo, s1
	s_and_saveexec_b32 s1, s0
	s_cbranch_execz .LBB6_28
.LBB6_27:
	v_and_b32_e32 v7, 7, v21
	v_lshrrev_b16 v27, 3, v21
	v_lshrrev_b16 v21, 7, v21
	s_delay_alu instid0(VALU_DEP_3) | instskip(NEXT) | instid1(VALU_DEP_3)
	v_clz_i32_u32_e32 v25, v7
	v_and_b32_e32 v27, 15, v27
	s_delay_alu instid0(VALU_DEP_3) | instskip(NEXT) | instid1(VALU_DEP_3)
	v_lshlrev_b32_e32 v21, 31, v21
	v_min_u32_e32 v25, 32, v25
	s_delay_alu instid0(VALU_DEP_3) | instskip(NEXT) | instid1(VALU_DEP_2)
	v_cmp_eq_u16_e32 vcc_lo, 0, v27
	v_subrev_nc_u32_e32 v26, 28, v25
	v_sub_nc_u32_e32 v25, 29, v25
	s_wait_alu 0xfffd
	s_delay_alu instid0(VALU_DEP_1) | instskip(NEXT) | instid1(VALU_DEP_1)
	v_dual_cndmask_b32 v25, v27, v25 :: v_dual_lshlrev_b32 v26, v26, v7
	v_and_b32_e32 v26, 7, v26
	s_delay_alu instid0(VALU_DEP_2) | instskip(NEXT) | instid1(VALU_DEP_2)
	v_lshl_add_u32 v25, v25, 23, 0x3b800000
	v_cndmask_b32_e32 v7, v7, v26, vcc_lo
	s_delay_alu instid0(VALU_DEP_1) | instskip(NEXT) | instid1(VALU_DEP_1)
	v_lshlrev_b32_e32 v7, 20, v7
	v_or3_b32 v7, v21, v25, v7
.LBB6_28:
	s_wait_alu 0xfffe
	s_or_b32 exec_lo, exec_lo, s1
	v_and_b32_e32 v25, 0xff, v23
	s_mov_b32 s0, 0
	s_mov_b32 s1, exec_lo
	s_delay_alu instid0(VALU_DEP_1)
	v_cmpx_lt_i16_e32 0x7f, v25
	s_wait_alu 0xfffe
	s_xor_b32 s1, exec_lo, s1
	s_cbranch_execnz .LBB6_565
; %bb.29:
	s_wait_alu 0xfffe
	s_or_saveexec_b32 s1, s1
	v_mov_b32_e32 v21, 0x7f800001
	s_wait_alu 0xfffe
	s_xor_b32 exec_lo, exec_lo, s1
	s_cbranch_execnz .LBB6_568
.LBB6_30:
	s_or_b32 exec_lo, exec_lo, s1
	s_and_saveexec_b32 s1, s0
	s_cbranch_execz .LBB6_32
.LBB6_31:
	v_and_b32_e32 v21, 7, v23
	v_lshrrev_b16 v27, 3, v23
	v_lshrrev_b16 v23, 7, v23
	s_delay_alu instid0(VALU_DEP_3) | instskip(NEXT) | instid1(VALU_DEP_3)
	v_clz_i32_u32_e32 v25, v21
	v_and_b32_e32 v27, 15, v27
	s_delay_alu instid0(VALU_DEP_3) | instskip(NEXT) | instid1(VALU_DEP_3)
	v_lshlrev_b32_e32 v23, 31, v23
	v_min_u32_e32 v25, 32, v25
	s_delay_alu instid0(VALU_DEP_3) | instskip(NEXT) | instid1(VALU_DEP_2)
	v_cmp_eq_u16_e32 vcc_lo, 0, v27
	v_subrev_nc_u32_e32 v26, 28, v25
	v_sub_nc_u32_e32 v25, 29, v25
	s_delay_alu instid0(VALU_DEP_2) | instskip(SKIP_1) | instid1(VALU_DEP_1)
	v_lshlrev_b32_e32 v26, v26, v21
	s_wait_alu 0xfffd
	v_dual_cndmask_b32 v25, v27, v25 :: v_dual_and_b32 v26, 7, v26
	s_delay_alu instid0(VALU_DEP_1) | instskip(NEXT) | instid1(VALU_DEP_2)
	v_lshl_add_u32 v25, v25, 23, 0x3b800000
	v_cndmask_b32_e32 v21, v21, v26, vcc_lo
	s_delay_alu instid0(VALU_DEP_1) | instskip(NEXT) | instid1(VALU_DEP_1)
	v_lshlrev_b32_e32 v21, 20, v21
	v_or3_b32 v21, v23, v25, v21
.LBB6_32:
	s_wait_alu 0xfffe
	s_or_b32 exec_lo, exec_lo, s1
	s_mov_b32 s0, 0
	s_mov_b32 s1, exec_lo
	v_cmpx_lt_i16_e32 0x7f, v24
	s_wait_alu 0xfffe
	s_xor_b32 s1, exec_lo, s1
	s_cbranch_execnz .LBB6_569
; %bb.33:
	s_wait_alu 0xfffe
	s_or_saveexec_b32 s1, s1
	v_mov_b32_e32 v23, 0x7f800001
	s_wait_alu 0xfffe
	s_xor_b32 exec_lo, exec_lo, s1
	s_cbranch_execnz .LBB6_572
.LBB6_34:
	s_or_b32 exec_lo, exec_lo, s1
	s_and_saveexec_b32 s1, s0
	s_cbranch_execz .LBB6_36
.LBB6_35:
	v_and_b32_e32 v23, 7, v24
	v_lshrrev_b16 v27, 3, v24
	v_lshrrev_b16 v24, 7, v24
	s_delay_alu instid0(VALU_DEP_3) | instskip(NEXT) | instid1(VALU_DEP_3)
	v_clz_i32_u32_e32 v25, v23
	v_and_b32_e32 v27, 15, v27
	s_delay_alu instid0(VALU_DEP_3) | instskip(NEXT) | instid1(VALU_DEP_3)
	v_lshlrev_b32_e32 v24, 31, v24
	v_min_u32_e32 v25, 32, v25
	s_delay_alu instid0(VALU_DEP_3) | instskip(NEXT) | instid1(VALU_DEP_2)
	v_cmp_eq_u16_e32 vcc_lo, 0, v27
	v_subrev_nc_u32_e32 v26, 28, v25
	v_sub_nc_u32_e32 v25, 29, v25
	s_wait_alu 0xfffd
	s_delay_alu instid0(VALU_DEP_1) | instskip(NEXT) | instid1(VALU_DEP_1)
	v_dual_cndmask_b32 v25, v27, v25 :: v_dual_lshlrev_b32 v26, v26, v23
	v_and_b32_e32 v26, 7, v26
	s_delay_alu instid0(VALU_DEP_2) | instskip(NEXT) | instid1(VALU_DEP_2)
	v_lshl_add_u32 v25, v25, 23, 0x3b800000
	v_cndmask_b32_e32 v23, v23, v26, vcc_lo
	s_delay_alu instid0(VALU_DEP_1) | instskip(NEXT) | instid1(VALU_DEP_1)
	v_lshlrev_b32_e32 v23, 20, v23
	v_or3_b32 v23, v24, v25, v23
.LBB6_36:
	s_wait_alu 0xfffe
	s_or_b32 exec_lo, exec_lo, s1
	v_and_b32_e32 v25, 0xff, v8
	s_mov_b32 s0, 0
	s_mov_b32 s1, exec_lo
	s_delay_alu instid0(VALU_DEP_1)
	v_cmpx_lt_i16_e32 0x7f, v25
	s_wait_alu 0xfffe
	s_xor_b32 s1, exec_lo, s1
	s_cbranch_execnz .LBB6_573
; %bb.37:
	s_wait_alu 0xfffe
	s_or_saveexec_b32 s1, s1
	v_mov_b32_e32 v24, 0x7f800001
	s_wait_alu 0xfffe
	s_xor_b32 exec_lo, exec_lo, s1
	s_cbranch_execnz .LBB6_576
.LBB6_38:
	s_or_b32 exec_lo, exec_lo, s1
	s_and_saveexec_b32 s1, s0
	s_cbranch_execz .LBB6_40
.LBB6_39:
	v_lshrrev_b16 v27, 3, v8
	s_delay_alu instid0(VALU_DEP_1) | instskip(NEXT) | instid1(VALU_DEP_1)
	v_and_b32_e32 v27, 15, v27
	v_cmp_eq_u16_e32 vcc_lo, 0, v27
	v_and_b32_e32 v24, 7, v8
	v_lshrrev_b16 v8, 7, v8
	s_delay_alu instid0(VALU_DEP_2) | instskip(NEXT) | instid1(VALU_DEP_2)
	v_clz_i32_u32_e32 v25, v24
	v_lshlrev_b32_e32 v8, 31, v8
	s_delay_alu instid0(VALU_DEP_2) | instskip(NEXT) | instid1(VALU_DEP_1)
	v_min_u32_e32 v25, 32, v25
	v_subrev_nc_u32_e32 v26, 28, v25
	v_sub_nc_u32_e32 v25, 29, v25
	s_wait_alu 0xfffd
	s_delay_alu instid0(VALU_DEP_1) | instskip(NEXT) | instid1(VALU_DEP_1)
	v_dual_cndmask_b32 v25, v27, v25 :: v_dual_lshlrev_b32 v26, v26, v24
	v_lshl_add_u32 v25, v25, 23, 0x3b800000
	s_delay_alu instid0(VALU_DEP_2) | instskip(NEXT) | instid1(VALU_DEP_1)
	v_and_b32_e32 v26, 7, v26
	v_cndmask_b32_e32 v24, v24, v26, vcc_lo
	s_delay_alu instid0(VALU_DEP_1) | instskip(NEXT) | instid1(VALU_DEP_1)
	v_lshlrev_b32_e32 v24, 20, v24
	v_or3_b32 v24, v8, v25, v24
.LBB6_40:
	s_wait_alu 0xfffe
	s_or_b32 exec_lo, exec_lo, s1
	v_and_b32_e32 v25, 0xff, v22
	s_mov_b32 s0, 0
	s_mov_b32 s1, exec_lo
	s_delay_alu instid0(VALU_DEP_1)
	v_cmpx_lt_i16_e32 0x7f, v25
	s_wait_alu 0xfffe
	s_xor_b32 s1, exec_lo, s1
	s_cbranch_execnz .LBB6_577
; %bb.41:
	s_wait_alu 0xfffe
	s_or_saveexec_b32 s1, s1
	v_mov_b32_e32 v8, 0x7f800001
	s_wait_alu 0xfffe
	s_xor_b32 exec_lo, exec_lo, s1
	s_cbranch_execnz .LBB6_580
.LBB6_42:
	s_or_b32 exec_lo, exec_lo, s1
	s_and_saveexec_b32 s1, s0
	s_cbranch_execz .LBB6_44
.LBB6_43:
	v_lshrrev_b16 v27, 3, v22
	s_delay_alu instid0(VALU_DEP_1) | instskip(NEXT) | instid1(VALU_DEP_1)
	v_and_b32_e32 v27, 15, v27
	v_cmp_eq_u16_e32 vcc_lo, 0, v27
	v_and_b32_e32 v8, 7, v22
	v_lshrrev_b16 v22, 7, v22
	s_delay_alu instid0(VALU_DEP_2) | instskip(NEXT) | instid1(VALU_DEP_2)
	v_clz_i32_u32_e32 v25, v8
	v_lshlrev_b32_e32 v22, 31, v22
	s_delay_alu instid0(VALU_DEP_2) | instskip(NEXT) | instid1(VALU_DEP_1)
	v_min_u32_e32 v25, 32, v25
	v_subrev_nc_u32_e32 v26, 28, v25
	v_sub_nc_u32_e32 v25, 29, v25
	s_wait_alu 0xfffd
	s_delay_alu instid0(VALU_DEP_1) | instskip(NEXT) | instid1(VALU_DEP_1)
	v_dual_cndmask_b32 v25, v27, v25 :: v_dual_lshlrev_b32 v26, v26, v8
	v_lshl_add_u32 v25, v25, 23, 0x3b800000
	s_delay_alu instid0(VALU_DEP_2) | instskip(NEXT) | instid1(VALU_DEP_1)
	v_and_b32_e32 v26, 7, v26
	v_cndmask_b32_e32 v8, v8, v26, vcc_lo
	s_delay_alu instid0(VALU_DEP_1) | instskip(NEXT) | instid1(VALU_DEP_1)
	v_lshlrev_b32_e32 v8, 20, v8
	v_or3_b32 v8, v22, v25, v8
.LBB6_44:
	s_wait_alu 0xfffe
	s_or_b32 exec_lo, exec_lo, s1
	v_and_b32_e32 v25, 0xff, v20
	s_mov_b32 s0, 0
	s_mov_b32 s1, exec_lo
	s_delay_alu instid0(VALU_DEP_1)
	v_cmpx_lt_i16_e32 0x7f, v25
	s_wait_alu 0xfffe
	s_xor_b32 s1, exec_lo, s1
	s_cbranch_execnz .LBB6_581
; %bb.45:
	s_wait_alu 0xfffe
	s_or_saveexec_b32 s1, s1
	v_mov_b32_e32 v22, 0x7f800001
	s_wait_alu 0xfffe
	s_xor_b32 exec_lo, exec_lo, s1
	s_cbranch_execnz .LBB6_584
.LBB6_46:
	s_or_b32 exec_lo, exec_lo, s1
	s_and_saveexec_b32 s1, s0
	s_cbranch_execz .LBB6_48
.LBB6_47:
	v_lshrrev_b16 v27, 3, v20
	s_delay_alu instid0(VALU_DEP_1) | instskip(NEXT) | instid1(VALU_DEP_1)
	v_and_b32_e32 v27, 15, v27
	v_cmp_eq_u16_e32 vcc_lo, 0, v27
	v_and_b32_e32 v22, 7, v20
	v_lshrrev_b16 v20, 7, v20
	s_delay_alu instid0(VALU_DEP_2) | instskip(NEXT) | instid1(VALU_DEP_2)
	v_clz_i32_u32_e32 v25, v22
	v_lshlrev_b32_e32 v20, 31, v20
	s_delay_alu instid0(VALU_DEP_2) | instskip(NEXT) | instid1(VALU_DEP_1)
	v_min_u32_e32 v25, 32, v25
	v_subrev_nc_u32_e32 v26, 28, v25
	v_sub_nc_u32_e32 v25, 29, v25
	s_wait_alu 0xfffd
	s_delay_alu instid0(VALU_DEP_1) | instskip(NEXT) | instid1(VALU_DEP_1)
	v_dual_cndmask_b32 v25, v27, v25 :: v_dual_lshlrev_b32 v26, v26, v22
	v_lshl_add_u32 v25, v25, 23, 0x3b800000
	s_delay_alu instid0(VALU_DEP_2) | instskip(NEXT) | instid1(VALU_DEP_1)
	v_and_b32_e32 v26, 7, v26
	v_cndmask_b32_e32 v22, v22, v26, vcc_lo
	s_delay_alu instid0(VALU_DEP_1) | instskip(NEXT) | instid1(VALU_DEP_1)
	v_lshlrev_b32_e32 v22, 20, v22
	v_or3_b32 v22, v20, v25, v22
.LBB6_48:
	s_wait_alu 0xfffe
	s_or_b32 exec_lo, exec_lo, s1
	s_mov_b32 s0, 0
	s_mov_b32 s1, exec_lo
	v_cmpx_lt_i16_e32 0x7f, v19
	s_wait_alu 0xfffe
	s_xor_b32 s1, exec_lo, s1
	s_cbranch_execnz .LBB6_585
; %bb.49:
	s_wait_alu 0xfffe
	s_or_saveexec_b32 s1, s1
	v_mov_b32_e32 v20, 0x7f800001
	s_wait_alu 0xfffe
	s_xor_b32 exec_lo, exec_lo, s1
	s_cbranch_execnz .LBB6_588
.LBB6_50:
	s_or_b32 exec_lo, exec_lo, s1
	s_and_saveexec_b32 s1, s0
	s_cbranch_execz .LBB6_52
.LBB6_51:
	v_lshrrev_b16 v27, 3, v19
	s_delay_alu instid0(VALU_DEP_1) | instskip(NEXT) | instid1(VALU_DEP_1)
	v_and_b32_e32 v27, 15, v27
	v_cmp_eq_u16_e32 vcc_lo, 0, v27
	v_and_b32_e32 v20, 7, v19
	v_lshrrev_b16 v19, 7, v19
	s_delay_alu instid0(VALU_DEP_2) | instskip(NEXT) | instid1(VALU_DEP_2)
	v_clz_i32_u32_e32 v25, v20
	v_lshlrev_b32_e32 v19, 31, v19
	s_delay_alu instid0(VALU_DEP_2) | instskip(NEXT) | instid1(VALU_DEP_1)
	v_min_u32_e32 v25, 32, v25
	v_subrev_nc_u32_e32 v26, 28, v25
	v_sub_nc_u32_e32 v25, 29, v25
	s_wait_alu 0xfffd
	s_delay_alu instid0(VALU_DEP_1) | instskip(NEXT) | instid1(VALU_DEP_1)
	v_dual_cndmask_b32 v25, v27, v25 :: v_dual_lshlrev_b32 v26, v26, v20
	v_lshl_add_u32 v25, v25, 23, 0x3b800000
	s_delay_alu instid0(VALU_DEP_2) | instskip(NEXT) | instid1(VALU_DEP_1)
	v_and_b32_e32 v26, 7, v26
	v_cndmask_b32_e32 v20, v20, v26, vcc_lo
	s_delay_alu instid0(VALU_DEP_1) | instskip(NEXT) | instid1(VALU_DEP_1)
	v_lshlrev_b32_e32 v20, 20, v20
	v_or3_b32 v20, v19, v25, v20
.LBB6_52:
	s_wait_alu 0xfffe
	s_or_b32 exec_lo, exec_lo, s1
	v_and_b32_e32 v25, 0xff, v9
	s_mov_b32 s0, 0
	s_mov_b32 s1, exec_lo
	s_delay_alu instid0(VALU_DEP_1)
	v_cmpx_lt_i16_e32 0x7f, v25
	s_wait_alu 0xfffe
	s_xor_b32 s1, exec_lo, s1
	s_cbranch_execnz .LBB6_589
; %bb.53:
	s_wait_alu 0xfffe
	s_or_saveexec_b32 s1, s1
	v_mov_b32_e32 v19, 0x7f800001
	s_wait_alu 0xfffe
	s_xor_b32 exec_lo, exec_lo, s1
	s_cbranch_execnz .LBB6_592
.LBB6_54:
	s_or_b32 exec_lo, exec_lo, s1
	s_and_saveexec_b32 s1, s0
	s_cbranch_execz .LBB6_56
.LBB6_55:
	v_and_b32_e32 v19, 7, v9
	v_lshrrev_b16 v27, 3, v9
	v_lshrrev_b16 v9, 7, v9
	s_delay_alu instid0(VALU_DEP_3) | instskip(NEXT) | instid1(VALU_DEP_3)
	v_clz_i32_u32_e32 v25, v19
	v_and_b32_e32 v27, 15, v27
	s_delay_alu instid0(VALU_DEP_3) | instskip(NEXT) | instid1(VALU_DEP_3)
	v_lshlrev_b32_e32 v9, 31, v9
	v_min_u32_e32 v25, 32, v25
	s_delay_alu instid0(VALU_DEP_3) | instskip(NEXT) | instid1(VALU_DEP_2)
	v_cmp_eq_u16_e32 vcc_lo, 0, v27
	v_subrev_nc_u32_e32 v26, 28, v25
	v_sub_nc_u32_e32 v25, 29, v25
	s_wait_alu 0xfffd
	s_delay_alu instid0(VALU_DEP_1) | instskip(NEXT) | instid1(VALU_DEP_1)
	v_dual_cndmask_b32 v25, v27, v25 :: v_dual_lshlrev_b32 v26, v26, v19
	v_and_b32_e32 v26, 7, v26
	s_delay_alu instid0(VALU_DEP_2) | instskip(NEXT) | instid1(VALU_DEP_2)
	v_lshl_add_u32 v25, v25, 23, 0x3b800000
	v_cndmask_b32_e32 v19, v19, v26, vcc_lo
	s_delay_alu instid0(VALU_DEP_1) | instskip(NEXT) | instid1(VALU_DEP_1)
	v_lshlrev_b32_e32 v19, 20, v19
	v_or3_b32 v19, v9, v25, v19
.LBB6_56:
	s_wait_alu 0xfffe
	s_or_b32 exec_lo, exec_lo, s1
	v_and_b32_e32 v25, 0xff, v15
	s_mov_b32 s0, 0
	s_mov_b32 s1, exec_lo
	s_delay_alu instid0(VALU_DEP_1)
	v_cmpx_lt_i16_e32 0x7f, v25
	s_wait_alu 0xfffe
	s_xor_b32 s1, exec_lo, s1
	s_cbranch_execnz .LBB6_593
; %bb.57:
	s_wait_alu 0xfffe
	s_or_saveexec_b32 s1, s1
	v_mov_b32_e32 v9, 0x7f800001
	s_wait_alu 0xfffe
	s_xor_b32 exec_lo, exec_lo, s1
	s_cbranch_execnz .LBB6_596
.LBB6_58:
	s_or_b32 exec_lo, exec_lo, s1
	s_and_saveexec_b32 s1, s0
	s_cbranch_execz .LBB6_60
.LBB6_59:
	v_and_b32_e32 v9, 7, v15
	v_lshrrev_b16 v27, 3, v15
	v_lshrrev_b16 v15, 7, v15
	s_delay_alu instid0(VALU_DEP_3) | instskip(NEXT) | instid1(VALU_DEP_3)
	v_clz_i32_u32_e32 v25, v9
	v_and_b32_e32 v27, 15, v27
	s_delay_alu instid0(VALU_DEP_3) | instskip(NEXT) | instid1(VALU_DEP_3)
	v_lshlrev_b32_e32 v15, 31, v15
	v_min_u32_e32 v25, 32, v25
	s_delay_alu instid0(VALU_DEP_3) | instskip(NEXT) | instid1(VALU_DEP_2)
	v_cmp_eq_u16_e32 vcc_lo, 0, v27
	v_subrev_nc_u32_e32 v26, 28, v25
	v_sub_nc_u32_e32 v25, 29, v25
	s_delay_alu instid0(VALU_DEP_2) | instskip(SKIP_1) | instid1(VALU_DEP_1)
	v_lshlrev_b32_e32 v26, v26, v9
	s_wait_alu 0xfffd
	v_dual_cndmask_b32 v25, v27, v25 :: v_dual_and_b32 v26, 7, v26
	s_delay_alu instid0(VALU_DEP_1) | instskip(NEXT) | instid1(VALU_DEP_2)
	v_lshl_add_u32 v25, v25, 23, 0x3b800000
	v_cndmask_b32_e32 v9, v9, v26, vcc_lo
	s_delay_alu instid0(VALU_DEP_1) | instskip(NEXT) | instid1(VALU_DEP_1)
	v_lshlrev_b32_e32 v9, 20, v9
	v_or3_b32 v9, v15, v25, v9
.LBB6_60:
	s_wait_alu 0xfffe
	s_or_b32 exec_lo, exec_lo, s1
	v_and_b32_e32 v25, 0xff, v14
	s_mov_b32 s0, 0
	s_mov_b32 s1, exec_lo
	s_delay_alu instid0(VALU_DEP_1)
	v_cmpx_lt_i16_e32 0x7f, v25
	s_wait_alu 0xfffe
	s_xor_b32 s1, exec_lo, s1
	s_cbranch_execnz .LBB6_597
; %bb.61:
	s_wait_alu 0xfffe
	s_or_saveexec_b32 s1, s1
	v_mov_b32_e32 v15, 0x7f800001
	s_wait_alu 0xfffe
	s_xor_b32 exec_lo, exec_lo, s1
	s_cbranch_execnz .LBB6_600
.LBB6_62:
	s_or_b32 exec_lo, exec_lo, s1
	s_and_saveexec_b32 s1, s0
	s_cbranch_execz .LBB6_64
.LBB6_63:
	v_and_b32_e32 v15, 7, v14
	v_lshrrev_b16 v27, 3, v14
	v_lshrrev_b16 v14, 7, v14
	s_delay_alu instid0(VALU_DEP_3) | instskip(NEXT) | instid1(VALU_DEP_3)
	v_clz_i32_u32_e32 v25, v15
	v_and_b32_e32 v27, 15, v27
	s_delay_alu instid0(VALU_DEP_3) | instskip(NEXT) | instid1(VALU_DEP_3)
	v_lshlrev_b32_e32 v14, 31, v14
	v_min_u32_e32 v25, 32, v25
	s_delay_alu instid0(VALU_DEP_3) | instskip(NEXT) | instid1(VALU_DEP_2)
	v_cmp_eq_u16_e32 vcc_lo, 0, v27
	v_subrev_nc_u32_e32 v26, 28, v25
	v_sub_nc_u32_e32 v25, 29, v25
	s_wait_alu 0xfffd
	s_delay_alu instid0(VALU_DEP_1) | instskip(NEXT) | instid1(VALU_DEP_1)
	v_dual_cndmask_b32 v25, v27, v25 :: v_dual_lshlrev_b32 v26, v26, v15
	v_and_b32_e32 v26, 7, v26
	s_delay_alu instid0(VALU_DEP_2) | instskip(NEXT) | instid1(VALU_DEP_2)
	v_lshl_add_u32 v25, v25, 23, 0x3b800000
	v_cndmask_b32_e32 v15, v15, v26, vcc_lo
	s_delay_alu instid0(VALU_DEP_1) | instskip(NEXT) | instid1(VALU_DEP_1)
	v_lshlrev_b32_e32 v15, 20, v15
	v_or3_b32 v15, v14, v25, v15
.LBB6_64:
	s_wait_alu 0xfffe
	s_or_b32 exec_lo, exec_lo, s1
	s_mov_b32 s0, 0
	s_mov_b32 s1, exec_lo
	v_cmpx_lt_i16_e32 0x7f, v13
	s_wait_alu 0xfffe
	s_xor_b32 s1, exec_lo, s1
	s_cbranch_execnz .LBB6_601
; %bb.65:
	s_wait_alu 0xfffe
	s_or_saveexec_b32 s1, s1
	v_mov_b32_e32 v14, 0x7f800001
	s_wait_alu 0xfffe
	s_xor_b32 exec_lo, exec_lo, s1
	s_cbranch_execnz .LBB6_604
.LBB6_66:
	s_or_b32 exec_lo, exec_lo, s1
	s_and_saveexec_b32 s1, s0
	s_cbranch_execz .LBB6_68
.LBB6_67:
	v_and_b32_e32 v14, 7, v13
	v_lshrrev_b16 v27, 3, v13
	v_lshrrev_b16 v13, 7, v13
	s_delay_alu instid0(VALU_DEP_3) | instskip(NEXT) | instid1(VALU_DEP_3)
	v_clz_i32_u32_e32 v25, v14
	v_and_b32_e32 v27, 15, v27
	s_delay_alu instid0(VALU_DEP_3) | instskip(NEXT) | instid1(VALU_DEP_3)
	v_lshlrev_b32_e32 v13, 31, v13
	v_min_u32_e32 v25, 32, v25
	s_delay_alu instid0(VALU_DEP_3) | instskip(NEXT) | instid1(VALU_DEP_2)
	v_cmp_eq_u16_e32 vcc_lo, 0, v27
	v_subrev_nc_u32_e32 v26, 28, v25
	v_sub_nc_u32_e32 v25, 29, v25
	s_wait_alu 0xfffd
	s_delay_alu instid0(VALU_DEP_1) | instskip(NEXT) | instid1(VALU_DEP_1)
	v_dual_cndmask_b32 v25, v27, v25 :: v_dual_lshlrev_b32 v26, v26, v14
	v_and_b32_e32 v26, 7, v26
	s_delay_alu instid0(VALU_DEP_2) | instskip(NEXT) | instid1(VALU_DEP_2)
	v_lshl_add_u32 v25, v25, 23, 0x3b800000
	v_cndmask_b32_e32 v14, v14, v26, vcc_lo
	s_delay_alu instid0(VALU_DEP_1) | instskip(NEXT) | instid1(VALU_DEP_1)
	v_lshlrev_b32_e32 v14, 20, v14
	v_or3_b32 v14, v13, v25, v14
.LBB6_68:
	s_wait_alu 0xfffe
	s_or_b32 exec_lo, exec_lo, s1
	v_cvt_pk_rtz_f16_f32_e32 v25, v12, v6
	v_cvt_pk_rtz_f16_f32_e32 v26, v16, v17
	;; [unrolled: 1-line block ×8, first 2 shown]
	s_clause 0x1
	flat_store_b128 v[4:5], v[25:28]
	flat_store_b128 v[4:5], v[17:20] offset:16
	s_clause 0x3
	flat_load_b64 v[12:13], v[0:1] offset:52
	flat_load_b64 v[14:15], v[0:1] offset:16
	flat_load_b32 v9, v[0:1] offset:44
	flat_load_b96 v[6:8], v[0:1]
	s_mov_b32 s0, 0
	s_mov_b32 s1, exec_lo
	s_wait_loadcnt_dscnt 0x303
	v_add_nc_u32_e32 v13, 16, v13
	s_wait_loadcnt_dscnt 0x202
	v_ashrrev_i32_e32 v16, 31, v14
	s_wait_loadcnt_dscnt 0x101
	v_sub_nc_u32_e32 v9, v15, v9
	s_wait_loadcnt_dscnt 0x0
	v_sub_nc_u32_e32 v8, v14, v8
	v_ashrrev_i32_e32 v17, 31, v13
	v_lshrrev_b32_e32 v16, 28, v16
	s_delay_alu instid0(VALU_DEP_3) | instskip(NEXT) | instid1(VALU_DEP_3)
	v_lshl_add_u32 v6, v8, 8, v6
	v_lshrrev_b32_e32 v17, 28, v17
	s_delay_alu instid0(VALU_DEP_3) | instskip(NEXT) | instid1(VALU_DEP_3)
	v_add_nc_u32_e32 v16, v14, v16
	v_sub_nc_u32_e32 v6, v6, v12
	s_delay_alu instid0(VALU_DEP_3) | instskip(NEXT) | instid1(VALU_DEP_3)
	v_add_nc_u32_e32 v17, v13, v17
	v_and_b32_e32 v15, 0xffffff0, v16
	s_delay_alu instid0(VALU_DEP_2) | instskip(NEXT) | instid1(VALU_DEP_2)
	v_lshrrev_b32_e32 v16, 4, v17
	v_sub_nc_u32_e32 v15, v14, v15
	v_and_b32_e32 v14, -16, v17
	s_delay_alu instid0(VALU_DEP_3) | instskip(NEXT) | instid1(VALU_DEP_2)
	v_add_nc_u32_e32 v9, v9, v16
	v_sub_nc_u32_e32 v8, v13, v14
	s_delay_alu instid0(VALU_DEP_2) | instskip(NEXT) | instid1(VALU_DEP_1)
	v_xor_b32_e32 v9, v9, v15
	v_sub_nc_u32_e32 v7, v9, v7
	s_delay_alu instid0(VALU_DEP_1) | instskip(NEXT) | instid1(VALU_DEP_1)
	v_lshlrev_b32_e32 v7, 4, v7
	v_add3_u32 v6, v6, v8, v7
	s_delay_alu instid0(VALU_DEP_1) | instskip(SKIP_2) | instid1(VALU_DEP_2)
	v_ashrrev_i32_e32 v7, 31, v6
	v_add_co_u32 v6, vcc_lo, v10, v6
	s_wait_alu 0xfffd
	v_add_co_ci_u32_e64 v7, null, v11, v7, vcc_lo
	flat_load_b128 v[6:9], v[6:7]
	s_wait_loadcnt_dscnt 0x0
	v_and_b32_e32 v13, 0xff, v6
	s_delay_alu instid0(VALU_DEP_1)
	v_cmpx_lt_i16_e32 0x7f, v13
	s_wait_alu 0xfffe
	s_xor_b32 s1, exec_lo, s1
	s_cbranch_execz .LBB6_72
; %bb.69:
	s_mov_b32 s0, -1
	s_mov_b32 s2, exec_lo
	v_cmpx_eq_u16_e32 0x80, v13
; %bb.70:
	s_xor_b32 s0, exec_lo, -1
; %bb.71:
	s_wait_alu 0xfffe
	s_or_b32 exec_lo, exec_lo, s2
	s_delay_alu instid0(SALU_CYCLE_1)
	s_and_b32 s0, s0, exec_lo
                                        ; implicit-def: $vgpr13
.LBB6_72:
	s_wait_alu 0xfffe
	s_or_saveexec_b32 s1, s1
	v_mov_b32_e32 v12, 0x7f800001
	s_wait_alu 0xfffe
	s_xor_b32 exec_lo, exec_lo, s1
; %bb.73:
	v_cmp_ne_u16_e32 vcc_lo, 0, v13
	v_mov_b32_e32 v12, 0
	s_and_not1_b32 s0, s0, exec_lo
	s_and_b32 s2, vcc_lo, exec_lo
	s_wait_alu 0xfffe
	s_or_b32 s0, s0, s2
; %bb.74:
	s_or_b32 exec_lo, exec_lo, s1
	v_lshrrev_b32_e32 v13, 24, v9
	v_lshrrev_b32_e32 v14, 16, v9
	;; [unrolled: 1-line block ×12, first 2 shown]
	s_wait_alu 0xfffe
	s_and_saveexec_b32 s1, s0
	s_cbranch_execz .LBB6_76
; %bb.75:
	v_lshrrev_b16 v27, 3, v6
	s_delay_alu instid0(VALU_DEP_1) | instskip(NEXT) | instid1(VALU_DEP_1)
	v_and_b32_e32 v27, 15, v27
	v_cmp_eq_u16_e32 vcc_lo, 0, v27
	v_and_b32_e32 v12, 7, v6
	v_lshrrev_b16 v6, 7, v6
	s_delay_alu instid0(VALU_DEP_2) | instskip(NEXT) | instid1(VALU_DEP_2)
	v_clz_i32_u32_e32 v25, v12
	v_lshlrev_b32_e32 v6, 31, v6
	s_delay_alu instid0(VALU_DEP_2) | instskip(NEXT) | instid1(VALU_DEP_1)
	v_min_u32_e32 v25, 32, v25
	v_subrev_nc_u32_e32 v26, 28, v25
	v_sub_nc_u32_e32 v25, 29, v25
	s_wait_alu 0xfffd
	s_delay_alu instid0(VALU_DEP_1) | instskip(NEXT) | instid1(VALU_DEP_1)
	v_dual_cndmask_b32 v25, v27, v25 :: v_dual_lshlrev_b32 v26, v26, v12
	v_lshl_add_u32 v25, v25, 23, 0x3b800000
	s_delay_alu instid0(VALU_DEP_2) | instskip(NEXT) | instid1(VALU_DEP_1)
	v_and_b32_e32 v26, 7, v26
	v_cndmask_b32_e32 v12, v12, v26, vcc_lo
	s_delay_alu instid0(VALU_DEP_1) | instskip(NEXT) | instid1(VALU_DEP_1)
	v_lshlrev_b32_e32 v12, 20, v12
	v_or3_b32 v12, v6, v25, v12
.LBB6_76:
	s_wait_alu 0xfffe
	s_or_b32 exec_lo, exec_lo, s1
	v_and_b32_e32 v25, 0xff, v16
	s_mov_b32 s0, 0
	s_mov_b32 s1, exec_lo
	s_delay_alu instid0(VALU_DEP_1)
	v_cmpx_lt_i16_e32 0x7f, v25
	s_wait_alu 0xfffe
	s_xor_b32 s1, exec_lo, s1
	s_cbranch_execnz .LBB6_605
; %bb.77:
	s_wait_alu 0xfffe
	s_or_saveexec_b32 s1, s1
	v_mov_b32_e32 v6, 0x7f800001
	s_wait_alu 0xfffe
	s_xor_b32 exec_lo, exec_lo, s1
	s_cbranch_execnz .LBB6_608
.LBB6_78:
	s_or_b32 exec_lo, exec_lo, s1
	s_and_saveexec_b32 s1, s0
	s_cbranch_execz .LBB6_80
.LBB6_79:
	v_lshrrev_b16 v27, 3, v16
	s_delay_alu instid0(VALU_DEP_1) | instskip(NEXT) | instid1(VALU_DEP_1)
	v_and_b32_e32 v27, 15, v27
	v_cmp_eq_u16_e32 vcc_lo, 0, v27
	v_and_b32_e32 v6, 7, v16
	v_lshrrev_b16 v16, 7, v16
	s_delay_alu instid0(VALU_DEP_2) | instskip(NEXT) | instid1(VALU_DEP_2)
	v_clz_i32_u32_e32 v25, v6
	v_lshlrev_b32_e32 v16, 31, v16
	s_delay_alu instid0(VALU_DEP_2) | instskip(NEXT) | instid1(VALU_DEP_1)
	v_min_u32_e32 v25, 32, v25
	v_subrev_nc_u32_e32 v26, 28, v25
	v_sub_nc_u32_e32 v25, 29, v25
	s_wait_alu 0xfffd
	s_delay_alu instid0(VALU_DEP_1) | instskip(NEXT) | instid1(VALU_DEP_1)
	v_dual_cndmask_b32 v25, v27, v25 :: v_dual_lshlrev_b32 v26, v26, v6
	v_lshl_add_u32 v25, v25, 23, 0x3b800000
	s_delay_alu instid0(VALU_DEP_2) | instskip(NEXT) | instid1(VALU_DEP_1)
	v_and_b32_e32 v26, 7, v26
	v_cndmask_b32_e32 v6, v6, v26, vcc_lo
	s_delay_alu instid0(VALU_DEP_1) | instskip(NEXT) | instid1(VALU_DEP_1)
	v_lshlrev_b32_e32 v6, 20, v6
	v_or3_b32 v6, v16, v25, v6
.LBB6_80:
	s_wait_alu 0xfffe
	s_or_b32 exec_lo, exec_lo, s1
	v_and_b32_e32 v25, 0xff, v17
	s_mov_b32 s0, 0
	s_mov_b32 s1, exec_lo
	s_delay_alu instid0(VALU_DEP_1)
	v_cmpx_lt_i16_e32 0x7f, v25
	s_wait_alu 0xfffe
	s_xor_b32 s1, exec_lo, s1
	s_cbranch_execnz .LBB6_609
; %bb.81:
	s_wait_alu 0xfffe
	s_or_saveexec_b32 s1, s1
	v_mov_b32_e32 v16, 0x7f800001
	s_wait_alu 0xfffe
	s_xor_b32 exec_lo, exec_lo, s1
	s_cbranch_execnz .LBB6_612
.LBB6_82:
	s_or_b32 exec_lo, exec_lo, s1
	s_and_saveexec_b32 s1, s0
	s_cbranch_execz .LBB6_84
.LBB6_83:
	v_and_b32_e32 v16, 7, v17
	v_lshrrev_b16 v27, 3, v17
	v_lshrrev_b16 v17, 7, v17
	s_delay_alu instid0(VALU_DEP_3) | instskip(NEXT) | instid1(VALU_DEP_3)
	v_clz_i32_u32_e32 v25, v16
	v_and_b32_e32 v27, 15, v27
	s_delay_alu instid0(VALU_DEP_3) | instskip(NEXT) | instid1(VALU_DEP_3)
	v_lshlrev_b32_e32 v17, 31, v17
	v_min_u32_e32 v25, 32, v25
	s_delay_alu instid0(VALU_DEP_3) | instskip(NEXT) | instid1(VALU_DEP_2)
	v_cmp_eq_u16_e32 vcc_lo, 0, v27
	v_subrev_nc_u32_e32 v26, 28, v25
	v_sub_nc_u32_e32 v25, 29, v25
	s_wait_alu 0xfffd
	s_delay_alu instid0(VALU_DEP_1) | instskip(NEXT) | instid1(VALU_DEP_1)
	v_dual_cndmask_b32 v25, v27, v25 :: v_dual_lshlrev_b32 v26, v26, v16
	v_and_b32_e32 v26, 7, v26
	s_delay_alu instid0(VALU_DEP_2) | instskip(NEXT) | instid1(VALU_DEP_2)
	v_lshl_add_u32 v25, v25, 23, 0x3b800000
	v_cndmask_b32_e32 v16, v16, v26, vcc_lo
	s_delay_alu instid0(VALU_DEP_1) | instskip(NEXT) | instid1(VALU_DEP_1)
	v_lshlrev_b32_e32 v16, 20, v16
	v_or3_b32 v16, v17, v25, v16
.LBB6_84:
	s_wait_alu 0xfffe
	s_or_b32 exec_lo, exec_lo, s1
	s_mov_b32 s0, 0
	s_mov_b32 s1, exec_lo
	v_cmpx_lt_i16_e32 0x7f, v18
	s_wait_alu 0xfffe
	s_xor_b32 s1, exec_lo, s1
	s_cbranch_execnz .LBB6_613
; %bb.85:
	s_wait_alu 0xfffe
	s_or_saveexec_b32 s1, s1
	v_mov_b32_e32 v17, 0x7f800001
	s_wait_alu 0xfffe
	s_xor_b32 exec_lo, exec_lo, s1
	s_cbranch_execnz .LBB6_616
.LBB6_86:
	s_or_b32 exec_lo, exec_lo, s1
	s_and_saveexec_b32 s1, s0
	s_cbranch_execz .LBB6_88
.LBB6_87:
	v_and_b32_e32 v17, 7, v18
	v_lshrrev_b16 v27, 3, v18
	v_lshrrev_b16 v18, 7, v18
	s_delay_alu instid0(VALU_DEP_3) | instskip(NEXT) | instid1(VALU_DEP_3)
	v_clz_i32_u32_e32 v25, v17
	v_and_b32_e32 v27, 15, v27
	s_delay_alu instid0(VALU_DEP_3) | instskip(NEXT) | instid1(VALU_DEP_3)
	v_lshlrev_b32_e32 v18, 31, v18
	v_min_u32_e32 v25, 32, v25
	s_delay_alu instid0(VALU_DEP_3) | instskip(NEXT) | instid1(VALU_DEP_2)
	v_cmp_eq_u16_e32 vcc_lo, 0, v27
	v_subrev_nc_u32_e32 v26, 28, v25
	v_sub_nc_u32_e32 v25, 29, v25
	s_delay_alu instid0(VALU_DEP_2) | instskip(SKIP_1) | instid1(VALU_DEP_1)
	v_lshlrev_b32_e32 v26, v26, v17
	s_wait_alu 0xfffd
	v_dual_cndmask_b32 v25, v27, v25 :: v_dual_and_b32 v26, 7, v26
	s_delay_alu instid0(VALU_DEP_1) | instskip(NEXT) | instid1(VALU_DEP_2)
	v_lshl_add_u32 v25, v25, 23, 0x3b800000
	v_cndmask_b32_e32 v17, v17, v26, vcc_lo
	s_delay_alu instid0(VALU_DEP_1) | instskip(NEXT) | instid1(VALU_DEP_1)
	v_lshlrev_b32_e32 v17, 20, v17
	v_or3_b32 v17, v18, v25, v17
.LBB6_88:
	s_wait_alu 0xfffe
	s_or_b32 exec_lo, exec_lo, s1
	v_and_b32_e32 v25, 0xff, v7
	s_mov_b32 s0, 0
	s_mov_b32 s1, exec_lo
	s_delay_alu instid0(VALU_DEP_1)
	v_cmpx_lt_i16_e32 0x7f, v25
	s_wait_alu 0xfffe
	s_xor_b32 s1, exec_lo, s1
	s_cbranch_execnz .LBB6_617
; %bb.89:
	s_wait_alu 0xfffe
	s_or_saveexec_b32 s1, s1
	v_mov_b32_e32 v18, 0x7f800001
	s_wait_alu 0xfffe
	s_xor_b32 exec_lo, exec_lo, s1
	s_cbranch_execnz .LBB6_620
.LBB6_90:
	s_or_b32 exec_lo, exec_lo, s1
	s_and_saveexec_b32 s1, s0
	s_cbranch_execz .LBB6_92
.LBB6_91:
	v_lshrrev_b16 v27, 3, v7
	s_delay_alu instid0(VALU_DEP_1) | instskip(NEXT) | instid1(VALU_DEP_1)
	v_and_b32_e32 v27, 15, v27
	v_cmp_eq_u16_e32 vcc_lo, 0, v27
	v_and_b32_e32 v18, 7, v7
	v_lshrrev_b16 v7, 7, v7
	s_delay_alu instid0(VALU_DEP_2) | instskip(NEXT) | instid1(VALU_DEP_2)
	v_clz_i32_u32_e32 v25, v18
	v_lshlrev_b32_e32 v7, 31, v7
	s_delay_alu instid0(VALU_DEP_2) | instskip(NEXT) | instid1(VALU_DEP_1)
	v_min_u32_e32 v25, 32, v25
	v_subrev_nc_u32_e32 v26, 28, v25
	v_sub_nc_u32_e32 v25, 29, v25
	s_wait_alu 0xfffd
	s_delay_alu instid0(VALU_DEP_1) | instskip(NEXT) | instid1(VALU_DEP_1)
	v_dual_cndmask_b32 v25, v27, v25 :: v_dual_lshlrev_b32 v26, v26, v18
	v_lshl_add_u32 v25, v25, 23, 0x3b800000
	s_delay_alu instid0(VALU_DEP_2) | instskip(NEXT) | instid1(VALU_DEP_1)
	v_and_b32_e32 v26, 7, v26
	v_cndmask_b32_e32 v18, v18, v26, vcc_lo
	s_delay_alu instid0(VALU_DEP_1) | instskip(NEXT) | instid1(VALU_DEP_1)
	v_lshlrev_b32_e32 v18, 20, v18
	v_or3_b32 v18, v7, v25, v18
.LBB6_92:
	s_wait_alu 0xfffe
	s_or_b32 exec_lo, exec_lo, s1
	v_and_b32_e32 v25, 0xff, v21
	s_mov_b32 s0, 0
	s_mov_b32 s1, exec_lo
	s_delay_alu instid0(VALU_DEP_1)
	v_cmpx_lt_i16_e32 0x7f, v25
	s_wait_alu 0xfffe
	s_xor_b32 s1, exec_lo, s1
	s_cbranch_execnz .LBB6_621
; %bb.93:
	s_wait_alu 0xfffe
	s_or_saveexec_b32 s1, s1
	v_mov_b32_e32 v7, 0x7f800001
	s_wait_alu 0xfffe
	s_xor_b32 exec_lo, exec_lo, s1
	s_cbranch_execnz .LBB6_624
.LBB6_94:
	s_or_b32 exec_lo, exec_lo, s1
	s_and_saveexec_b32 s1, s0
	s_cbranch_execz .LBB6_96
.LBB6_95:
	v_and_b32_e32 v7, 7, v21
	v_lshrrev_b16 v27, 3, v21
	v_lshrrev_b16 v21, 7, v21
	s_delay_alu instid0(VALU_DEP_3) | instskip(NEXT) | instid1(VALU_DEP_3)
	v_clz_i32_u32_e32 v25, v7
	v_and_b32_e32 v27, 15, v27
	s_delay_alu instid0(VALU_DEP_3) | instskip(NEXT) | instid1(VALU_DEP_3)
	v_lshlrev_b32_e32 v21, 31, v21
	v_min_u32_e32 v25, 32, v25
	s_delay_alu instid0(VALU_DEP_3) | instskip(NEXT) | instid1(VALU_DEP_2)
	v_cmp_eq_u16_e32 vcc_lo, 0, v27
	v_subrev_nc_u32_e32 v26, 28, v25
	v_sub_nc_u32_e32 v25, 29, v25
	s_wait_alu 0xfffd
	s_delay_alu instid0(VALU_DEP_1) | instskip(NEXT) | instid1(VALU_DEP_1)
	v_dual_cndmask_b32 v25, v27, v25 :: v_dual_lshlrev_b32 v26, v26, v7
	v_and_b32_e32 v26, 7, v26
	s_delay_alu instid0(VALU_DEP_2) | instskip(NEXT) | instid1(VALU_DEP_2)
	v_lshl_add_u32 v25, v25, 23, 0x3b800000
	v_cndmask_b32_e32 v7, v7, v26, vcc_lo
	s_delay_alu instid0(VALU_DEP_1) | instskip(NEXT) | instid1(VALU_DEP_1)
	v_lshlrev_b32_e32 v7, 20, v7
	v_or3_b32 v7, v21, v25, v7
.LBB6_96:
	s_wait_alu 0xfffe
	s_or_b32 exec_lo, exec_lo, s1
	v_and_b32_e32 v25, 0xff, v23
	s_mov_b32 s0, 0
	s_mov_b32 s1, exec_lo
	s_delay_alu instid0(VALU_DEP_1)
	v_cmpx_lt_i16_e32 0x7f, v25
	s_wait_alu 0xfffe
	s_xor_b32 s1, exec_lo, s1
	s_cbranch_execnz .LBB6_625
; %bb.97:
	s_wait_alu 0xfffe
	s_or_saveexec_b32 s1, s1
	v_mov_b32_e32 v21, 0x7f800001
	s_wait_alu 0xfffe
	s_xor_b32 exec_lo, exec_lo, s1
	s_cbranch_execnz .LBB6_628
.LBB6_98:
	s_or_b32 exec_lo, exec_lo, s1
	s_and_saveexec_b32 s1, s0
	s_cbranch_execz .LBB6_100
.LBB6_99:
	v_and_b32_e32 v21, 7, v23
	v_lshrrev_b16 v27, 3, v23
	v_lshrrev_b16 v23, 7, v23
	s_delay_alu instid0(VALU_DEP_3) | instskip(NEXT) | instid1(VALU_DEP_3)
	v_clz_i32_u32_e32 v25, v21
	v_and_b32_e32 v27, 15, v27
	s_delay_alu instid0(VALU_DEP_3) | instskip(NEXT) | instid1(VALU_DEP_3)
	v_lshlrev_b32_e32 v23, 31, v23
	v_min_u32_e32 v25, 32, v25
	s_delay_alu instid0(VALU_DEP_3) | instskip(NEXT) | instid1(VALU_DEP_2)
	v_cmp_eq_u16_e32 vcc_lo, 0, v27
	v_subrev_nc_u32_e32 v26, 28, v25
	v_sub_nc_u32_e32 v25, 29, v25
	s_delay_alu instid0(VALU_DEP_2) | instskip(SKIP_1) | instid1(VALU_DEP_1)
	v_lshlrev_b32_e32 v26, v26, v21
	s_wait_alu 0xfffd
	v_dual_cndmask_b32 v25, v27, v25 :: v_dual_and_b32 v26, 7, v26
	s_delay_alu instid0(VALU_DEP_1) | instskip(NEXT) | instid1(VALU_DEP_2)
	v_lshl_add_u32 v25, v25, 23, 0x3b800000
	v_cndmask_b32_e32 v21, v21, v26, vcc_lo
	s_delay_alu instid0(VALU_DEP_1) | instskip(NEXT) | instid1(VALU_DEP_1)
	v_lshlrev_b32_e32 v21, 20, v21
	v_or3_b32 v21, v23, v25, v21
.LBB6_100:
	s_wait_alu 0xfffe
	s_or_b32 exec_lo, exec_lo, s1
	s_mov_b32 s0, 0
	s_mov_b32 s1, exec_lo
	v_cmpx_lt_i16_e32 0x7f, v24
	s_wait_alu 0xfffe
	s_xor_b32 s1, exec_lo, s1
	s_cbranch_execnz .LBB6_629
; %bb.101:
	s_wait_alu 0xfffe
	s_or_saveexec_b32 s1, s1
	v_mov_b32_e32 v23, 0x7f800001
	s_wait_alu 0xfffe
	s_xor_b32 exec_lo, exec_lo, s1
	s_cbranch_execnz .LBB6_632
.LBB6_102:
	s_or_b32 exec_lo, exec_lo, s1
	s_and_saveexec_b32 s1, s0
	s_cbranch_execz .LBB6_104
.LBB6_103:
	v_and_b32_e32 v23, 7, v24
	v_lshrrev_b16 v27, 3, v24
	v_lshrrev_b16 v24, 7, v24
	s_delay_alu instid0(VALU_DEP_3) | instskip(NEXT) | instid1(VALU_DEP_3)
	v_clz_i32_u32_e32 v25, v23
	v_and_b32_e32 v27, 15, v27
	s_delay_alu instid0(VALU_DEP_3) | instskip(NEXT) | instid1(VALU_DEP_3)
	v_lshlrev_b32_e32 v24, 31, v24
	v_min_u32_e32 v25, 32, v25
	s_delay_alu instid0(VALU_DEP_3) | instskip(NEXT) | instid1(VALU_DEP_2)
	v_cmp_eq_u16_e32 vcc_lo, 0, v27
	v_subrev_nc_u32_e32 v26, 28, v25
	v_sub_nc_u32_e32 v25, 29, v25
	s_wait_alu 0xfffd
	s_delay_alu instid0(VALU_DEP_1) | instskip(NEXT) | instid1(VALU_DEP_1)
	v_dual_cndmask_b32 v25, v27, v25 :: v_dual_lshlrev_b32 v26, v26, v23
	v_and_b32_e32 v26, 7, v26
	s_delay_alu instid0(VALU_DEP_2) | instskip(NEXT) | instid1(VALU_DEP_2)
	v_lshl_add_u32 v25, v25, 23, 0x3b800000
	v_cndmask_b32_e32 v23, v23, v26, vcc_lo
	s_delay_alu instid0(VALU_DEP_1) | instskip(NEXT) | instid1(VALU_DEP_1)
	v_lshlrev_b32_e32 v23, 20, v23
	v_or3_b32 v23, v24, v25, v23
.LBB6_104:
	s_wait_alu 0xfffe
	s_or_b32 exec_lo, exec_lo, s1
	v_and_b32_e32 v25, 0xff, v8
	s_mov_b32 s0, 0
	s_mov_b32 s1, exec_lo
	s_delay_alu instid0(VALU_DEP_1)
	v_cmpx_lt_i16_e32 0x7f, v25
	s_wait_alu 0xfffe
	s_xor_b32 s1, exec_lo, s1
	s_cbranch_execnz .LBB6_633
; %bb.105:
	s_wait_alu 0xfffe
	s_or_saveexec_b32 s1, s1
	v_mov_b32_e32 v24, 0x7f800001
	s_wait_alu 0xfffe
	s_xor_b32 exec_lo, exec_lo, s1
	s_cbranch_execnz .LBB6_636
.LBB6_106:
	s_or_b32 exec_lo, exec_lo, s1
	s_and_saveexec_b32 s1, s0
	s_cbranch_execz .LBB6_108
.LBB6_107:
	v_lshrrev_b16 v27, 3, v8
	s_delay_alu instid0(VALU_DEP_1) | instskip(NEXT) | instid1(VALU_DEP_1)
	v_and_b32_e32 v27, 15, v27
	v_cmp_eq_u16_e32 vcc_lo, 0, v27
	v_and_b32_e32 v24, 7, v8
	v_lshrrev_b16 v8, 7, v8
	s_delay_alu instid0(VALU_DEP_2) | instskip(NEXT) | instid1(VALU_DEP_2)
	v_clz_i32_u32_e32 v25, v24
	v_lshlrev_b32_e32 v8, 31, v8
	s_delay_alu instid0(VALU_DEP_2) | instskip(NEXT) | instid1(VALU_DEP_1)
	v_min_u32_e32 v25, 32, v25
	v_subrev_nc_u32_e32 v26, 28, v25
	v_sub_nc_u32_e32 v25, 29, v25
	s_wait_alu 0xfffd
	s_delay_alu instid0(VALU_DEP_1) | instskip(NEXT) | instid1(VALU_DEP_1)
	v_dual_cndmask_b32 v25, v27, v25 :: v_dual_lshlrev_b32 v26, v26, v24
	v_lshl_add_u32 v25, v25, 23, 0x3b800000
	s_delay_alu instid0(VALU_DEP_2) | instskip(NEXT) | instid1(VALU_DEP_1)
	v_and_b32_e32 v26, 7, v26
	v_cndmask_b32_e32 v24, v24, v26, vcc_lo
	s_delay_alu instid0(VALU_DEP_1) | instskip(NEXT) | instid1(VALU_DEP_1)
	v_lshlrev_b32_e32 v24, 20, v24
	v_or3_b32 v24, v8, v25, v24
.LBB6_108:
	s_wait_alu 0xfffe
	s_or_b32 exec_lo, exec_lo, s1
	v_and_b32_e32 v25, 0xff, v22
	s_mov_b32 s0, 0
	s_mov_b32 s1, exec_lo
	s_delay_alu instid0(VALU_DEP_1)
	v_cmpx_lt_i16_e32 0x7f, v25
	s_wait_alu 0xfffe
	s_xor_b32 s1, exec_lo, s1
	s_cbranch_execnz .LBB6_637
; %bb.109:
	s_wait_alu 0xfffe
	s_or_saveexec_b32 s1, s1
	v_mov_b32_e32 v8, 0x7f800001
	s_wait_alu 0xfffe
	s_xor_b32 exec_lo, exec_lo, s1
	s_cbranch_execnz .LBB6_640
.LBB6_110:
	s_or_b32 exec_lo, exec_lo, s1
	s_and_saveexec_b32 s1, s0
	s_cbranch_execz .LBB6_112
.LBB6_111:
	v_lshrrev_b16 v27, 3, v22
	s_delay_alu instid0(VALU_DEP_1) | instskip(NEXT) | instid1(VALU_DEP_1)
	v_and_b32_e32 v27, 15, v27
	v_cmp_eq_u16_e32 vcc_lo, 0, v27
	v_and_b32_e32 v8, 7, v22
	v_lshrrev_b16 v22, 7, v22
	s_delay_alu instid0(VALU_DEP_2) | instskip(NEXT) | instid1(VALU_DEP_2)
	v_clz_i32_u32_e32 v25, v8
	v_lshlrev_b32_e32 v22, 31, v22
	s_delay_alu instid0(VALU_DEP_2) | instskip(NEXT) | instid1(VALU_DEP_1)
	v_min_u32_e32 v25, 32, v25
	v_subrev_nc_u32_e32 v26, 28, v25
	v_sub_nc_u32_e32 v25, 29, v25
	s_wait_alu 0xfffd
	s_delay_alu instid0(VALU_DEP_1) | instskip(NEXT) | instid1(VALU_DEP_1)
	v_dual_cndmask_b32 v25, v27, v25 :: v_dual_lshlrev_b32 v26, v26, v8
	v_lshl_add_u32 v25, v25, 23, 0x3b800000
	s_delay_alu instid0(VALU_DEP_2) | instskip(NEXT) | instid1(VALU_DEP_1)
	v_and_b32_e32 v26, 7, v26
	v_cndmask_b32_e32 v8, v8, v26, vcc_lo
	s_delay_alu instid0(VALU_DEP_1) | instskip(NEXT) | instid1(VALU_DEP_1)
	v_lshlrev_b32_e32 v8, 20, v8
	v_or3_b32 v8, v22, v25, v8
.LBB6_112:
	s_wait_alu 0xfffe
	s_or_b32 exec_lo, exec_lo, s1
	v_and_b32_e32 v25, 0xff, v20
	s_mov_b32 s0, 0
	s_mov_b32 s1, exec_lo
	s_delay_alu instid0(VALU_DEP_1)
	v_cmpx_lt_i16_e32 0x7f, v25
	s_wait_alu 0xfffe
	s_xor_b32 s1, exec_lo, s1
	s_cbranch_execnz .LBB6_641
; %bb.113:
	s_wait_alu 0xfffe
	s_or_saveexec_b32 s1, s1
	v_mov_b32_e32 v22, 0x7f800001
	s_wait_alu 0xfffe
	s_xor_b32 exec_lo, exec_lo, s1
	s_cbranch_execnz .LBB6_644
.LBB6_114:
	s_or_b32 exec_lo, exec_lo, s1
	s_and_saveexec_b32 s1, s0
	s_cbranch_execz .LBB6_116
.LBB6_115:
	v_lshrrev_b16 v27, 3, v20
	s_delay_alu instid0(VALU_DEP_1) | instskip(NEXT) | instid1(VALU_DEP_1)
	v_and_b32_e32 v27, 15, v27
	v_cmp_eq_u16_e32 vcc_lo, 0, v27
	v_and_b32_e32 v22, 7, v20
	v_lshrrev_b16 v20, 7, v20
	s_delay_alu instid0(VALU_DEP_2) | instskip(NEXT) | instid1(VALU_DEP_2)
	v_clz_i32_u32_e32 v25, v22
	v_lshlrev_b32_e32 v20, 31, v20
	s_delay_alu instid0(VALU_DEP_2) | instskip(NEXT) | instid1(VALU_DEP_1)
	v_min_u32_e32 v25, 32, v25
	v_subrev_nc_u32_e32 v26, 28, v25
	v_sub_nc_u32_e32 v25, 29, v25
	s_wait_alu 0xfffd
	s_delay_alu instid0(VALU_DEP_1) | instskip(NEXT) | instid1(VALU_DEP_1)
	v_dual_cndmask_b32 v25, v27, v25 :: v_dual_lshlrev_b32 v26, v26, v22
	v_lshl_add_u32 v25, v25, 23, 0x3b800000
	s_delay_alu instid0(VALU_DEP_2) | instskip(NEXT) | instid1(VALU_DEP_1)
	v_and_b32_e32 v26, 7, v26
	v_cndmask_b32_e32 v22, v22, v26, vcc_lo
	s_delay_alu instid0(VALU_DEP_1) | instskip(NEXT) | instid1(VALU_DEP_1)
	v_lshlrev_b32_e32 v22, 20, v22
	v_or3_b32 v22, v20, v25, v22
.LBB6_116:
	s_wait_alu 0xfffe
	s_or_b32 exec_lo, exec_lo, s1
	s_mov_b32 s0, 0
	s_mov_b32 s1, exec_lo
	v_cmpx_lt_i16_e32 0x7f, v19
	s_wait_alu 0xfffe
	s_xor_b32 s1, exec_lo, s1
	s_cbranch_execnz .LBB6_645
; %bb.117:
	s_wait_alu 0xfffe
	s_or_saveexec_b32 s1, s1
	v_mov_b32_e32 v20, 0x7f800001
	s_wait_alu 0xfffe
	s_xor_b32 exec_lo, exec_lo, s1
	s_cbranch_execnz .LBB6_648
.LBB6_118:
	s_or_b32 exec_lo, exec_lo, s1
	s_and_saveexec_b32 s1, s0
	s_cbranch_execz .LBB6_120
.LBB6_119:
	v_lshrrev_b16 v27, 3, v19
	s_delay_alu instid0(VALU_DEP_1) | instskip(NEXT) | instid1(VALU_DEP_1)
	v_and_b32_e32 v27, 15, v27
	v_cmp_eq_u16_e32 vcc_lo, 0, v27
	v_and_b32_e32 v20, 7, v19
	v_lshrrev_b16 v19, 7, v19
	s_delay_alu instid0(VALU_DEP_2) | instskip(NEXT) | instid1(VALU_DEP_2)
	v_clz_i32_u32_e32 v25, v20
	v_lshlrev_b32_e32 v19, 31, v19
	s_delay_alu instid0(VALU_DEP_2) | instskip(NEXT) | instid1(VALU_DEP_1)
	v_min_u32_e32 v25, 32, v25
	v_subrev_nc_u32_e32 v26, 28, v25
	v_sub_nc_u32_e32 v25, 29, v25
	s_wait_alu 0xfffd
	s_delay_alu instid0(VALU_DEP_1) | instskip(NEXT) | instid1(VALU_DEP_1)
	v_dual_cndmask_b32 v25, v27, v25 :: v_dual_lshlrev_b32 v26, v26, v20
	v_lshl_add_u32 v25, v25, 23, 0x3b800000
	s_delay_alu instid0(VALU_DEP_2) | instskip(NEXT) | instid1(VALU_DEP_1)
	v_and_b32_e32 v26, 7, v26
	v_cndmask_b32_e32 v20, v20, v26, vcc_lo
	s_delay_alu instid0(VALU_DEP_1) | instskip(NEXT) | instid1(VALU_DEP_1)
	v_lshlrev_b32_e32 v20, 20, v20
	v_or3_b32 v20, v19, v25, v20
.LBB6_120:
	s_wait_alu 0xfffe
	s_or_b32 exec_lo, exec_lo, s1
	v_and_b32_e32 v25, 0xff, v9
	s_mov_b32 s0, 0
	s_mov_b32 s1, exec_lo
	s_delay_alu instid0(VALU_DEP_1)
	v_cmpx_lt_i16_e32 0x7f, v25
	s_wait_alu 0xfffe
	s_xor_b32 s1, exec_lo, s1
	s_cbranch_execnz .LBB6_649
; %bb.121:
	s_wait_alu 0xfffe
	s_or_saveexec_b32 s1, s1
	v_mov_b32_e32 v19, 0x7f800001
	s_wait_alu 0xfffe
	s_xor_b32 exec_lo, exec_lo, s1
	s_cbranch_execnz .LBB6_652
.LBB6_122:
	s_or_b32 exec_lo, exec_lo, s1
	s_and_saveexec_b32 s1, s0
	s_cbranch_execz .LBB6_124
.LBB6_123:
	v_and_b32_e32 v19, 7, v9
	v_lshrrev_b16 v27, 3, v9
	v_lshrrev_b16 v9, 7, v9
	s_delay_alu instid0(VALU_DEP_3) | instskip(NEXT) | instid1(VALU_DEP_3)
	v_clz_i32_u32_e32 v25, v19
	v_and_b32_e32 v27, 15, v27
	s_delay_alu instid0(VALU_DEP_3) | instskip(NEXT) | instid1(VALU_DEP_3)
	v_lshlrev_b32_e32 v9, 31, v9
	v_min_u32_e32 v25, 32, v25
	s_delay_alu instid0(VALU_DEP_3) | instskip(NEXT) | instid1(VALU_DEP_2)
	v_cmp_eq_u16_e32 vcc_lo, 0, v27
	v_subrev_nc_u32_e32 v26, 28, v25
	v_sub_nc_u32_e32 v25, 29, v25
	s_wait_alu 0xfffd
	s_delay_alu instid0(VALU_DEP_1) | instskip(NEXT) | instid1(VALU_DEP_1)
	v_dual_cndmask_b32 v25, v27, v25 :: v_dual_lshlrev_b32 v26, v26, v19
	v_and_b32_e32 v26, 7, v26
	s_delay_alu instid0(VALU_DEP_2) | instskip(NEXT) | instid1(VALU_DEP_2)
	v_lshl_add_u32 v25, v25, 23, 0x3b800000
	v_cndmask_b32_e32 v19, v19, v26, vcc_lo
	s_delay_alu instid0(VALU_DEP_1) | instskip(NEXT) | instid1(VALU_DEP_1)
	v_lshlrev_b32_e32 v19, 20, v19
	v_or3_b32 v19, v9, v25, v19
.LBB6_124:
	s_wait_alu 0xfffe
	s_or_b32 exec_lo, exec_lo, s1
	v_and_b32_e32 v25, 0xff, v15
	s_mov_b32 s0, 0
	s_mov_b32 s1, exec_lo
	s_delay_alu instid0(VALU_DEP_1)
	v_cmpx_lt_i16_e32 0x7f, v25
	s_wait_alu 0xfffe
	s_xor_b32 s1, exec_lo, s1
	s_cbranch_execnz .LBB6_653
; %bb.125:
	s_wait_alu 0xfffe
	s_or_saveexec_b32 s1, s1
	v_mov_b32_e32 v9, 0x7f800001
	s_wait_alu 0xfffe
	s_xor_b32 exec_lo, exec_lo, s1
	s_cbranch_execnz .LBB6_656
.LBB6_126:
	s_or_b32 exec_lo, exec_lo, s1
	s_and_saveexec_b32 s1, s0
	s_cbranch_execz .LBB6_128
.LBB6_127:
	v_and_b32_e32 v9, 7, v15
	v_lshrrev_b16 v27, 3, v15
	v_lshrrev_b16 v15, 7, v15
	s_delay_alu instid0(VALU_DEP_3) | instskip(NEXT) | instid1(VALU_DEP_3)
	v_clz_i32_u32_e32 v25, v9
	v_and_b32_e32 v27, 15, v27
	s_delay_alu instid0(VALU_DEP_3) | instskip(NEXT) | instid1(VALU_DEP_3)
	v_lshlrev_b32_e32 v15, 31, v15
	v_min_u32_e32 v25, 32, v25
	s_delay_alu instid0(VALU_DEP_3) | instskip(NEXT) | instid1(VALU_DEP_2)
	v_cmp_eq_u16_e32 vcc_lo, 0, v27
	v_subrev_nc_u32_e32 v26, 28, v25
	v_sub_nc_u32_e32 v25, 29, v25
	s_delay_alu instid0(VALU_DEP_2) | instskip(SKIP_1) | instid1(VALU_DEP_1)
	v_lshlrev_b32_e32 v26, v26, v9
	s_wait_alu 0xfffd
	v_dual_cndmask_b32 v25, v27, v25 :: v_dual_and_b32 v26, 7, v26
	s_delay_alu instid0(VALU_DEP_1) | instskip(NEXT) | instid1(VALU_DEP_2)
	v_lshl_add_u32 v25, v25, 23, 0x3b800000
	v_cndmask_b32_e32 v9, v9, v26, vcc_lo
	s_delay_alu instid0(VALU_DEP_1) | instskip(NEXT) | instid1(VALU_DEP_1)
	v_lshlrev_b32_e32 v9, 20, v9
	v_or3_b32 v9, v15, v25, v9
.LBB6_128:
	s_wait_alu 0xfffe
	s_or_b32 exec_lo, exec_lo, s1
	v_and_b32_e32 v25, 0xff, v14
	s_mov_b32 s0, 0
	s_mov_b32 s1, exec_lo
	s_delay_alu instid0(VALU_DEP_1)
	v_cmpx_lt_i16_e32 0x7f, v25
	s_wait_alu 0xfffe
	s_xor_b32 s1, exec_lo, s1
	s_cbranch_execnz .LBB6_657
; %bb.129:
	s_wait_alu 0xfffe
	s_or_saveexec_b32 s1, s1
	v_mov_b32_e32 v15, 0x7f800001
	s_wait_alu 0xfffe
	s_xor_b32 exec_lo, exec_lo, s1
	s_cbranch_execnz .LBB6_660
.LBB6_130:
	s_or_b32 exec_lo, exec_lo, s1
	s_and_saveexec_b32 s1, s0
	s_cbranch_execz .LBB6_132
.LBB6_131:
	v_and_b32_e32 v15, 7, v14
	v_lshrrev_b16 v27, 3, v14
	v_lshrrev_b16 v14, 7, v14
	s_delay_alu instid0(VALU_DEP_3) | instskip(NEXT) | instid1(VALU_DEP_3)
	v_clz_i32_u32_e32 v25, v15
	v_and_b32_e32 v27, 15, v27
	s_delay_alu instid0(VALU_DEP_3) | instskip(NEXT) | instid1(VALU_DEP_3)
	v_lshlrev_b32_e32 v14, 31, v14
	v_min_u32_e32 v25, 32, v25
	s_delay_alu instid0(VALU_DEP_3) | instskip(NEXT) | instid1(VALU_DEP_2)
	v_cmp_eq_u16_e32 vcc_lo, 0, v27
	v_subrev_nc_u32_e32 v26, 28, v25
	v_sub_nc_u32_e32 v25, 29, v25
	s_wait_alu 0xfffd
	s_delay_alu instid0(VALU_DEP_1) | instskip(NEXT) | instid1(VALU_DEP_1)
	v_dual_cndmask_b32 v25, v27, v25 :: v_dual_lshlrev_b32 v26, v26, v15
	v_and_b32_e32 v26, 7, v26
	s_delay_alu instid0(VALU_DEP_2) | instskip(NEXT) | instid1(VALU_DEP_2)
	v_lshl_add_u32 v25, v25, 23, 0x3b800000
	v_cndmask_b32_e32 v15, v15, v26, vcc_lo
	s_delay_alu instid0(VALU_DEP_1) | instskip(NEXT) | instid1(VALU_DEP_1)
	v_lshlrev_b32_e32 v15, 20, v15
	v_or3_b32 v15, v14, v25, v15
.LBB6_132:
	s_wait_alu 0xfffe
	s_or_b32 exec_lo, exec_lo, s1
	s_mov_b32 s0, 0
	s_mov_b32 s1, exec_lo
	v_cmpx_lt_i16_e32 0x7f, v13
	s_wait_alu 0xfffe
	s_xor_b32 s1, exec_lo, s1
	s_cbranch_execnz .LBB6_661
; %bb.133:
	s_wait_alu 0xfffe
	s_or_saveexec_b32 s1, s1
	v_mov_b32_e32 v14, 0x7f800001
	s_wait_alu 0xfffe
	s_xor_b32 exec_lo, exec_lo, s1
	s_cbranch_execnz .LBB6_664
.LBB6_134:
	s_or_b32 exec_lo, exec_lo, s1
	s_and_saveexec_b32 s1, s0
	s_cbranch_execz .LBB6_136
.LBB6_135:
	v_and_b32_e32 v14, 7, v13
	v_lshrrev_b16 v27, 3, v13
	v_lshrrev_b16 v13, 7, v13
	s_delay_alu instid0(VALU_DEP_3) | instskip(NEXT) | instid1(VALU_DEP_3)
	v_clz_i32_u32_e32 v25, v14
	v_and_b32_e32 v27, 15, v27
	s_delay_alu instid0(VALU_DEP_3) | instskip(NEXT) | instid1(VALU_DEP_3)
	v_lshlrev_b32_e32 v13, 31, v13
	v_min_u32_e32 v25, 32, v25
	s_delay_alu instid0(VALU_DEP_3) | instskip(NEXT) | instid1(VALU_DEP_2)
	v_cmp_eq_u16_e32 vcc_lo, 0, v27
	v_subrev_nc_u32_e32 v26, 28, v25
	v_sub_nc_u32_e32 v25, 29, v25
	s_wait_alu 0xfffd
	s_delay_alu instid0(VALU_DEP_1) | instskip(NEXT) | instid1(VALU_DEP_1)
	v_dual_cndmask_b32 v25, v27, v25 :: v_dual_lshlrev_b32 v26, v26, v14
	v_and_b32_e32 v26, 7, v26
	s_delay_alu instid0(VALU_DEP_2) | instskip(NEXT) | instid1(VALU_DEP_2)
	v_lshl_add_u32 v25, v25, 23, 0x3b800000
	v_cndmask_b32_e32 v14, v14, v26, vcc_lo
	s_delay_alu instid0(VALU_DEP_1) | instskip(NEXT) | instid1(VALU_DEP_1)
	v_lshlrev_b32_e32 v14, 20, v14
	v_or3_b32 v14, v13, v25, v14
.LBB6_136:
	s_wait_alu 0xfffe
	s_or_b32 exec_lo, exec_lo, s1
	v_cvt_pk_rtz_f16_f32_e32 v25, v12, v6
	v_cvt_pk_rtz_f16_f32_e32 v26, v16, v17
	;; [unrolled: 1-line block ×8, first 2 shown]
	s_clause 0x1
	flat_store_b128 v[4:5], v[25:28] offset:32
	flat_store_b128 v[4:5], v[17:20] offset:48
	s_clause 0x3
	flat_load_b64 v[12:13], v[0:1] offset:52
	flat_load_b64 v[14:15], v[0:1] offset:16
	flat_load_b32 v9, v[0:1] offset:44
	flat_load_b96 v[6:8], v[0:1]
	s_mov_b32 s0, 0
	s_mov_b32 s1, exec_lo
	s_wait_loadcnt_dscnt 0x303
	v_add_nc_u32_e32 v13, 32, v13
	s_wait_loadcnt_dscnt 0x202
	v_ashrrev_i32_e32 v16, 31, v14
	s_wait_loadcnt_dscnt 0x101
	v_sub_nc_u32_e32 v9, v15, v9
	s_wait_loadcnt_dscnt 0x0
	v_sub_nc_u32_e32 v8, v14, v8
	v_ashrrev_i32_e32 v17, 31, v13
	v_lshrrev_b32_e32 v16, 28, v16
	s_delay_alu instid0(VALU_DEP_3) | instskip(NEXT) | instid1(VALU_DEP_3)
	v_lshl_add_u32 v6, v8, 8, v6
	v_lshrrev_b32_e32 v17, 28, v17
	s_delay_alu instid0(VALU_DEP_3) | instskip(NEXT) | instid1(VALU_DEP_3)
	v_add_nc_u32_e32 v16, v14, v16
	v_sub_nc_u32_e32 v6, v6, v12
	s_delay_alu instid0(VALU_DEP_3) | instskip(NEXT) | instid1(VALU_DEP_3)
	v_add_nc_u32_e32 v17, v13, v17
	v_and_b32_e32 v15, 0xffffff0, v16
	s_delay_alu instid0(VALU_DEP_2) | instskip(NEXT) | instid1(VALU_DEP_2)
	v_lshrrev_b32_e32 v16, 4, v17
	v_sub_nc_u32_e32 v15, v14, v15
	v_and_b32_e32 v14, -16, v17
	s_delay_alu instid0(VALU_DEP_3) | instskip(NEXT) | instid1(VALU_DEP_2)
	v_add_nc_u32_e32 v9, v9, v16
	v_sub_nc_u32_e32 v8, v13, v14
	s_delay_alu instid0(VALU_DEP_2) | instskip(NEXT) | instid1(VALU_DEP_1)
	v_xor_b32_e32 v9, v9, v15
	v_sub_nc_u32_e32 v7, v9, v7
	s_delay_alu instid0(VALU_DEP_1) | instskip(NEXT) | instid1(VALU_DEP_1)
	v_lshlrev_b32_e32 v7, 4, v7
	v_add3_u32 v6, v6, v8, v7
	s_delay_alu instid0(VALU_DEP_1) | instskip(SKIP_2) | instid1(VALU_DEP_2)
	v_ashrrev_i32_e32 v7, 31, v6
	v_add_co_u32 v6, vcc_lo, v10, v6
	s_wait_alu 0xfffd
	v_add_co_ci_u32_e64 v7, null, v11, v7, vcc_lo
	flat_load_b128 v[6:9], v[6:7]
	s_wait_loadcnt_dscnt 0x0
	v_and_b32_e32 v13, 0xff, v6
	s_delay_alu instid0(VALU_DEP_1)
	v_cmpx_lt_i16_e32 0x7f, v13
	s_wait_alu 0xfffe
	s_xor_b32 s1, exec_lo, s1
	s_cbranch_execz .LBB6_140
; %bb.137:
	s_mov_b32 s0, -1
	s_mov_b32 s2, exec_lo
	v_cmpx_eq_u16_e32 0x80, v13
; %bb.138:
	s_xor_b32 s0, exec_lo, -1
; %bb.139:
	s_wait_alu 0xfffe
	s_or_b32 exec_lo, exec_lo, s2
	s_delay_alu instid0(SALU_CYCLE_1)
	s_and_b32 s0, s0, exec_lo
                                        ; implicit-def: $vgpr13
.LBB6_140:
	s_wait_alu 0xfffe
	s_or_saveexec_b32 s1, s1
	v_mov_b32_e32 v12, 0x7f800001
	s_wait_alu 0xfffe
	s_xor_b32 exec_lo, exec_lo, s1
; %bb.141:
	v_cmp_ne_u16_e32 vcc_lo, 0, v13
	v_mov_b32_e32 v12, 0
	s_and_not1_b32 s0, s0, exec_lo
	s_and_b32 s2, vcc_lo, exec_lo
	s_wait_alu 0xfffe
	s_or_b32 s0, s0, s2
; %bb.142:
	s_or_b32 exec_lo, exec_lo, s1
	v_lshrrev_b32_e32 v13, 24, v9
	v_lshrrev_b32_e32 v14, 16, v9
	v_lshrrev_b32_e32 v15, 8, v9
	v_lshrrev_b32_e32 v19, 24, v8
	v_lshrrev_b32_e32 v20, 16, v8
	v_lshrrev_b32_e32 v22, 8, v8
	v_lshrrev_b32_e32 v24, 24, v7
	v_lshrrev_b32_e32 v23, 16, v7
	v_lshrrev_b32_e32 v21, 8, v7
	v_lshrrev_b32_e32 v18, 24, v6
	v_lshrrev_b32_e32 v17, 16, v6
	v_lshrrev_b32_e32 v16, 8, v6
	s_wait_alu 0xfffe
	s_and_saveexec_b32 s1, s0
	s_cbranch_execz .LBB6_144
; %bb.143:
	v_lshrrev_b16 v27, 3, v6
	s_delay_alu instid0(VALU_DEP_1) | instskip(NEXT) | instid1(VALU_DEP_1)
	v_and_b32_e32 v27, 15, v27
	v_cmp_eq_u16_e32 vcc_lo, 0, v27
	v_and_b32_e32 v12, 7, v6
	v_lshrrev_b16 v6, 7, v6
	s_delay_alu instid0(VALU_DEP_2) | instskip(NEXT) | instid1(VALU_DEP_2)
	v_clz_i32_u32_e32 v25, v12
	v_lshlrev_b32_e32 v6, 31, v6
	s_delay_alu instid0(VALU_DEP_2) | instskip(NEXT) | instid1(VALU_DEP_1)
	v_min_u32_e32 v25, 32, v25
	v_subrev_nc_u32_e32 v26, 28, v25
	v_sub_nc_u32_e32 v25, 29, v25
	s_wait_alu 0xfffd
	s_delay_alu instid0(VALU_DEP_1) | instskip(NEXT) | instid1(VALU_DEP_1)
	v_dual_cndmask_b32 v25, v27, v25 :: v_dual_lshlrev_b32 v26, v26, v12
	v_lshl_add_u32 v25, v25, 23, 0x3b800000
	s_delay_alu instid0(VALU_DEP_2) | instskip(NEXT) | instid1(VALU_DEP_1)
	v_and_b32_e32 v26, 7, v26
	v_cndmask_b32_e32 v12, v12, v26, vcc_lo
	s_delay_alu instid0(VALU_DEP_1) | instskip(NEXT) | instid1(VALU_DEP_1)
	v_lshlrev_b32_e32 v12, 20, v12
	v_or3_b32 v12, v6, v25, v12
.LBB6_144:
	s_wait_alu 0xfffe
	s_or_b32 exec_lo, exec_lo, s1
	v_and_b32_e32 v25, 0xff, v16
	s_mov_b32 s0, 0
	s_mov_b32 s1, exec_lo
	s_delay_alu instid0(VALU_DEP_1)
	v_cmpx_lt_i16_e32 0x7f, v25
	s_wait_alu 0xfffe
	s_xor_b32 s1, exec_lo, s1
	s_cbranch_execnz .LBB6_665
; %bb.145:
	s_wait_alu 0xfffe
	s_or_saveexec_b32 s1, s1
	v_mov_b32_e32 v6, 0x7f800001
	s_wait_alu 0xfffe
	s_xor_b32 exec_lo, exec_lo, s1
	s_cbranch_execnz .LBB6_668
.LBB6_146:
	s_or_b32 exec_lo, exec_lo, s1
	s_and_saveexec_b32 s1, s0
	s_cbranch_execz .LBB6_148
.LBB6_147:
	v_lshrrev_b16 v27, 3, v16
	s_delay_alu instid0(VALU_DEP_1) | instskip(NEXT) | instid1(VALU_DEP_1)
	v_and_b32_e32 v27, 15, v27
	v_cmp_eq_u16_e32 vcc_lo, 0, v27
	v_and_b32_e32 v6, 7, v16
	v_lshrrev_b16 v16, 7, v16
	s_delay_alu instid0(VALU_DEP_2) | instskip(NEXT) | instid1(VALU_DEP_2)
	v_clz_i32_u32_e32 v25, v6
	v_lshlrev_b32_e32 v16, 31, v16
	s_delay_alu instid0(VALU_DEP_2) | instskip(NEXT) | instid1(VALU_DEP_1)
	v_min_u32_e32 v25, 32, v25
	v_subrev_nc_u32_e32 v26, 28, v25
	v_sub_nc_u32_e32 v25, 29, v25
	s_wait_alu 0xfffd
	s_delay_alu instid0(VALU_DEP_1) | instskip(NEXT) | instid1(VALU_DEP_1)
	v_dual_cndmask_b32 v25, v27, v25 :: v_dual_lshlrev_b32 v26, v26, v6
	v_lshl_add_u32 v25, v25, 23, 0x3b800000
	s_delay_alu instid0(VALU_DEP_2) | instskip(NEXT) | instid1(VALU_DEP_1)
	v_and_b32_e32 v26, 7, v26
	v_cndmask_b32_e32 v6, v6, v26, vcc_lo
	s_delay_alu instid0(VALU_DEP_1) | instskip(NEXT) | instid1(VALU_DEP_1)
	v_lshlrev_b32_e32 v6, 20, v6
	v_or3_b32 v6, v16, v25, v6
.LBB6_148:
	s_wait_alu 0xfffe
	s_or_b32 exec_lo, exec_lo, s1
	v_and_b32_e32 v25, 0xff, v17
	s_mov_b32 s0, 0
	s_mov_b32 s1, exec_lo
	s_delay_alu instid0(VALU_DEP_1)
	v_cmpx_lt_i16_e32 0x7f, v25
	s_wait_alu 0xfffe
	s_xor_b32 s1, exec_lo, s1
	s_cbranch_execnz .LBB6_669
; %bb.149:
	s_wait_alu 0xfffe
	s_or_saveexec_b32 s1, s1
	v_mov_b32_e32 v16, 0x7f800001
	s_wait_alu 0xfffe
	s_xor_b32 exec_lo, exec_lo, s1
	s_cbranch_execnz .LBB6_672
.LBB6_150:
	s_or_b32 exec_lo, exec_lo, s1
	s_and_saveexec_b32 s1, s0
	s_cbranch_execz .LBB6_152
.LBB6_151:
	v_and_b32_e32 v16, 7, v17
	v_lshrrev_b16 v27, 3, v17
	v_lshrrev_b16 v17, 7, v17
	s_delay_alu instid0(VALU_DEP_3) | instskip(NEXT) | instid1(VALU_DEP_3)
	v_clz_i32_u32_e32 v25, v16
	v_and_b32_e32 v27, 15, v27
	s_delay_alu instid0(VALU_DEP_3) | instskip(NEXT) | instid1(VALU_DEP_3)
	v_lshlrev_b32_e32 v17, 31, v17
	v_min_u32_e32 v25, 32, v25
	s_delay_alu instid0(VALU_DEP_3) | instskip(NEXT) | instid1(VALU_DEP_2)
	v_cmp_eq_u16_e32 vcc_lo, 0, v27
	v_subrev_nc_u32_e32 v26, 28, v25
	v_sub_nc_u32_e32 v25, 29, v25
	s_wait_alu 0xfffd
	s_delay_alu instid0(VALU_DEP_1) | instskip(NEXT) | instid1(VALU_DEP_1)
	v_dual_cndmask_b32 v25, v27, v25 :: v_dual_lshlrev_b32 v26, v26, v16
	v_and_b32_e32 v26, 7, v26
	s_delay_alu instid0(VALU_DEP_2) | instskip(NEXT) | instid1(VALU_DEP_2)
	v_lshl_add_u32 v25, v25, 23, 0x3b800000
	v_cndmask_b32_e32 v16, v16, v26, vcc_lo
	s_delay_alu instid0(VALU_DEP_1) | instskip(NEXT) | instid1(VALU_DEP_1)
	v_lshlrev_b32_e32 v16, 20, v16
	v_or3_b32 v16, v17, v25, v16
.LBB6_152:
	s_wait_alu 0xfffe
	s_or_b32 exec_lo, exec_lo, s1
	s_mov_b32 s0, 0
	s_mov_b32 s1, exec_lo
	v_cmpx_lt_i16_e32 0x7f, v18
	s_wait_alu 0xfffe
	s_xor_b32 s1, exec_lo, s1
	s_cbranch_execnz .LBB6_673
; %bb.153:
	s_wait_alu 0xfffe
	s_or_saveexec_b32 s1, s1
	v_mov_b32_e32 v17, 0x7f800001
	s_wait_alu 0xfffe
	s_xor_b32 exec_lo, exec_lo, s1
	s_cbranch_execnz .LBB6_676
.LBB6_154:
	s_or_b32 exec_lo, exec_lo, s1
	s_and_saveexec_b32 s1, s0
	s_cbranch_execz .LBB6_156
.LBB6_155:
	v_and_b32_e32 v17, 7, v18
	v_lshrrev_b16 v27, 3, v18
	v_lshrrev_b16 v18, 7, v18
	s_delay_alu instid0(VALU_DEP_3) | instskip(NEXT) | instid1(VALU_DEP_3)
	v_clz_i32_u32_e32 v25, v17
	v_and_b32_e32 v27, 15, v27
	s_delay_alu instid0(VALU_DEP_3) | instskip(NEXT) | instid1(VALU_DEP_3)
	v_lshlrev_b32_e32 v18, 31, v18
	v_min_u32_e32 v25, 32, v25
	s_delay_alu instid0(VALU_DEP_3) | instskip(NEXT) | instid1(VALU_DEP_2)
	v_cmp_eq_u16_e32 vcc_lo, 0, v27
	v_subrev_nc_u32_e32 v26, 28, v25
	v_sub_nc_u32_e32 v25, 29, v25
	s_delay_alu instid0(VALU_DEP_2) | instskip(SKIP_1) | instid1(VALU_DEP_1)
	v_lshlrev_b32_e32 v26, v26, v17
	s_wait_alu 0xfffd
	v_dual_cndmask_b32 v25, v27, v25 :: v_dual_and_b32 v26, 7, v26
	s_delay_alu instid0(VALU_DEP_1) | instskip(NEXT) | instid1(VALU_DEP_2)
	v_lshl_add_u32 v25, v25, 23, 0x3b800000
	v_cndmask_b32_e32 v17, v17, v26, vcc_lo
	s_delay_alu instid0(VALU_DEP_1) | instskip(NEXT) | instid1(VALU_DEP_1)
	v_lshlrev_b32_e32 v17, 20, v17
	v_or3_b32 v17, v18, v25, v17
.LBB6_156:
	s_wait_alu 0xfffe
	s_or_b32 exec_lo, exec_lo, s1
	v_and_b32_e32 v25, 0xff, v7
	s_mov_b32 s0, 0
	s_mov_b32 s1, exec_lo
	s_delay_alu instid0(VALU_DEP_1)
	v_cmpx_lt_i16_e32 0x7f, v25
	s_wait_alu 0xfffe
	s_xor_b32 s1, exec_lo, s1
	s_cbranch_execnz .LBB6_677
; %bb.157:
	s_wait_alu 0xfffe
	s_or_saveexec_b32 s1, s1
	v_mov_b32_e32 v18, 0x7f800001
	s_wait_alu 0xfffe
	s_xor_b32 exec_lo, exec_lo, s1
	s_cbranch_execnz .LBB6_680
.LBB6_158:
	s_or_b32 exec_lo, exec_lo, s1
	s_and_saveexec_b32 s1, s0
	s_cbranch_execz .LBB6_160
.LBB6_159:
	v_lshrrev_b16 v27, 3, v7
	s_delay_alu instid0(VALU_DEP_1) | instskip(NEXT) | instid1(VALU_DEP_1)
	v_and_b32_e32 v27, 15, v27
	v_cmp_eq_u16_e32 vcc_lo, 0, v27
	v_and_b32_e32 v18, 7, v7
	v_lshrrev_b16 v7, 7, v7
	s_delay_alu instid0(VALU_DEP_2) | instskip(NEXT) | instid1(VALU_DEP_2)
	v_clz_i32_u32_e32 v25, v18
	v_lshlrev_b32_e32 v7, 31, v7
	s_delay_alu instid0(VALU_DEP_2) | instskip(NEXT) | instid1(VALU_DEP_1)
	v_min_u32_e32 v25, 32, v25
	v_subrev_nc_u32_e32 v26, 28, v25
	v_sub_nc_u32_e32 v25, 29, v25
	s_wait_alu 0xfffd
	s_delay_alu instid0(VALU_DEP_1) | instskip(NEXT) | instid1(VALU_DEP_1)
	v_dual_cndmask_b32 v25, v27, v25 :: v_dual_lshlrev_b32 v26, v26, v18
	v_lshl_add_u32 v25, v25, 23, 0x3b800000
	s_delay_alu instid0(VALU_DEP_2) | instskip(NEXT) | instid1(VALU_DEP_1)
	v_and_b32_e32 v26, 7, v26
	v_cndmask_b32_e32 v18, v18, v26, vcc_lo
	s_delay_alu instid0(VALU_DEP_1) | instskip(NEXT) | instid1(VALU_DEP_1)
	v_lshlrev_b32_e32 v18, 20, v18
	v_or3_b32 v18, v7, v25, v18
.LBB6_160:
	s_wait_alu 0xfffe
	s_or_b32 exec_lo, exec_lo, s1
	v_and_b32_e32 v25, 0xff, v21
	s_mov_b32 s0, 0
	s_mov_b32 s1, exec_lo
	s_delay_alu instid0(VALU_DEP_1)
	v_cmpx_lt_i16_e32 0x7f, v25
	s_wait_alu 0xfffe
	s_xor_b32 s1, exec_lo, s1
	s_cbranch_execnz .LBB6_681
; %bb.161:
	s_wait_alu 0xfffe
	s_or_saveexec_b32 s1, s1
	v_mov_b32_e32 v7, 0x7f800001
	s_wait_alu 0xfffe
	s_xor_b32 exec_lo, exec_lo, s1
	s_cbranch_execnz .LBB6_684
.LBB6_162:
	s_or_b32 exec_lo, exec_lo, s1
	s_and_saveexec_b32 s1, s0
	s_cbranch_execz .LBB6_164
.LBB6_163:
	v_and_b32_e32 v7, 7, v21
	v_lshrrev_b16 v27, 3, v21
	v_lshrrev_b16 v21, 7, v21
	s_delay_alu instid0(VALU_DEP_3) | instskip(NEXT) | instid1(VALU_DEP_3)
	v_clz_i32_u32_e32 v25, v7
	v_and_b32_e32 v27, 15, v27
	s_delay_alu instid0(VALU_DEP_3) | instskip(NEXT) | instid1(VALU_DEP_3)
	v_lshlrev_b32_e32 v21, 31, v21
	v_min_u32_e32 v25, 32, v25
	s_delay_alu instid0(VALU_DEP_3) | instskip(NEXT) | instid1(VALU_DEP_2)
	v_cmp_eq_u16_e32 vcc_lo, 0, v27
	v_subrev_nc_u32_e32 v26, 28, v25
	v_sub_nc_u32_e32 v25, 29, v25
	s_wait_alu 0xfffd
	s_delay_alu instid0(VALU_DEP_1) | instskip(NEXT) | instid1(VALU_DEP_1)
	v_dual_cndmask_b32 v25, v27, v25 :: v_dual_lshlrev_b32 v26, v26, v7
	v_and_b32_e32 v26, 7, v26
	s_delay_alu instid0(VALU_DEP_2) | instskip(NEXT) | instid1(VALU_DEP_2)
	v_lshl_add_u32 v25, v25, 23, 0x3b800000
	v_cndmask_b32_e32 v7, v7, v26, vcc_lo
	s_delay_alu instid0(VALU_DEP_1) | instskip(NEXT) | instid1(VALU_DEP_1)
	v_lshlrev_b32_e32 v7, 20, v7
	v_or3_b32 v7, v21, v25, v7
.LBB6_164:
	s_wait_alu 0xfffe
	s_or_b32 exec_lo, exec_lo, s1
	v_and_b32_e32 v25, 0xff, v23
	s_mov_b32 s0, 0
	s_mov_b32 s1, exec_lo
	s_delay_alu instid0(VALU_DEP_1)
	v_cmpx_lt_i16_e32 0x7f, v25
	s_wait_alu 0xfffe
	s_xor_b32 s1, exec_lo, s1
	s_cbranch_execnz .LBB6_685
; %bb.165:
	s_wait_alu 0xfffe
	s_or_saveexec_b32 s1, s1
	v_mov_b32_e32 v21, 0x7f800001
	s_wait_alu 0xfffe
	s_xor_b32 exec_lo, exec_lo, s1
	s_cbranch_execnz .LBB6_688
.LBB6_166:
	s_or_b32 exec_lo, exec_lo, s1
	s_and_saveexec_b32 s1, s0
	s_cbranch_execz .LBB6_168
.LBB6_167:
	v_and_b32_e32 v21, 7, v23
	v_lshrrev_b16 v27, 3, v23
	v_lshrrev_b16 v23, 7, v23
	s_delay_alu instid0(VALU_DEP_3) | instskip(NEXT) | instid1(VALU_DEP_3)
	v_clz_i32_u32_e32 v25, v21
	v_and_b32_e32 v27, 15, v27
	s_delay_alu instid0(VALU_DEP_3) | instskip(NEXT) | instid1(VALU_DEP_3)
	v_lshlrev_b32_e32 v23, 31, v23
	v_min_u32_e32 v25, 32, v25
	s_delay_alu instid0(VALU_DEP_3) | instskip(NEXT) | instid1(VALU_DEP_2)
	v_cmp_eq_u16_e32 vcc_lo, 0, v27
	v_subrev_nc_u32_e32 v26, 28, v25
	v_sub_nc_u32_e32 v25, 29, v25
	s_delay_alu instid0(VALU_DEP_2) | instskip(SKIP_1) | instid1(VALU_DEP_1)
	v_lshlrev_b32_e32 v26, v26, v21
	s_wait_alu 0xfffd
	v_dual_cndmask_b32 v25, v27, v25 :: v_dual_and_b32 v26, 7, v26
	s_delay_alu instid0(VALU_DEP_1) | instskip(NEXT) | instid1(VALU_DEP_2)
	v_lshl_add_u32 v25, v25, 23, 0x3b800000
	v_cndmask_b32_e32 v21, v21, v26, vcc_lo
	s_delay_alu instid0(VALU_DEP_1) | instskip(NEXT) | instid1(VALU_DEP_1)
	v_lshlrev_b32_e32 v21, 20, v21
	v_or3_b32 v21, v23, v25, v21
.LBB6_168:
	s_wait_alu 0xfffe
	s_or_b32 exec_lo, exec_lo, s1
	s_mov_b32 s0, 0
	s_mov_b32 s1, exec_lo
	v_cmpx_lt_i16_e32 0x7f, v24
	s_wait_alu 0xfffe
	s_xor_b32 s1, exec_lo, s1
	s_cbranch_execnz .LBB6_689
; %bb.169:
	s_wait_alu 0xfffe
	s_or_saveexec_b32 s1, s1
	v_mov_b32_e32 v23, 0x7f800001
	s_wait_alu 0xfffe
	s_xor_b32 exec_lo, exec_lo, s1
	s_cbranch_execnz .LBB6_692
.LBB6_170:
	s_or_b32 exec_lo, exec_lo, s1
	s_and_saveexec_b32 s1, s0
	s_cbranch_execz .LBB6_172
.LBB6_171:
	v_and_b32_e32 v23, 7, v24
	v_lshrrev_b16 v27, 3, v24
	v_lshrrev_b16 v24, 7, v24
	s_delay_alu instid0(VALU_DEP_3) | instskip(NEXT) | instid1(VALU_DEP_3)
	v_clz_i32_u32_e32 v25, v23
	v_and_b32_e32 v27, 15, v27
	s_delay_alu instid0(VALU_DEP_3) | instskip(NEXT) | instid1(VALU_DEP_3)
	v_lshlrev_b32_e32 v24, 31, v24
	v_min_u32_e32 v25, 32, v25
	s_delay_alu instid0(VALU_DEP_3) | instskip(NEXT) | instid1(VALU_DEP_2)
	v_cmp_eq_u16_e32 vcc_lo, 0, v27
	v_subrev_nc_u32_e32 v26, 28, v25
	v_sub_nc_u32_e32 v25, 29, v25
	s_wait_alu 0xfffd
	s_delay_alu instid0(VALU_DEP_1) | instskip(NEXT) | instid1(VALU_DEP_1)
	v_dual_cndmask_b32 v25, v27, v25 :: v_dual_lshlrev_b32 v26, v26, v23
	v_and_b32_e32 v26, 7, v26
	s_delay_alu instid0(VALU_DEP_2) | instskip(NEXT) | instid1(VALU_DEP_2)
	v_lshl_add_u32 v25, v25, 23, 0x3b800000
	v_cndmask_b32_e32 v23, v23, v26, vcc_lo
	s_delay_alu instid0(VALU_DEP_1) | instskip(NEXT) | instid1(VALU_DEP_1)
	v_lshlrev_b32_e32 v23, 20, v23
	v_or3_b32 v23, v24, v25, v23
.LBB6_172:
	s_wait_alu 0xfffe
	s_or_b32 exec_lo, exec_lo, s1
	v_and_b32_e32 v25, 0xff, v8
	s_mov_b32 s0, 0
	s_mov_b32 s1, exec_lo
	s_delay_alu instid0(VALU_DEP_1)
	v_cmpx_lt_i16_e32 0x7f, v25
	s_wait_alu 0xfffe
	s_xor_b32 s1, exec_lo, s1
	s_cbranch_execnz .LBB6_693
; %bb.173:
	s_wait_alu 0xfffe
	s_or_saveexec_b32 s1, s1
	v_mov_b32_e32 v24, 0x7f800001
	s_wait_alu 0xfffe
	s_xor_b32 exec_lo, exec_lo, s1
	s_cbranch_execnz .LBB6_696
.LBB6_174:
	s_or_b32 exec_lo, exec_lo, s1
	s_and_saveexec_b32 s1, s0
	s_cbranch_execz .LBB6_176
.LBB6_175:
	v_lshrrev_b16 v27, 3, v8
	s_delay_alu instid0(VALU_DEP_1) | instskip(NEXT) | instid1(VALU_DEP_1)
	v_and_b32_e32 v27, 15, v27
	v_cmp_eq_u16_e32 vcc_lo, 0, v27
	v_and_b32_e32 v24, 7, v8
	v_lshrrev_b16 v8, 7, v8
	s_delay_alu instid0(VALU_DEP_2) | instskip(NEXT) | instid1(VALU_DEP_2)
	v_clz_i32_u32_e32 v25, v24
	v_lshlrev_b32_e32 v8, 31, v8
	s_delay_alu instid0(VALU_DEP_2) | instskip(NEXT) | instid1(VALU_DEP_1)
	v_min_u32_e32 v25, 32, v25
	v_subrev_nc_u32_e32 v26, 28, v25
	v_sub_nc_u32_e32 v25, 29, v25
	s_wait_alu 0xfffd
	s_delay_alu instid0(VALU_DEP_1) | instskip(NEXT) | instid1(VALU_DEP_1)
	v_dual_cndmask_b32 v25, v27, v25 :: v_dual_lshlrev_b32 v26, v26, v24
	v_lshl_add_u32 v25, v25, 23, 0x3b800000
	s_delay_alu instid0(VALU_DEP_2) | instskip(NEXT) | instid1(VALU_DEP_1)
	v_and_b32_e32 v26, 7, v26
	v_cndmask_b32_e32 v24, v24, v26, vcc_lo
	s_delay_alu instid0(VALU_DEP_1) | instskip(NEXT) | instid1(VALU_DEP_1)
	v_lshlrev_b32_e32 v24, 20, v24
	v_or3_b32 v24, v8, v25, v24
.LBB6_176:
	s_wait_alu 0xfffe
	s_or_b32 exec_lo, exec_lo, s1
	v_and_b32_e32 v25, 0xff, v22
	s_mov_b32 s0, 0
	s_mov_b32 s1, exec_lo
	s_delay_alu instid0(VALU_DEP_1)
	v_cmpx_lt_i16_e32 0x7f, v25
	s_wait_alu 0xfffe
	s_xor_b32 s1, exec_lo, s1
	s_cbranch_execnz .LBB6_697
; %bb.177:
	s_wait_alu 0xfffe
	s_or_saveexec_b32 s1, s1
	v_mov_b32_e32 v8, 0x7f800001
	s_wait_alu 0xfffe
	s_xor_b32 exec_lo, exec_lo, s1
	s_cbranch_execnz .LBB6_700
.LBB6_178:
	s_or_b32 exec_lo, exec_lo, s1
	s_and_saveexec_b32 s1, s0
	s_cbranch_execz .LBB6_180
.LBB6_179:
	v_lshrrev_b16 v27, 3, v22
	s_delay_alu instid0(VALU_DEP_1) | instskip(NEXT) | instid1(VALU_DEP_1)
	v_and_b32_e32 v27, 15, v27
	v_cmp_eq_u16_e32 vcc_lo, 0, v27
	v_and_b32_e32 v8, 7, v22
	v_lshrrev_b16 v22, 7, v22
	s_delay_alu instid0(VALU_DEP_2) | instskip(NEXT) | instid1(VALU_DEP_2)
	v_clz_i32_u32_e32 v25, v8
	v_lshlrev_b32_e32 v22, 31, v22
	s_delay_alu instid0(VALU_DEP_2) | instskip(NEXT) | instid1(VALU_DEP_1)
	v_min_u32_e32 v25, 32, v25
	v_subrev_nc_u32_e32 v26, 28, v25
	v_sub_nc_u32_e32 v25, 29, v25
	s_wait_alu 0xfffd
	s_delay_alu instid0(VALU_DEP_1) | instskip(NEXT) | instid1(VALU_DEP_1)
	v_dual_cndmask_b32 v25, v27, v25 :: v_dual_lshlrev_b32 v26, v26, v8
	v_lshl_add_u32 v25, v25, 23, 0x3b800000
	s_delay_alu instid0(VALU_DEP_2) | instskip(NEXT) | instid1(VALU_DEP_1)
	v_and_b32_e32 v26, 7, v26
	v_cndmask_b32_e32 v8, v8, v26, vcc_lo
	s_delay_alu instid0(VALU_DEP_1) | instskip(NEXT) | instid1(VALU_DEP_1)
	v_lshlrev_b32_e32 v8, 20, v8
	v_or3_b32 v8, v22, v25, v8
.LBB6_180:
	s_wait_alu 0xfffe
	s_or_b32 exec_lo, exec_lo, s1
	v_and_b32_e32 v25, 0xff, v20
	s_mov_b32 s0, 0
	s_mov_b32 s1, exec_lo
	s_delay_alu instid0(VALU_DEP_1)
	v_cmpx_lt_i16_e32 0x7f, v25
	s_wait_alu 0xfffe
	s_xor_b32 s1, exec_lo, s1
	s_cbranch_execnz .LBB6_701
; %bb.181:
	s_wait_alu 0xfffe
	s_or_saveexec_b32 s1, s1
	v_mov_b32_e32 v22, 0x7f800001
	s_wait_alu 0xfffe
	s_xor_b32 exec_lo, exec_lo, s1
	s_cbranch_execnz .LBB6_704
.LBB6_182:
	s_or_b32 exec_lo, exec_lo, s1
	s_and_saveexec_b32 s1, s0
	s_cbranch_execz .LBB6_184
.LBB6_183:
	v_lshrrev_b16 v27, 3, v20
	s_delay_alu instid0(VALU_DEP_1) | instskip(NEXT) | instid1(VALU_DEP_1)
	v_and_b32_e32 v27, 15, v27
	v_cmp_eq_u16_e32 vcc_lo, 0, v27
	v_and_b32_e32 v22, 7, v20
	v_lshrrev_b16 v20, 7, v20
	s_delay_alu instid0(VALU_DEP_2) | instskip(NEXT) | instid1(VALU_DEP_2)
	v_clz_i32_u32_e32 v25, v22
	v_lshlrev_b32_e32 v20, 31, v20
	s_delay_alu instid0(VALU_DEP_2) | instskip(NEXT) | instid1(VALU_DEP_1)
	v_min_u32_e32 v25, 32, v25
	v_subrev_nc_u32_e32 v26, 28, v25
	v_sub_nc_u32_e32 v25, 29, v25
	s_wait_alu 0xfffd
	s_delay_alu instid0(VALU_DEP_1) | instskip(NEXT) | instid1(VALU_DEP_1)
	v_dual_cndmask_b32 v25, v27, v25 :: v_dual_lshlrev_b32 v26, v26, v22
	v_lshl_add_u32 v25, v25, 23, 0x3b800000
	s_delay_alu instid0(VALU_DEP_2) | instskip(NEXT) | instid1(VALU_DEP_1)
	v_and_b32_e32 v26, 7, v26
	v_cndmask_b32_e32 v22, v22, v26, vcc_lo
	s_delay_alu instid0(VALU_DEP_1) | instskip(NEXT) | instid1(VALU_DEP_1)
	v_lshlrev_b32_e32 v22, 20, v22
	v_or3_b32 v22, v20, v25, v22
.LBB6_184:
	s_wait_alu 0xfffe
	s_or_b32 exec_lo, exec_lo, s1
	s_mov_b32 s0, 0
	s_mov_b32 s1, exec_lo
	v_cmpx_lt_i16_e32 0x7f, v19
	s_wait_alu 0xfffe
	s_xor_b32 s1, exec_lo, s1
	s_cbranch_execnz .LBB6_705
; %bb.185:
	s_wait_alu 0xfffe
	s_or_saveexec_b32 s1, s1
	v_mov_b32_e32 v20, 0x7f800001
	s_wait_alu 0xfffe
	s_xor_b32 exec_lo, exec_lo, s1
	s_cbranch_execnz .LBB6_708
.LBB6_186:
	s_or_b32 exec_lo, exec_lo, s1
	s_and_saveexec_b32 s1, s0
	s_cbranch_execz .LBB6_188
.LBB6_187:
	v_lshrrev_b16 v27, 3, v19
	s_delay_alu instid0(VALU_DEP_1) | instskip(NEXT) | instid1(VALU_DEP_1)
	v_and_b32_e32 v27, 15, v27
	v_cmp_eq_u16_e32 vcc_lo, 0, v27
	v_and_b32_e32 v20, 7, v19
	v_lshrrev_b16 v19, 7, v19
	s_delay_alu instid0(VALU_DEP_2) | instskip(NEXT) | instid1(VALU_DEP_2)
	v_clz_i32_u32_e32 v25, v20
	v_lshlrev_b32_e32 v19, 31, v19
	s_delay_alu instid0(VALU_DEP_2) | instskip(NEXT) | instid1(VALU_DEP_1)
	v_min_u32_e32 v25, 32, v25
	v_subrev_nc_u32_e32 v26, 28, v25
	v_sub_nc_u32_e32 v25, 29, v25
	s_wait_alu 0xfffd
	s_delay_alu instid0(VALU_DEP_1) | instskip(NEXT) | instid1(VALU_DEP_1)
	v_dual_cndmask_b32 v25, v27, v25 :: v_dual_lshlrev_b32 v26, v26, v20
	v_lshl_add_u32 v25, v25, 23, 0x3b800000
	s_delay_alu instid0(VALU_DEP_2) | instskip(NEXT) | instid1(VALU_DEP_1)
	v_and_b32_e32 v26, 7, v26
	v_cndmask_b32_e32 v20, v20, v26, vcc_lo
	s_delay_alu instid0(VALU_DEP_1) | instskip(NEXT) | instid1(VALU_DEP_1)
	v_lshlrev_b32_e32 v20, 20, v20
	v_or3_b32 v20, v19, v25, v20
.LBB6_188:
	s_wait_alu 0xfffe
	s_or_b32 exec_lo, exec_lo, s1
	v_and_b32_e32 v25, 0xff, v9
	s_mov_b32 s0, 0
	s_mov_b32 s1, exec_lo
	s_delay_alu instid0(VALU_DEP_1)
	v_cmpx_lt_i16_e32 0x7f, v25
	s_wait_alu 0xfffe
	s_xor_b32 s1, exec_lo, s1
	s_cbranch_execnz .LBB6_709
; %bb.189:
	s_wait_alu 0xfffe
	s_or_saveexec_b32 s1, s1
	v_mov_b32_e32 v19, 0x7f800001
	s_wait_alu 0xfffe
	s_xor_b32 exec_lo, exec_lo, s1
	s_cbranch_execnz .LBB6_712
.LBB6_190:
	s_or_b32 exec_lo, exec_lo, s1
	s_and_saveexec_b32 s1, s0
	s_cbranch_execz .LBB6_192
.LBB6_191:
	v_and_b32_e32 v19, 7, v9
	v_lshrrev_b16 v27, 3, v9
	v_lshrrev_b16 v9, 7, v9
	s_delay_alu instid0(VALU_DEP_3) | instskip(NEXT) | instid1(VALU_DEP_3)
	v_clz_i32_u32_e32 v25, v19
	v_and_b32_e32 v27, 15, v27
	s_delay_alu instid0(VALU_DEP_3) | instskip(NEXT) | instid1(VALU_DEP_3)
	v_lshlrev_b32_e32 v9, 31, v9
	v_min_u32_e32 v25, 32, v25
	s_delay_alu instid0(VALU_DEP_3) | instskip(NEXT) | instid1(VALU_DEP_2)
	v_cmp_eq_u16_e32 vcc_lo, 0, v27
	v_subrev_nc_u32_e32 v26, 28, v25
	v_sub_nc_u32_e32 v25, 29, v25
	s_wait_alu 0xfffd
	s_delay_alu instid0(VALU_DEP_1) | instskip(NEXT) | instid1(VALU_DEP_1)
	v_dual_cndmask_b32 v25, v27, v25 :: v_dual_lshlrev_b32 v26, v26, v19
	v_and_b32_e32 v26, 7, v26
	s_delay_alu instid0(VALU_DEP_2) | instskip(NEXT) | instid1(VALU_DEP_2)
	v_lshl_add_u32 v25, v25, 23, 0x3b800000
	v_cndmask_b32_e32 v19, v19, v26, vcc_lo
	s_delay_alu instid0(VALU_DEP_1) | instskip(NEXT) | instid1(VALU_DEP_1)
	v_lshlrev_b32_e32 v19, 20, v19
	v_or3_b32 v19, v9, v25, v19
.LBB6_192:
	s_wait_alu 0xfffe
	s_or_b32 exec_lo, exec_lo, s1
	v_and_b32_e32 v25, 0xff, v15
	s_mov_b32 s0, 0
	s_mov_b32 s1, exec_lo
	s_delay_alu instid0(VALU_DEP_1)
	v_cmpx_lt_i16_e32 0x7f, v25
	s_wait_alu 0xfffe
	s_xor_b32 s1, exec_lo, s1
	s_cbranch_execnz .LBB6_713
; %bb.193:
	s_wait_alu 0xfffe
	s_or_saveexec_b32 s1, s1
	v_mov_b32_e32 v9, 0x7f800001
	s_wait_alu 0xfffe
	s_xor_b32 exec_lo, exec_lo, s1
	s_cbranch_execnz .LBB6_716
.LBB6_194:
	s_or_b32 exec_lo, exec_lo, s1
	s_and_saveexec_b32 s1, s0
	s_cbranch_execz .LBB6_196
.LBB6_195:
	v_and_b32_e32 v9, 7, v15
	v_lshrrev_b16 v27, 3, v15
	v_lshrrev_b16 v15, 7, v15
	s_delay_alu instid0(VALU_DEP_3) | instskip(NEXT) | instid1(VALU_DEP_3)
	v_clz_i32_u32_e32 v25, v9
	v_and_b32_e32 v27, 15, v27
	s_delay_alu instid0(VALU_DEP_3) | instskip(NEXT) | instid1(VALU_DEP_3)
	v_lshlrev_b32_e32 v15, 31, v15
	v_min_u32_e32 v25, 32, v25
	s_delay_alu instid0(VALU_DEP_3) | instskip(NEXT) | instid1(VALU_DEP_2)
	v_cmp_eq_u16_e32 vcc_lo, 0, v27
	v_subrev_nc_u32_e32 v26, 28, v25
	v_sub_nc_u32_e32 v25, 29, v25
	s_delay_alu instid0(VALU_DEP_2) | instskip(SKIP_1) | instid1(VALU_DEP_1)
	v_lshlrev_b32_e32 v26, v26, v9
	s_wait_alu 0xfffd
	v_dual_cndmask_b32 v25, v27, v25 :: v_dual_and_b32 v26, 7, v26
	s_delay_alu instid0(VALU_DEP_1) | instskip(NEXT) | instid1(VALU_DEP_2)
	v_lshl_add_u32 v25, v25, 23, 0x3b800000
	v_cndmask_b32_e32 v9, v9, v26, vcc_lo
	s_delay_alu instid0(VALU_DEP_1) | instskip(NEXT) | instid1(VALU_DEP_1)
	v_lshlrev_b32_e32 v9, 20, v9
	v_or3_b32 v9, v15, v25, v9
.LBB6_196:
	s_wait_alu 0xfffe
	s_or_b32 exec_lo, exec_lo, s1
	v_and_b32_e32 v25, 0xff, v14
	s_mov_b32 s0, 0
	s_mov_b32 s1, exec_lo
	s_delay_alu instid0(VALU_DEP_1)
	v_cmpx_lt_i16_e32 0x7f, v25
	s_wait_alu 0xfffe
	s_xor_b32 s1, exec_lo, s1
	s_cbranch_execnz .LBB6_717
; %bb.197:
	s_wait_alu 0xfffe
	s_or_saveexec_b32 s1, s1
	v_mov_b32_e32 v15, 0x7f800001
	s_wait_alu 0xfffe
	s_xor_b32 exec_lo, exec_lo, s1
	s_cbranch_execnz .LBB6_720
.LBB6_198:
	s_or_b32 exec_lo, exec_lo, s1
	s_and_saveexec_b32 s1, s0
	s_cbranch_execz .LBB6_200
.LBB6_199:
	v_and_b32_e32 v15, 7, v14
	v_lshrrev_b16 v27, 3, v14
	v_lshrrev_b16 v14, 7, v14
	s_delay_alu instid0(VALU_DEP_3) | instskip(NEXT) | instid1(VALU_DEP_3)
	v_clz_i32_u32_e32 v25, v15
	v_and_b32_e32 v27, 15, v27
	s_delay_alu instid0(VALU_DEP_3) | instskip(NEXT) | instid1(VALU_DEP_3)
	v_lshlrev_b32_e32 v14, 31, v14
	v_min_u32_e32 v25, 32, v25
	s_delay_alu instid0(VALU_DEP_3) | instskip(NEXT) | instid1(VALU_DEP_2)
	v_cmp_eq_u16_e32 vcc_lo, 0, v27
	v_subrev_nc_u32_e32 v26, 28, v25
	v_sub_nc_u32_e32 v25, 29, v25
	s_wait_alu 0xfffd
	s_delay_alu instid0(VALU_DEP_1) | instskip(NEXT) | instid1(VALU_DEP_1)
	v_dual_cndmask_b32 v25, v27, v25 :: v_dual_lshlrev_b32 v26, v26, v15
	v_and_b32_e32 v26, 7, v26
	s_delay_alu instid0(VALU_DEP_2) | instskip(NEXT) | instid1(VALU_DEP_2)
	v_lshl_add_u32 v25, v25, 23, 0x3b800000
	v_cndmask_b32_e32 v15, v15, v26, vcc_lo
	s_delay_alu instid0(VALU_DEP_1) | instskip(NEXT) | instid1(VALU_DEP_1)
	v_lshlrev_b32_e32 v15, 20, v15
	v_or3_b32 v15, v14, v25, v15
.LBB6_200:
	s_wait_alu 0xfffe
	s_or_b32 exec_lo, exec_lo, s1
	s_mov_b32 s0, 0
	s_mov_b32 s1, exec_lo
	v_cmpx_lt_i16_e32 0x7f, v13
	s_wait_alu 0xfffe
	s_xor_b32 s1, exec_lo, s1
	s_cbranch_execnz .LBB6_721
; %bb.201:
	s_wait_alu 0xfffe
	s_or_saveexec_b32 s1, s1
	v_mov_b32_e32 v14, 0x7f800001
	s_wait_alu 0xfffe
	s_xor_b32 exec_lo, exec_lo, s1
	s_cbranch_execnz .LBB6_724
.LBB6_202:
	s_or_b32 exec_lo, exec_lo, s1
	s_and_saveexec_b32 s1, s0
	s_cbranch_execz .LBB6_204
.LBB6_203:
	v_and_b32_e32 v14, 7, v13
	v_lshrrev_b16 v27, 3, v13
	v_lshrrev_b16 v13, 7, v13
	s_delay_alu instid0(VALU_DEP_3) | instskip(NEXT) | instid1(VALU_DEP_3)
	v_clz_i32_u32_e32 v25, v14
	v_and_b32_e32 v27, 15, v27
	s_delay_alu instid0(VALU_DEP_3) | instskip(NEXT) | instid1(VALU_DEP_3)
	v_lshlrev_b32_e32 v13, 31, v13
	v_min_u32_e32 v25, 32, v25
	s_delay_alu instid0(VALU_DEP_3) | instskip(NEXT) | instid1(VALU_DEP_2)
	v_cmp_eq_u16_e32 vcc_lo, 0, v27
	v_subrev_nc_u32_e32 v26, 28, v25
	v_sub_nc_u32_e32 v25, 29, v25
	s_wait_alu 0xfffd
	s_delay_alu instid0(VALU_DEP_1) | instskip(NEXT) | instid1(VALU_DEP_1)
	v_dual_cndmask_b32 v25, v27, v25 :: v_dual_lshlrev_b32 v26, v26, v14
	v_and_b32_e32 v26, 7, v26
	s_delay_alu instid0(VALU_DEP_2) | instskip(NEXT) | instid1(VALU_DEP_2)
	v_lshl_add_u32 v25, v25, 23, 0x3b800000
	v_cndmask_b32_e32 v14, v14, v26, vcc_lo
	s_delay_alu instid0(VALU_DEP_1) | instskip(NEXT) | instid1(VALU_DEP_1)
	v_lshlrev_b32_e32 v14, 20, v14
	v_or3_b32 v14, v13, v25, v14
.LBB6_204:
	s_wait_alu 0xfffe
	s_or_b32 exec_lo, exec_lo, s1
	v_cvt_pk_rtz_f16_f32_e32 v25, v12, v6
	v_cvt_pk_rtz_f16_f32_e32 v26, v16, v17
	;; [unrolled: 1-line block ×8, first 2 shown]
	s_clause 0x1
	flat_store_b128 v[4:5], v[25:28] offset:64
	flat_store_b128 v[4:5], v[17:20] offset:80
	s_clause 0x3
	flat_load_b64 v[12:13], v[0:1] offset:52
	flat_load_b64 v[14:15], v[0:1] offset:16
	flat_load_b32 v9, v[0:1] offset:44
	flat_load_b96 v[6:8], v[0:1]
	s_mov_b32 s0, 0
	s_mov_b32 s1, exec_lo
	s_wait_loadcnt_dscnt 0x303
	v_add_nc_u32_e32 v13, 48, v13
	s_wait_loadcnt_dscnt 0x202
	v_ashrrev_i32_e32 v16, 31, v14
	s_wait_loadcnt_dscnt 0x101
	v_sub_nc_u32_e32 v9, v15, v9
	s_wait_loadcnt_dscnt 0x0
	v_sub_nc_u32_e32 v8, v14, v8
	v_ashrrev_i32_e32 v17, 31, v13
	v_lshrrev_b32_e32 v16, 28, v16
	s_delay_alu instid0(VALU_DEP_3) | instskip(NEXT) | instid1(VALU_DEP_3)
	v_lshl_add_u32 v6, v8, 8, v6
	v_lshrrev_b32_e32 v17, 28, v17
	s_delay_alu instid0(VALU_DEP_3) | instskip(NEXT) | instid1(VALU_DEP_3)
	v_add_nc_u32_e32 v16, v14, v16
	v_sub_nc_u32_e32 v6, v6, v12
	s_delay_alu instid0(VALU_DEP_3) | instskip(NEXT) | instid1(VALU_DEP_3)
	v_add_nc_u32_e32 v17, v13, v17
	v_and_b32_e32 v15, 0xffffff0, v16
	s_delay_alu instid0(VALU_DEP_2) | instskip(NEXT) | instid1(VALU_DEP_2)
	v_lshrrev_b32_e32 v16, 4, v17
	v_sub_nc_u32_e32 v15, v14, v15
	v_and_b32_e32 v14, -16, v17
	s_delay_alu instid0(VALU_DEP_3) | instskip(NEXT) | instid1(VALU_DEP_2)
	v_add_nc_u32_e32 v9, v9, v16
	v_sub_nc_u32_e32 v8, v13, v14
	s_delay_alu instid0(VALU_DEP_2) | instskip(NEXT) | instid1(VALU_DEP_1)
	v_xor_b32_e32 v9, v9, v15
	v_sub_nc_u32_e32 v7, v9, v7
	s_delay_alu instid0(VALU_DEP_1) | instskip(NEXT) | instid1(VALU_DEP_1)
	v_lshlrev_b32_e32 v7, 4, v7
	v_add3_u32 v6, v6, v8, v7
	s_delay_alu instid0(VALU_DEP_1) | instskip(SKIP_2) | instid1(VALU_DEP_2)
	v_ashrrev_i32_e32 v7, 31, v6
	v_add_co_u32 v6, vcc_lo, v10, v6
	s_wait_alu 0xfffd
	v_add_co_ci_u32_e64 v7, null, v11, v7, vcc_lo
	flat_load_b128 v[6:9], v[6:7]
	s_wait_loadcnt_dscnt 0x0
	v_and_b32_e32 v13, 0xff, v6
	s_delay_alu instid0(VALU_DEP_1)
	v_cmpx_lt_i16_e32 0x7f, v13
	s_wait_alu 0xfffe
	s_xor_b32 s1, exec_lo, s1
	s_cbranch_execz .LBB6_208
; %bb.205:
	s_mov_b32 s0, -1
	s_mov_b32 s2, exec_lo
	v_cmpx_eq_u16_e32 0x80, v13
; %bb.206:
	s_xor_b32 s0, exec_lo, -1
; %bb.207:
	s_wait_alu 0xfffe
	s_or_b32 exec_lo, exec_lo, s2
	s_delay_alu instid0(SALU_CYCLE_1)
	s_and_b32 s0, s0, exec_lo
                                        ; implicit-def: $vgpr13
.LBB6_208:
	s_wait_alu 0xfffe
	s_or_saveexec_b32 s1, s1
	v_mov_b32_e32 v12, 0x7f800001
	s_wait_alu 0xfffe
	s_xor_b32 exec_lo, exec_lo, s1
; %bb.209:
	v_cmp_ne_u16_e32 vcc_lo, 0, v13
	v_mov_b32_e32 v12, 0
	s_and_not1_b32 s0, s0, exec_lo
	s_and_b32 s2, vcc_lo, exec_lo
	s_wait_alu 0xfffe
	s_or_b32 s0, s0, s2
; %bb.210:
	s_or_b32 exec_lo, exec_lo, s1
	v_lshrrev_b32_e32 v13, 24, v9
	v_lshrrev_b32_e32 v14, 16, v9
	;; [unrolled: 1-line block ×12, first 2 shown]
	s_wait_alu 0xfffe
	s_and_saveexec_b32 s1, s0
	s_cbranch_execz .LBB6_212
; %bb.211:
	v_lshrrev_b16 v27, 3, v6
	s_delay_alu instid0(VALU_DEP_1) | instskip(NEXT) | instid1(VALU_DEP_1)
	v_and_b32_e32 v27, 15, v27
	v_cmp_eq_u16_e32 vcc_lo, 0, v27
	v_and_b32_e32 v12, 7, v6
	v_lshrrev_b16 v6, 7, v6
	s_delay_alu instid0(VALU_DEP_2) | instskip(NEXT) | instid1(VALU_DEP_2)
	v_clz_i32_u32_e32 v25, v12
	v_lshlrev_b32_e32 v6, 31, v6
	s_delay_alu instid0(VALU_DEP_2) | instskip(NEXT) | instid1(VALU_DEP_1)
	v_min_u32_e32 v25, 32, v25
	v_subrev_nc_u32_e32 v26, 28, v25
	v_sub_nc_u32_e32 v25, 29, v25
	s_wait_alu 0xfffd
	s_delay_alu instid0(VALU_DEP_1) | instskip(NEXT) | instid1(VALU_DEP_1)
	v_dual_cndmask_b32 v25, v27, v25 :: v_dual_lshlrev_b32 v26, v26, v12
	v_lshl_add_u32 v25, v25, 23, 0x3b800000
	s_delay_alu instid0(VALU_DEP_2) | instskip(NEXT) | instid1(VALU_DEP_1)
	v_and_b32_e32 v26, 7, v26
	v_cndmask_b32_e32 v12, v12, v26, vcc_lo
	s_delay_alu instid0(VALU_DEP_1) | instskip(NEXT) | instid1(VALU_DEP_1)
	v_lshlrev_b32_e32 v12, 20, v12
	v_or3_b32 v12, v6, v25, v12
.LBB6_212:
	s_wait_alu 0xfffe
	s_or_b32 exec_lo, exec_lo, s1
	v_and_b32_e32 v25, 0xff, v16
	s_mov_b32 s0, 0
	s_mov_b32 s1, exec_lo
	s_delay_alu instid0(VALU_DEP_1)
	v_cmpx_lt_i16_e32 0x7f, v25
	s_wait_alu 0xfffe
	s_xor_b32 s1, exec_lo, s1
	s_cbranch_execnz .LBB6_725
; %bb.213:
	s_wait_alu 0xfffe
	s_or_saveexec_b32 s1, s1
	v_mov_b32_e32 v6, 0x7f800001
	s_wait_alu 0xfffe
	s_xor_b32 exec_lo, exec_lo, s1
	s_cbranch_execnz .LBB6_728
.LBB6_214:
	s_or_b32 exec_lo, exec_lo, s1
	s_and_saveexec_b32 s1, s0
	s_cbranch_execz .LBB6_216
.LBB6_215:
	v_lshrrev_b16 v27, 3, v16
	s_delay_alu instid0(VALU_DEP_1) | instskip(NEXT) | instid1(VALU_DEP_1)
	v_and_b32_e32 v27, 15, v27
	v_cmp_eq_u16_e32 vcc_lo, 0, v27
	v_and_b32_e32 v6, 7, v16
	v_lshrrev_b16 v16, 7, v16
	s_delay_alu instid0(VALU_DEP_2) | instskip(NEXT) | instid1(VALU_DEP_2)
	v_clz_i32_u32_e32 v25, v6
	v_lshlrev_b32_e32 v16, 31, v16
	s_delay_alu instid0(VALU_DEP_2) | instskip(NEXT) | instid1(VALU_DEP_1)
	v_min_u32_e32 v25, 32, v25
	v_subrev_nc_u32_e32 v26, 28, v25
	v_sub_nc_u32_e32 v25, 29, v25
	s_wait_alu 0xfffd
	s_delay_alu instid0(VALU_DEP_1) | instskip(NEXT) | instid1(VALU_DEP_1)
	v_dual_cndmask_b32 v25, v27, v25 :: v_dual_lshlrev_b32 v26, v26, v6
	v_lshl_add_u32 v25, v25, 23, 0x3b800000
	s_delay_alu instid0(VALU_DEP_2) | instskip(NEXT) | instid1(VALU_DEP_1)
	v_and_b32_e32 v26, 7, v26
	v_cndmask_b32_e32 v6, v6, v26, vcc_lo
	s_delay_alu instid0(VALU_DEP_1) | instskip(NEXT) | instid1(VALU_DEP_1)
	v_lshlrev_b32_e32 v6, 20, v6
	v_or3_b32 v6, v16, v25, v6
.LBB6_216:
	s_wait_alu 0xfffe
	s_or_b32 exec_lo, exec_lo, s1
	v_and_b32_e32 v25, 0xff, v17
	s_mov_b32 s0, 0
	s_mov_b32 s1, exec_lo
	s_delay_alu instid0(VALU_DEP_1)
	v_cmpx_lt_i16_e32 0x7f, v25
	s_wait_alu 0xfffe
	s_xor_b32 s1, exec_lo, s1
	s_cbranch_execnz .LBB6_729
; %bb.217:
	s_wait_alu 0xfffe
	s_or_saveexec_b32 s1, s1
	v_mov_b32_e32 v16, 0x7f800001
	s_wait_alu 0xfffe
	s_xor_b32 exec_lo, exec_lo, s1
	s_cbranch_execnz .LBB6_732
.LBB6_218:
	s_or_b32 exec_lo, exec_lo, s1
	s_and_saveexec_b32 s1, s0
	s_cbranch_execz .LBB6_220
.LBB6_219:
	v_and_b32_e32 v16, 7, v17
	v_lshrrev_b16 v27, 3, v17
	v_lshrrev_b16 v17, 7, v17
	s_delay_alu instid0(VALU_DEP_3) | instskip(NEXT) | instid1(VALU_DEP_3)
	v_clz_i32_u32_e32 v25, v16
	v_and_b32_e32 v27, 15, v27
	s_delay_alu instid0(VALU_DEP_3) | instskip(NEXT) | instid1(VALU_DEP_3)
	v_lshlrev_b32_e32 v17, 31, v17
	v_min_u32_e32 v25, 32, v25
	s_delay_alu instid0(VALU_DEP_3) | instskip(NEXT) | instid1(VALU_DEP_2)
	v_cmp_eq_u16_e32 vcc_lo, 0, v27
	v_subrev_nc_u32_e32 v26, 28, v25
	v_sub_nc_u32_e32 v25, 29, v25
	s_wait_alu 0xfffd
	s_delay_alu instid0(VALU_DEP_1) | instskip(NEXT) | instid1(VALU_DEP_1)
	v_dual_cndmask_b32 v25, v27, v25 :: v_dual_lshlrev_b32 v26, v26, v16
	v_and_b32_e32 v26, 7, v26
	s_delay_alu instid0(VALU_DEP_2) | instskip(NEXT) | instid1(VALU_DEP_2)
	v_lshl_add_u32 v25, v25, 23, 0x3b800000
	v_cndmask_b32_e32 v16, v16, v26, vcc_lo
	s_delay_alu instid0(VALU_DEP_1) | instskip(NEXT) | instid1(VALU_DEP_1)
	v_lshlrev_b32_e32 v16, 20, v16
	v_or3_b32 v16, v17, v25, v16
.LBB6_220:
	s_wait_alu 0xfffe
	s_or_b32 exec_lo, exec_lo, s1
	s_mov_b32 s0, 0
	s_mov_b32 s1, exec_lo
	v_cmpx_lt_i16_e32 0x7f, v18
	s_wait_alu 0xfffe
	s_xor_b32 s1, exec_lo, s1
	s_cbranch_execnz .LBB6_733
; %bb.221:
	s_wait_alu 0xfffe
	s_or_saveexec_b32 s1, s1
	v_mov_b32_e32 v17, 0x7f800001
	s_wait_alu 0xfffe
	s_xor_b32 exec_lo, exec_lo, s1
	s_cbranch_execnz .LBB6_736
.LBB6_222:
	s_or_b32 exec_lo, exec_lo, s1
	s_and_saveexec_b32 s1, s0
	s_cbranch_execz .LBB6_224
.LBB6_223:
	v_and_b32_e32 v17, 7, v18
	v_lshrrev_b16 v27, 3, v18
	v_lshrrev_b16 v18, 7, v18
	s_delay_alu instid0(VALU_DEP_3) | instskip(NEXT) | instid1(VALU_DEP_3)
	v_clz_i32_u32_e32 v25, v17
	v_and_b32_e32 v27, 15, v27
	s_delay_alu instid0(VALU_DEP_3) | instskip(NEXT) | instid1(VALU_DEP_3)
	v_lshlrev_b32_e32 v18, 31, v18
	v_min_u32_e32 v25, 32, v25
	s_delay_alu instid0(VALU_DEP_3) | instskip(NEXT) | instid1(VALU_DEP_2)
	v_cmp_eq_u16_e32 vcc_lo, 0, v27
	v_subrev_nc_u32_e32 v26, 28, v25
	v_sub_nc_u32_e32 v25, 29, v25
	s_delay_alu instid0(VALU_DEP_2) | instskip(SKIP_1) | instid1(VALU_DEP_1)
	v_lshlrev_b32_e32 v26, v26, v17
	s_wait_alu 0xfffd
	v_dual_cndmask_b32 v25, v27, v25 :: v_dual_and_b32 v26, 7, v26
	s_delay_alu instid0(VALU_DEP_1) | instskip(NEXT) | instid1(VALU_DEP_2)
	v_lshl_add_u32 v25, v25, 23, 0x3b800000
	v_cndmask_b32_e32 v17, v17, v26, vcc_lo
	s_delay_alu instid0(VALU_DEP_1) | instskip(NEXT) | instid1(VALU_DEP_1)
	v_lshlrev_b32_e32 v17, 20, v17
	v_or3_b32 v17, v18, v25, v17
.LBB6_224:
	s_wait_alu 0xfffe
	s_or_b32 exec_lo, exec_lo, s1
	v_and_b32_e32 v25, 0xff, v7
	s_mov_b32 s0, 0
	s_mov_b32 s1, exec_lo
	s_delay_alu instid0(VALU_DEP_1)
	v_cmpx_lt_i16_e32 0x7f, v25
	s_wait_alu 0xfffe
	s_xor_b32 s1, exec_lo, s1
	s_cbranch_execnz .LBB6_737
; %bb.225:
	s_wait_alu 0xfffe
	s_or_saveexec_b32 s1, s1
	v_mov_b32_e32 v18, 0x7f800001
	s_wait_alu 0xfffe
	s_xor_b32 exec_lo, exec_lo, s1
	s_cbranch_execnz .LBB6_740
.LBB6_226:
	s_or_b32 exec_lo, exec_lo, s1
	s_and_saveexec_b32 s1, s0
	s_cbranch_execz .LBB6_228
.LBB6_227:
	v_lshrrev_b16 v27, 3, v7
	s_delay_alu instid0(VALU_DEP_1) | instskip(NEXT) | instid1(VALU_DEP_1)
	v_and_b32_e32 v27, 15, v27
	v_cmp_eq_u16_e32 vcc_lo, 0, v27
	v_and_b32_e32 v18, 7, v7
	v_lshrrev_b16 v7, 7, v7
	s_delay_alu instid0(VALU_DEP_2) | instskip(NEXT) | instid1(VALU_DEP_2)
	v_clz_i32_u32_e32 v25, v18
	v_lshlrev_b32_e32 v7, 31, v7
	s_delay_alu instid0(VALU_DEP_2) | instskip(NEXT) | instid1(VALU_DEP_1)
	v_min_u32_e32 v25, 32, v25
	v_subrev_nc_u32_e32 v26, 28, v25
	v_sub_nc_u32_e32 v25, 29, v25
	s_wait_alu 0xfffd
	s_delay_alu instid0(VALU_DEP_1) | instskip(NEXT) | instid1(VALU_DEP_1)
	v_dual_cndmask_b32 v25, v27, v25 :: v_dual_lshlrev_b32 v26, v26, v18
	v_lshl_add_u32 v25, v25, 23, 0x3b800000
	s_delay_alu instid0(VALU_DEP_2) | instskip(NEXT) | instid1(VALU_DEP_1)
	v_and_b32_e32 v26, 7, v26
	v_cndmask_b32_e32 v18, v18, v26, vcc_lo
	s_delay_alu instid0(VALU_DEP_1) | instskip(NEXT) | instid1(VALU_DEP_1)
	v_lshlrev_b32_e32 v18, 20, v18
	v_or3_b32 v18, v7, v25, v18
.LBB6_228:
	s_wait_alu 0xfffe
	s_or_b32 exec_lo, exec_lo, s1
	v_and_b32_e32 v25, 0xff, v21
	s_mov_b32 s0, 0
	s_mov_b32 s1, exec_lo
	s_delay_alu instid0(VALU_DEP_1)
	v_cmpx_lt_i16_e32 0x7f, v25
	s_wait_alu 0xfffe
	s_xor_b32 s1, exec_lo, s1
	s_cbranch_execnz .LBB6_741
; %bb.229:
	s_wait_alu 0xfffe
	s_or_saveexec_b32 s1, s1
	v_mov_b32_e32 v7, 0x7f800001
	s_wait_alu 0xfffe
	s_xor_b32 exec_lo, exec_lo, s1
	s_cbranch_execnz .LBB6_744
.LBB6_230:
	s_or_b32 exec_lo, exec_lo, s1
	s_and_saveexec_b32 s1, s0
	s_cbranch_execz .LBB6_232
.LBB6_231:
	v_and_b32_e32 v7, 7, v21
	v_lshrrev_b16 v27, 3, v21
	v_lshrrev_b16 v21, 7, v21
	s_delay_alu instid0(VALU_DEP_3) | instskip(NEXT) | instid1(VALU_DEP_3)
	v_clz_i32_u32_e32 v25, v7
	v_and_b32_e32 v27, 15, v27
	s_delay_alu instid0(VALU_DEP_3) | instskip(NEXT) | instid1(VALU_DEP_3)
	v_lshlrev_b32_e32 v21, 31, v21
	v_min_u32_e32 v25, 32, v25
	s_delay_alu instid0(VALU_DEP_3) | instskip(NEXT) | instid1(VALU_DEP_2)
	v_cmp_eq_u16_e32 vcc_lo, 0, v27
	v_subrev_nc_u32_e32 v26, 28, v25
	v_sub_nc_u32_e32 v25, 29, v25
	s_wait_alu 0xfffd
	s_delay_alu instid0(VALU_DEP_1) | instskip(NEXT) | instid1(VALU_DEP_1)
	v_dual_cndmask_b32 v25, v27, v25 :: v_dual_lshlrev_b32 v26, v26, v7
	v_and_b32_e32 v26, 7, v26
	s_delay_alu instid0(VALU_DEP_2) | instskip(NEXT) | instid1(VALU_DEP_2)
	v_lshl_add_u32 v25, v25, 23, 0x3b800000
	v_cndmask_b32_e32 v7, v7, v26, vcc_lo
	s_delay_alu instid0(VALU_DEP_1) | instskip(NEXT) | instid1(VALU_DEP_1)
	v_lshlrev_b32_e32 v7, 20, v7
	v_or3_b32 v7, v21, v25, v7
.LBB6_232:
	s_wait_alu 0xfffe
	s_or_b32 exec_lo, exec_lo, s1
	v_and_b32_e32 v25, 0xff, v23
	s_mov_b32 s0, 0
	s_mov_b32 s1, exec_lo
	s_delay_alu instid0(VALU_DEP_1)
	v_cmpx_lt_i16_e32 0x7f, v25
	s_wait_alu 0xfffe
	s_xor_b32 s1, exec_lo, s1
	s_cbranch_execnz .LBB6_745
; %bb.233:
	s_wait_alu 0xfffe
	s_or_saveexec_b32 s1, s1
	v_mov_b32_e32 v21, 0x7f800001
	s_wait_alu 0xfffe
	s_xor_b32 exec_lo, exec_lo, s1
	s_cbranch_execnz .LBB6_748
.LBB6_234:
	s_or_b32 exec_lo, exec_lo, s1
	s_and_saveexec_b32 s1, s0
	s_cbranch_execz .LBB6_236
.LBB6_235:
	v_and_b32_e32 v21, 7, v23
	v_lshrrev_b16 v27, 3, v23
	v_lshrrev_b16 v23, 7, v23
	s_delay_alu instid0(VALU_DEP_3) | instskip(NEXT) | instid1(VALU_DEP_3)
	v_clz_i32_u32_e32 v25, v21
	v_and_b32_e32 v27, 15, v27
	s_delay_alu instid0(VALU_DEP_3) | instskip(NEXT) | instid1(VALU_DEP_3)
	v_lshlrev_b32_e32 v23, 31, v23
	v_min_u32_e32 v25, 32, v25
	s_delay_alu instid0(VALU_DEP_3) | instskip(NEXT) | instid1(VALU_DEP_2)
	v_cmp_eq_u16_e32 vcc_lo, 0, v27
	v_subrev_nc_u32_e32 v26, 28, v25
	v_sub_nc_u32_e32 v25, 29, v25
	s_delay_alu instid0(VALU_DEP_2) | instskip(SKIP_1) | instid1(VALU_DEP_1)
	v_lshlrev_b32_e32 v26, v26, v21
	s_wait_alu 0xfffd
	v_dual_cndmask_b32 v25, v27, v25 :: v_dual_and_b32 v26, 7, v26
	s_delay_alu instid0(VALU_DEP_1) | instskip(NEXT) | instid1(VALU_DEP_2)
	v_lshl_add_u32 v25, v25, 23, 0x3b800000
	v_cndmask_b32_e32 v21, v21, v26, vcc_lo
	s_delay_alu instid0(VALU_DEP_1) | instskip(NEXT) | instid1(VALU_DEP_1)
	v_lshlrev_b32_e32 v21, 20, v21
	v_or3_b32 v21, v23, v25, v21
.LBB6_236:
	s_wait_alu 0xfffe
	s_or_b32 exec_lo, exec_lo, s1
	s_mov_b32 s0, 0
	s_mov_b32 s1, exec_lo
	v_cmpx_lt_i16_e32 0x7f, v24
	s_wait_alu 0xfffe
	s_xor_b32 s1, exec_lo, s1
	s_cbranch_execnz .LBB6_749
; %bb.237:
	s_wait_alu 0xfffe
	s_or_saveexec_b32 s1, s1
	v_mov_b32_e32 v23, 0x7f800001
	s_wait_alu 0xfffe
	s_xor_b32 exec_lo, exec_lo, s1
	s_cbranch_execnz .LBB6_752
.LBB6_238:
	s_or_b32 exec_lo, exec_lo, s1
	s_and_saveexec_b32 s1, s0
	s_cbranch_execz .LBB6_240
.LBB6_239:
	v_and_b32_e32 v23, 7, v24
	v_lshrrev_b16 v27, 3, v24
	v_lshrrev_b16 v24, 7, v24
	s_delay_alu instid0(VALU_DEP_3) | instskip(NEXT) | instid1(VALU_DEP_3)
	v_clz_i32_u32_e32 v25, v23
	v_and_b32_e32 v27, 15, v27
	s_delay_alu instid0(VALU_DEP_3) | instskip(NEXT) | instid1(VALU_DEP_3)
	v_lshlrev_b32_e32 v24, 31, v24
	v_min_u32_e32 v25, 32, v25
	s_delay_alu instid0(VALU_DEP_3) | instskip(NEXT) | instid1(VALU_DEP_2)
	v_cmp_eq_u16_e32 vcc_lo, 0, v27
	v_subrev_nc_u32_e32 v26, 28, v25
	v_sub_nc_u32_e32 v25, 29, v25
	s_wait_alu 0xfffd
	s_delay_alu instid0(VALU_DEP_1) | instskip(NEXT) | instid1(VALU_DEP_1)
	v_dual_cndmask_b32 v25, v27, v25 :: v_dual_lshlrev_b32 v26, v26, v23
	v_and_b32_e32 v26, 7, v26
	s_delay_alu instid0(VALU_DEP_2) | instskip(NEXT) | instid1(VALU_DEP_2)
	v_lshl_add_u32 v25, v25, 23, 0x3b800000
	v_cndmask_b32_e32 v23, v23, v26, vcc_lo
	s_delay_alu instid0(VALU_DEP_1) | instskip(NEXT) | instid1(VALU_DEP_1)
	v_lshlrev_b32_e32 v23, 20, v23
	v_or3_b32 v23, v24, v25, v23
.LBB6_240:
	s_wait_alu 0xfffe
	s_or_b32 exec_lo, exec_lo, s1
	v_and_b32_e32 v25, 0xff, v8
	s_mov_b32 s0, 0
	s_mov_b32 s1, exec_lo
	s_delay_alu instid0(VALU_DEP_1)
	v_cmpx_lt_i16_e32 0x7f, v25
	s_wait_alu 0xfffe
	s_xor_b32 s1, exec_lo, s1
	s_cbranch_execnz .LBB6_753
; %bb.241:
	s_wait_alu 0xfffe
	s_or_saveexec_b32 s1, s1
	v_mov_b32_e32 v24, 0x7f800001
	s_wait_alu 0xfffe
	s_xor_b32 exec_lo, exec_lo, s1
	s_cbranch_execnz .LBB6_756
.LBB6_242:
	s_or_b32 exec_lo, exec_lo, s1
	s_and_saveexec_b32 s1, s0
	s_cbranch_execz .LBB6_244
.LBB6_243:
	v_lshrrev_b16 v27, 3, v8
	s_delay_alu instid0(VALU_DEP_1) | instskip(NEXT) | instid1(VALU_DEP_1)
	v_and_b32_e32 v27, 15, v27
	v_cmp_eq_u16_e32 vcc_lo, 0, v27
	v_and_b32_e32 v24, 7, v8
	v_lshrrev_b16 v8, 7, v8
	s_delay_alu instid0(VALU_DEP_2) | instskip(NEXT) | instid1(VALU_DEP_2)
	v_clz_i32_u32_e32 v25, v24
	v_lshlrev_b32_e32 v8, 31, v8
	s_delay_alu instid0(VALU_DEP_2) | instskip(NEXT) | instid1(VALU_DEP_1)
	v_min_u32_e32 v25, 32, v25
	v_subrev_nc_u32_e32 v26, 28, v25
	v_sub_nc_u32_e32 v25, 29, v25
	s_wait_alu 0xfffd
	s_delay_alu instid0(VALU_DEP_1) | instskip(NEXT) | instid1(VALU_DEP_1)
	v_dual_cndmask_b32 v25, v27, v25 :: v_dual_lshlrev_b32 v26, v26, v24
	v_lshl_add_u32 v25, v25, 23, 0x3b800000
	s_delay_alu instid0(VALU_DEP_2) | instskip(NEXT) | instid1(VALU_DEP_1)
	v_and_b32_e32 v26, 7, v26
	v_cndmask_b32_e32 v24, v24, v26, vcc_lo
	s_delay_alu instid0(VALU_DEP_1) | instskip(NEXT) | instid1(VALU_DEP_1)
	v_lshlrev_b32_e32 v24, 20, v24
	v_or3_b32 v24, v8, v25, v24
.LBB6_244:
	s_wait_alu 0xfffe
	s_or_b32 exec_lo, exec_lo, s1
	v_and_b32_e32 v25, 0xff, v22
	s_mov_b32 s0, 0
	s_mov_b32 s1, exec_lo
	s_delay_alu instid0(VALU_DEP_1)
	v_cmpx_lt_i16_e32 0x7f, v25
	s_wait_alu 0xfffe
	s_xor_b32 s1, exec_lo, s1
	s_cbranch_execnz .LBB6_757
; %bb.245:
	s_wait_alu 0xfffe
	s_or_saveexec_b32 s1, s1
	v_mov_b32_e32 v8, 0x7f800001
	s_wait_alu 0xfffe
	s_xor_b32 exec_lo, exec_lo, s1
	s_cbranch_execnz .LBB6_760
.LBB6_246:
	s_or_b32 exec_lo, exec_lo, s1
	s_and_saveexec_b32 s1, s0
	s_cbranch_execz .LBB6_248
.LBB6_247:
	v_lshrrev_b16 v27, 3, v22
	s_delay_alu instid0(VALU_DEP_1) | instskip(NEXT) | instid1(VALU_DEP_1)
	v_and_b32_e32 v27, 15, v27
	v_cmp_eq_u16_e32 vcc_lo, 0, v27
	v_and_b32_e32 v8, 7, v22
	v_lshrrev_b16 v22, 7, v22
	s_delay_alu instid0(VALU_DEP_2) | instskip(NEXT) | instid1(VALU_DEP_2)
	v_clz_i32_u32_e32 v25, v8
	v_lshlrev_b32_e32 v22, 31, v22
	s_delay_alu instid0(VALU_DEP_2) | instskip(NEXT) | instid1(VALU_DEP_1)
	v_min_u32_e32 v25, 32, v25
	v_subrev_nc_u32_e32 v26, 28, v25
	v_sub_nc_u32_e32 v25, 29, v25
	s_wait_alu 0xfffd
	s_delay_alu instid0(VALU_DEP_1) | instskip(NEXT) | instid1(VALU_DEP_1)
	v_dual_cndmask_b32 v25, v27, v25 :: v_dual_lshlrev_b32 v26, v26, v8
	v_lshl_add_u32 v25, v25, 23, 0x3b800000
	s_delay_alu instid0(VALU_DEP_2) | instskip(NEXT) | instid1(VALU_DEP_1)
	v_and_b32_e32 v26, 7, v26
	v_cndmask_b32_e32 v8, v8, v26, vcc_lo
	s_delay_alu instid0(VALU_DEP_1) | instskip(NEXT) | instid1(VALU_DEP_1)
	v_lshlrev_b32_e32 v8, 20, v8
	v_or3_b32 v8, v22, v25, v8
.LBB6_248:
	s_wait_alu 0xfffe
	s_or_b32 exec_lo, exec_lo, s1
	v_and_b32_e32 v25, 0xff, v20
	s_mov_b32 s0, 0
	s_mov_b32 s1, exec_lo
	s_delay_alu instid0(VALU_DEP_1)
	v_cmpx_lt_i16_e32 0x7f, v25
	s_wait_alu 0xfffe
	s_xor_b32 s1, exec_lo, s1
	s_cbranch_execnz .LBB6_761
; %bb.249:
	s_wait_alu 0xfffe
	s_or_saveexec_b32 s1, s1
	v_mov_b32_e32 v22, 0x7f800001
	s_wait_alu 0xfffe
	s_xor_b32 exec_lo, exec_lo, s1
	s_cbranch_execnz .LBB6_764
.LBB6_250:
	s_or_b32 exec_lo, exec_lo, s1
	s_and_saveexec_b32 s1, s0
	s_cbranch_execz .LBB6_252
.LBB6_251:
	v_lshrrev_b16 v27, 3, v20
	s_delay_alu instid0(VALU_DEP_1) | instskip(NEXT) | instid1(VALU_DEP_1)
	v_and_b32_e32 v27, 15, v27
	v_cmp_eq_u16_e32 vcc_lo, 0, v27
	v_and_b32_e32 v22, 7, v20
	v_lshrrev_b16 v20, 7, v20
	s_delay_alu instid0(VALU_DEP_2) | instskip(NEXT) | instid1(VALU_DEP_2)
	v_clz_i32_u32_e32 v25, v22
	v_lshlrev_b32_e32 v20, 31, v20
	s_delay_alu instid0(VALU_DEP_2) | instskip(NEXT) | instid1(VALU_DEP_1)
	v_min_u32_e32 v25, 32, v25
	v_subrev_nc_u32_e32 v26, 28, v25
	v_sub_nc_u32_e32 v25, 29, v25
	s_wait_alu 0xfffd
	s_delay_alu instid0(VALU_DEP_1) | instskip(NEXT) | instid1(VALU_DEP_1)
	v_dual_cndmask_b32 v25, v27, v25 :: v_dual_lshlrev_b32 v26, v26, v22
	v_lshl_add_u32 v25, v25, 23, 0x3b800000
	s_delay_alu instid0(VALU_DEP_2) | instskip(NEXT) | instid1(VALU_DEP_1)
	v_and_b32_e32 v26, 7, v26
	v_cndmask_b32_e32 v22, v22, v26, vcc_lo
	s_delay_alu instid0(VALU_DEP_1) | instskip(NEXT) | instid1(VALU_DEP_1)
	v_lshlrev_b32_e32 v22, 20, v22
	v_or3_b32 v22, v20, v25, v22
.LBB6_252:
	s_wait_alu 0xfffe
	s_or_b32 exec_lo, exec_lo, s1
	s_mov_b32 s0, 0
	s_mov_b32 s1, exec_lo
	v_cmpx_lt_i16_e32 0x7f, v19
	s_wait_alu 0xfffe
	s_xor_b32 s1, exec_lo, s1
	s_cbranch_execnz .LBB6_765
; %bb.253:
	s_wait_alu 0xfffe
	s_or_saveexec_b32 s1, s1
	v_mov_b32_e32 v20, 0x7f800001
	s_wait_alu 0xfffe
	s_xor_b32 exec_lo, exec_lo, s1
	s_cbranch_execnz .LBB6_768
.LBB6_254:
	s_or_b32 exec_lo, exec_lo, s1
	s_and_saveexec_b32 s1, s0
	s_cbranch_execz .LBB6_256
.LBB6_255:
	v_lshrrev_b16 v27, 3, v19
	s_delay_alu instid0(VALU_DEP_1) | instskip(NEXT) | instid1(VALU_DEP_1)
	v_and_b32_e32 v27, 15, v27
	v_cmp_eq_u16_e32 vcc_lo, 0, v27
	v_and_b32_e32 v20, 7, v19
	v_lshrrev_b16 v19, 7, v19
	s_delay_alu instid0(VALU_DEP_2) | instskip(NEXT) | instid1(VALU_DEP_2)
	v_clz_i32_u32_e32 v25, v20
	v_lshlrev_b32_e32 v19, 31, v19
	s_delay_alu instid0(VALU_DEP_2) | instskip(NEXT) | instid1(VALU_DEP_1)
	v_min_u32_e32 v25, 32, v25
	v_subrev_nc_u32_e32 v26, 28, v25
	v_sub_nc_u32_e32 v25, 29, v25
	s_wait_alu 0xfffd
	s_delay_alu instid0(VALU_DEP_1) | instskip(NEXT) | instid1(VALU_DEP_1)
	v_dual_cndmask_b32 v25, v27, v25 :: v_dual_lshlrev_b32 v26, v26, v20
	v_lshl_add_u32 v25, v25, 23, 0x3b800000
	s_delay_alu instid0(VALU_DEP_2) | instskip(NEXT) | instid1(VALU_DEP_1)
	v_and_b32_e32 v26, 7, v26
	v_cndmask_b32_e32 v20, v20, v26, vcc_lo
	s_delay_alu instid0(VALU_DEP_1) | instskip(NEXT) | instid1(VALU_DEP_1)
	v_lshlrev_b32_e32 v20, 20, v20
	v_or3_b32 v20, v19, v25, v20
.LBB6_256:
	s_wait_alu 0xfffe
	s_or_b32 exec_lo, exec_lo, s1
	v_and_b32_e32 v25, 0xff, v9
	s_mov_b32 s0, 0
	s_mov_b32 s1, exec_lo
	s_delay_alu instid0(VALU_DEP_1)
	v_cmpx_lt_i16_e32 0x7f, v25
	s_wait_alu 0xfffe
	s_xor_b32 s1, exec_lo, s1
	s_cbranch_execnz .LBB6_769
; %bb.257:
	s_wait_alu 0xfffe
	s_or_saveexec_b32 s1, s1
	v_mov_b32_e32 v19, 0x7f800001
	s_wait_alu 0xfffe
	s_xor_b32 exec_lo, exec_lo, s1
	s_cbranch_execnz .LBB6_772
.LBB6_258:
	s_or_b32 exec_lo, exec_lo, s1
	s_and_saveexec_b32 s1, s0
	s_cbranch_execz .LBB6_260
.LBB6_259:
	v_and_b32_e32 v19, 7, v9
	v_lshrrev_b16 v27, 3, v9
	v_lshrrev_b16 v9, 7, v9
	s_delay_alu instid0(VALU_DEP_3) | instskip(NEXT) | instid1(VALU_DEP_3)
	v_clz_i32_u32_e32 v25, v19
	v_and_b32_e32 v27, 15, v27
	s_delay_alu instid0(VALU_DEP_3) | instskip(NEXT) | instid1(VALU_DEP_3)
	v_lshlrev_b32_e32 v9, 31, v9
	v_min_u32_e32 v25, 32, v25
	s_delay_alu instid0(VALU_DEP_3) | instskip(NEXT) | instid1(VALU_DEP_2)
	v_cmp_eq_u16_e32 vcc_lo, 0, v27
	v_subrev_nc_u32_e32 v26, 28, v25
	v_sub_nc_u32_e32 v25, 29, v25
	s_wait_alu 0xfffd
	s_delay_alu instid0(VALU_DEP_1) | instskip(NEXT) | instid1(VALU_DEP_1)
	v_dual_cndmask_b32 v25, v27, v25 :: v_dual_lshlrev_b32 v26, v26, v19
	v_and_b32_e32 v26, 7, v26
	s_delay_alu instid0(VALU_DEP_2) | instskip(NEXT) | instid1(VALU_DEP_2)
	v_lshl_add_u32 v25, v25, 23, 0x3b800000
	v_cndmask_b32_e32 v19, v19, v26, vcc_lo
	s_delay_alu instid0(VALU_DEP_1) | instskip(NEXT) | instid1(VALU_DEP_1)
	v_lshlrev_b32_e32 v19, 20, v19
	v_or3_b32 v19, v9, v25, v19
.LBB6_260:
	s_wait_alu 0xfffe
	s_or_b32 exec_lo, exec_lo, s1
	v_and_b32_e32 v25, 0xff, v15
	s_mov_b32 s0, 0
	s_mov_b32 s1, exec_lo
	s_delay_alu instid0(VALU_DEP_1)
	v_cmpx_lt_i16_e32 0x7f, v25
	s_wait_alu 0xfffe
	s_xor_b32 s1, exec_lo, s1
	s_cbranch_execnz .LBB6_773
; %bb.261:
	s_wait_alu 0xfffe
	s_or_saveexec_b32 s1, s1
	v_mov_b32_e32 v9, 0x7f800001
	s_wait_alu 0xfffe
	s_xor_b32 exec_lo, exec_lo, s1
	s_cbranch_execnz .LBB6_776
.LBB6_262:
	s_or_b32 exec_lo, exec_lo, s1
	s_and_saveexec_b32 s1, s0
	s_cbranch_execz .LBB6_264
.LBB6_263:
	v_and_b32_e32 v9, 7, v15
	v_lshrrev_b16 v27, 3, v15
	v_lshrrev_b16 v15, 7, v15
	s_delay_alu instid0(VALU_DEP_3) | instskip(NEXT) | instid1(VALU_DEP_3)
	v_clz_i32_u32_e32 v25, v9
	v_and_b32_e32 v27, 15, v27
	s_delay_alu instid0(VALU_DEP_3) | instskip(NEXT) | instid1(VALU_DEP_3)
	v_lshlrev_b32_e32 v15, 31, v15
	v_min_u32_e32 v25, 32, v25
	s_delay_alu instid0(VALU_DEP_3) | instskip(NEXT) | instid1(VALU_DEP_2)
	v_cmp_eq_u16_e32 vcc_lo, 0, v27
	v_subrev_nc_u32_e32 v26, 28, v25
	v_sub_nc_u32_e32 v25, 29, v25
	s_delay_alu instid0(VALU_DEP_2) | instskip(SKIP_1) | instid1(VALU_DEP_1)
	v_lshlrev_b32_e32 v26, v26, v9
	s_wait_alu 0xfffd
	v_dual_cndmask_b32 v25, v27, v25 :: v_dual_and_b32 v26, 7, v26
	s_delay_alu instid0(VALU_DEP_1) | instskip(NEXT) | instid1(VALU_DEP_2)
	v_lshl_add_u32 v25, v25, 23, 0x3b800000
	v_cndmask_b32_e32 v9, v9, v26, vcc_lo
	s_delay_alu instid0(VALU_DEP_1) | instskip(NEXT) | instid1(VALU_DEP_1)
	v_lshlrev_b32_e32 v9, 20, v9
	v_or3_b32 v9, v15, v25, v9
.LBB6_264:
	s_wait_alu 0xfffe
	s_or_b32 exec_lo, exec_lo, s1
	v_and_b32_e32 v25, 0xff, v14
	s_mov_b32 s0, 0
	s_mov_b32 s1, exec_lo
	s_delay_alu instid0(VALU_DEP_1)
	v_cmpx_lt_i16_e32 0x7f, v25
	s_wait_alu 0xfffe
	s_xor_b32 s1, exec_lo, s1
	s_cbranch_execnz .LBB6_777
; %bb.265:
	s_wait_alu 0xfffe
	s_or_saveexec_b32 s1, s1
	v_mov_b32_e32 v15, 0x7f800001
	s_wait_alu 0xfffe
	s_xor_b32 exec_lo, exec_lo, s1
	s_cbranch_execnz .LBB6_780
.LBB6_266:
	s_or_b32 exec_lo, exec_lo, s1
	s_and_saveexec_b32 s1, s0
	s_cbranch_execz .LBB6_268
.LBB6_267:
	v_and_b32_e32 v15, 7, v14
	v_lshrrev_b16 v27, 3, v14
	v_lshrrev_b16 v14, 7, v14
	s_delay_alu instid0(VALU_DEP_3) | instskip(NEXT) | instid1(VALU_DEP_3)
	v_clz_i32_u32_e32 v25, v15
	v_and_b32_e32 v27, 15, v27
	s_delay_alu instid0(VALU_DEP_3) | instskip(NEXT) | instid1(VALU_DEP_3)
	v_lshlrev_b32_e32 v14, 31, v14
	v_min_u32_e32 v25, 32, v25
	s_delay_alu instid0(VALU_DEP_3) | instskip(NEXT) | instid1(VALU_DEP_2)
	v_cmp_eq_u16_e32 vcc_lo, 0, v27
	v_subrev_nc_u32_e32 v26, 28, v25
	v_sub_nc_u32_e32 v25, 29, v25
	s_wait_alu 0xfffd
	s_delay_alu instid0(VALU_DEP_1) | instskip(NEXT) | instid1(VALU_DEP_1)
	v_dual_cndmask_b32 v25, v27, v25 :: v_dual_lshlrev_b32 v26, v26, v15
	v_and_b32_e32 v26, 7, v26
	s_delay_alu instid0(VALU_DEP_2) | instskip(NEXT) | instid1(VALU_DEP_2)
	v_lshl_add_u32 v25, v25, 23, 0x3b800000
	v_cndmask_b32_e32 v15, v15, v26, vcc_lo
	s_delay_alu instid0(VALU_DEP_1) | instskip(NEXT) | instid1(VALU_DEP_1)
	v_lshlrev_b32_e32 v15, 20, v15
	v_or3_b32 v15, v14, v25, v15
.LBB6_268:
	s_wait_alu 0xfffe
	s_or_b32 exec_lo, exec_lo, s1
	s_mov_b32 s0, 0
	s_mov_b32 s1, exec_lo
	v_cmpx_lt_i16_e32 0x7f, v13
	s_wait_alu 0xfffe
	s_xor_b32 s1, exec_lo, s1
	s_cbranch_execnz .LBB6_781
; %bb.269:
	s_wait_alu 0xfffe
	s_or_saveexec_b32 s1, s1
	v_mov_b32_e32 v14, 0x7f800001
	s_wait_alu 0xfffe
	s_xor_b32 exec_lo, exec_lo, s1
	s_cbranch_execnz .LBB6_784
.LBB6_270:
	s_or_b32 exec_lo, exec_lo, s1
	s_and_saveexec_b32 s1, s0
	s_cbranch_execz .LBB6_272
.LBB6_271:
	v_and_b32_e32 v14, 7, v13
	v_lshrrev_b16 v27, 3, v13
	v_lshrrev_b16 v13, 7, v13
	s_delay_alu instid0(VALU_DEP_3) | instskip(NEXT) | instid1(VALU_DEP_3)
	v_clz_i32_u32_e32 v25, v14
	v_and_b32_e32 v27, 15, v27
	s_delay_alu instid0(VALU_DEP_3) | instskip(NEXT) | instid1(VALU_DEP_3)
	v_lshlrev_b32_e32 v13, 31, v13
	v_min_u32_e32 v25, 32, v25
	s_delay_alu instid0(VALU_DEP_3) | instskip(NEXT) | instid1(VALU_DEP_2)
	v_cmp_eq_u16_e32 vcc_lo, 0, v27
	v_subrev_nc_u32_e32 v26, 28, v25
	v_sub_nc_u32_e32 v25, 29, v25
	s_wait_alu 0xfffd
	s_delay_alu instid0(VALU_DEP_1) | instskip(NEXT) | instid1(VALU_DEP_1)
	v_dual_cndmask_b32 v25, v27, v25 :: v_dual_lshlrev_b32 v26, v26, v14
	v_and_b32_e32 v26, 7, v26
	s_delay_alu instid0(VALU_DEP_2) | instskip(NEXT) | instid1(VALU_DEP_2)
	v_lshl_add_u32 v25, v25, 23, 0x3b800000
	v_cndmask_b32_e32 v14, v14, v26, vcc_lo
	s_delay_alu instid0(VALU_DEP_1) | instskip(NEXT) | instid1(VALU_DEP_1)
	v_lshlrev_b32_e32 v14, 20, v14
	v_or3_b32 v14, v13, v25, v14
.LBB6_272:
	s_wait_alu 0xfffe
	s_or_b32 exec_lo, exec_lo, s1
	v_cvt_pk_rtz_f16_f32_e32 v25, v12, v6
	v_cvt_pk_rtz_f16_f32_e32 v26, v16, v17
	;; [unrolled: 1-line block ×8, first 2 shown]
	s_clause 0x1
	flat_store_b128 v[4:5], v[25:28] offset:96
	flat_store_b128 v[4:5], v[17:20] offset:112
	s_clause 0x3
	flat_load_b64 v[12:13], v[0:1] offset:52
	flat_load_b64 v[14:15], v[0:1] offset:16
	flat_load_b32 v9, v[0:1] offset:44
	flat_load_b96 v[6:8], v[0:1]
	s_mov_b32 s0, 0
	s_mov_b32 s1, exec_lo
	s_wait_loadcnt_dscnt 0x303
	v_add_nc_u32_e32 v13, 64, v13
	s_wait_loadcnt_dscnt 0x202
	v_ashrrev_i32_e32 v16, 31, v14
	s_wait_loadcnt_dscnt 0x101
	v_sub_nc_u32_e32 v9, v15, v9
	s_wait_loadcnt_dscnt 0x0
	v_sub_nc_u32_e32 v8, v14, v8
	v_ashrrev_i32_e32 v17, 31, v13
	v_lshrrev_b32_e32 v16, 28, v16
	s_delay_alu instid0(VALU_DEP_3) | instskip(NEXT) | instid1(VALU_DEP_3)
	v_lshl_add_u32 v6, v8, 8, v6
	v_lshrrev_b32_e32 v17, 28, v17
	s_delay_alu instid0(VALU_DEP_3) | instskip(NEXT) | instid1(VALU_DEP_3)
	v_add_nc_u32_e32 v16, v14, v16
	v_sub_nc_u32_e32 v6, v6, v12
	s_delay_alu instid0(VALU_DEP_3) | instskip(NEXT) | instid1(VALU_DEP_3)
	v_add_nc_u32_e32 v17, v13, v17
	v_and_b32_e32 v15, 0xffffff0, v16
	s_delay_alu instid0(VALU_DEP_2) | instskip(NEXT) | instid1(VALU_DEP_2)
	v_lshrrev_b32_e32 v16, 4, v17
	v_sub_nc_u32_e32 v15, v14, v15
	v_and_b32_e32 v14, -16, v17
	s_delay_alu instid0(VALU_DEP_3) | instskip(NEXT) | instid1(VALU_DEP_2)
	v_add_nc_u32_e32 v9, v9, v16
	v_sub_nc_u32_e32 v8, v13, v14
	s_delay_alu instid0(VALU_DEP_2) | instskip(NEXT) | instid1(VALU_DEP_1)
	v_xor_b32_e32 v9, v9, v15
	v_sub_nc_u32_e32 v7, v9, v7
	s_delay_alu instid0(VALU_DEP_1) | instskip(NEXT) | instid1(VALU_DEP_1)
	v_lshlrev_b32_e32 v7, 4, v7
	v_add3_u32 v6, v6, v8, v7
	s_delay_alu instid0(VALU_DEP_1) | instskip(SKIP_2) | instid1(VALU_DEP_2)
	v_ashrrev_i32_e32 v7, 31, v6
	v_add_co_u32 v6, vcc_lo, v10, v6
	s_wait_alu 0xfffd
	v_add_co_ci_u32_e64 v7, null, v11, v7, vcc_lo
	flat_load_b128 v[6:9], v[6:7]
	s_wait_loadcnt_dscnt 0x0
	v_and_b32_e32 v13, 0xff, v6
	s_delay_alu instid0(VALU_DEP_1)
	v_cmpx_lt_i16_e32 0x7f, v13
	s_wait_alu 0xfffe
	s_xor_b32 s1, exec_lo, s1
	s_cbranch_execz .LBB6_276
; %bb.273:
	s_mov_b32 s0, -1
	s_mov_b32 s2, exec_lo
	v_cmpx_eq_u16_e32 0x80, v13
; %bb.274:
	s_xor_b32 s0, exec_lo, -1
; %bb.275:
	s_wait_alu 0xfffe
	s_or_b32 exec_lo, exec_lo, s2
	s_delay_alu instid0(SALU_CYCLE_1)
	s_and_b32 s0, s0, exec_lo
                                        ; implicit-def: $vgpr13
.LBB6_276:
	s_wait_alu 0xfffe
	s_or_saveexec_b32 s1, s1
	v_mov_b32_e32 v12, 0x7f800001
	s_wait_alu 0xfffe
	s_xor_b32 exec_lo, exec_lo, s1
; %bb.277:
	v_cmp_ne_u16_e32 vcc_lo, 0, v13
	v_mov_b32_e32 v12, 0
	s_and_not1_b32 s0, s0, exec_lo
	s_and_b32 s2, vcc_lo, exec_lo
	s_wait_alu 0xfffe
	s_or_b32 s0, s0, s2
; %bb.278:
	s_or_b32 exec_lo, exec_lo, s1
	v_lshrrev_b32_e32 v13, 24, v9
	v_lshrrev_b32_e32 v14, 16, v9
	;; [unrolled: 1-line block ×12, first 2 shown]
	s_wait_alu 0xfffe
	s_and_saveexec_b32 s1, s0
	s_cbranch_execz .LBB6_280
; %bb.279:
	v_lshrrev_b16 v27, 3, v6
	s_delay_alu instid0(VALU_DEP_1) | instskip(NEXT) | instid1(VALU_DEP_1)
	v_and_b32_e32 v27, 15, v27
	v_cmp_eq_u16_e32 vcc_lo, 0, v27
	v_and_b32_e32 v12, 7, v6
	v_lshrrev_b16 v6, 7, v6
	s_delay_alu instid0(VALU_DEP_2) | instskip(NEXT) | instid1(VALU_DEP_2)
	v_clz_i32_u32_e32 v25, v12
	v_lshlrev_b32_e32 v6, 31, v6
	s_delay_alu instid0(VALU_DEP_2) | instskip(NEXT) | instid1(VALU_DEP_1)
	v_min_u32_e32 v25, 32, v25
	v_subrev_nc_u32_e32 v26, 28, v25
	v_sub_nc_u32_e32 v25, 29, v25
	s_wait_alu 0xfffd
	s_delay_alu instid0(VALU_DEP_1) | instskip(NEXT) | instid1(VALU_DEP_1)
	v_dual_cndmask_b32 v25, v27, v25 :: v_dual_lshlrev_b32 v26, v26, v12
	v_lshl_add_u32 v25, v25, 23, 0x3b800000
	s_delay_alu instid0(VALU_DEP_2) | instskip(NEXT) | instid1(VALU_DEP_1)
	v_and_b32_e32 v26, 7, v26
	v_cndmask_b32_e32 v12, v12, v26, vcc_lo
	s_delay_alu instid0(VALU_DEP_1) | instskip(NEXT) | instid1(VALU_DEP_1)
	v_lshlrev_b32_e32 v12, 20, v12
	v_or3_b32 v12, v6, v25, v12
.LBB6_280:
	s_wait_alu 0xfffe
	s_or_b32 exec_lo, exec_lo, s1
	v_and_b32_e32 v25, 0xff, v16
	s_mov_b32 s0, 0
	s_mov_b32 s1, exec_lo
	s_delay_alu instid0(VALU_DEP_1)
	v_cmpx_lt_i16_e32 0x7f, v25
	s_wait_alu 0xfffe
	s_xor_b32 s1, exec_lo, s1
	s_cbranch_execnz .LBB6_785
; %bb.281:
	s_wait_alu 0xfffe
	s_or_saveexec_b32 s1, s1
	v_mov_b32_e32 v6, 0x7f800001
	s_wait_alu 0xfffe
	s_xor_b32 exec_lo, exec_lo, s1
	s_cbranch_execnz .LBB6_788
.LBB6_282:
	s_or_b32 exec_lo, exec_lo, s1
	s_and_saveexec_b32 s1, s0
	s_cbranch_execz .LBB6_284
.LBB6_283:
	v_lshrrev_b16 v27, 3, v16
	s_delay_alu instid0(VALU_DEP_1) | instskip(NEXT) | instid1(VALU_DEP_1)
	v_and_b32_e32 v27, 15, v27
	v_cmp_eq_u16_e32 vcc_lo, 0, v27
	v_and_b32_e32 v6, 7, v16
	v_lshrrev_b16 v16, 7, v16
	s_delay_alu instid0(VALU_DEP_2) | instskip(NEXT) | instid1(VALU_DEP_2)
	v_clz_i32_u32_e32 v25, v6
	v_lshlrev_b32_e32 v16, 31, v16
	s_delay_alu instid0(VALU_DEP_2) | instskip(NEXT) | instid1(VALU_DEP_1)
	v_min_u32_e32 v25, 32, v25
	v_subrev_nc_u32_e32 v26, 28, v25
	v_sub_nc_u32_e32 v25, 29, v25
	s_wait_alu 0xfffd
	s_delay_alu instid0(VALU_DEP_1) | instskip(NEXT) | instid1(VALU_DEP_1)
	v_dual_cndmask_b32 v25, v27, v25 :: v_dual_lshlrev_b32 v26, v26, v6
	v_lshl_add_u32 v25, v25, 23, 0x3b800000
	s_delay_alu instid0(VALU_DEP_2) | instskip(NEXT) | instid1(VALU_DEP_1)
	v_and_b32_e32 v26, 7, v26
	v_cndmask_b32_e32 v6, v6, v26, vcc_lo
	s_delay_alu instid0(VALU_DEP_1) | instskip(NEXT) | instid1(VALU_DEP_1)
	v_lshlrev_b32_e32 v6, 20, v6
	v_or3_b32 v6, v16, v25, v6
.LBB6_284:
	s_wait_alu 0xfffe
	s_or_b32 exec_lo, exec_lo, s1
	v_and_b32_e32 v25, 0xff, v17
	s_mov_b32 s0, 0
	s_mov_b32 s1, exec_lo
	s_delay_alu instid0(VALU_DEP_1)
	v_cmpx_lt_i16_e32 0x7f, v25
	s_wait_alu 0xfffe
	s_xor_b32 s1, exec_lo, s1
	s_cbranch_execnz .LBB6_789
; %bb.285:
	s_wait_alu 0xfffe
	s_or_saveexec_b32 s1, s1
	v_mov_b32_e32 v16, 0x7f800001
	s_wait_alu 0xfffe
	s_xor_b32 exec_lo, exec_lo, s1
	s_cbranch_execnz .LBB6_792
.LBB6_286:
	s_or_b32 exec_lo, exec_lo, s1
	s_and_saveexec_b32 s1, s0
	s_cbranch_execz .LBB6_288
.LBB6_287:
	v_and_b32_e32 v16, 7, v17
	v_lshrrev_b16 v27, 3, v17
	v_lshrrev_b16 v17, 7, v17
	s_delay_alu instid0(VALU_DEP_3) | instskip(NEXT) | instid1(VALU_DEP_3)
	v_clz_i32_u32_e32 v25, v16
	v_and_b32_e32 v27, 15, v27
	s_delay_alu instid0(VALU_DEP_3) | instskip(NEXT) | instid1(VALU_DEP_3)
	v_lshlrev_b32_e32 v17, 31, v17
	v_min_u32_e32 v25, 32, v25
	s_delay_alu instid0(VALU_DEP_3) | instskip(NEXT) | instid1(VALU_DEP_2)
	v_cmp_eq_u16_e32 vcc_lo, 0, v27
	v_subrev_nc_u32_e32 v26, 28, v25
	v_sub_nc_u32_e32 v25, 29, v25
	s_wait_alu 0xfffd
	s_delay_alu instid0(VALU_DEP_1) | instskip(NEXT) | instid1(VALU_DEP_1)
	v_dual_cndmask_b32 v25, v27, v25 :: v_dual_lshlrev_b32 v26, v26, v16
	v_and_b32_e32 v26, 7, v26
	s_delay_alu instid0(VALU_DEP_2) | instskip(NEXT) | instid1(VALU_DEP_2)
	v_lshl_add_u32 v25, v25, 23, 0x3b800000
	v_cndmask_b32_e32 v16, v16, v26, vcc_lo
	s_delay_alu instid0(VALU_DEP_1) | instskip(NEXT) | instid1(VALU_DEP_1)
	v_lshlrev_b32_e32 v16, 20, v16
	v_or3_b32 v16, v17, v25, v16
.LBB6_288:
	s_wait_alu 0xfffe
	s_or_b32 exec_lo, exec_lo, s1
	s_mov_b32 s0, 0
	s_mov_b32 s1, exec_lo
	v_cmpx_lt_i16_e32 0x7f, v18
	s_wait_alu 0xfffe
	s_xor_b32 s1, exec_lo, s1
	s_cbranch_execnz .LBB6_793
; %bb.289:
	s_wait_alu 0xfffe
	s_or_saveexec_b32 s1, s1
	v_mov_b32_e32 v17, 0x7f800001
	s_wait_alu 0xfffe
	s_xor_b32 exec_lo, exec_lo, s1
	s_cbranch_execnz .LBB6_796
.LBB6_290:
	s_or_b32 exec_lo, exec_lo, s1
	s_and_saveexec_b32 s1, s0
	s_cbranch_execz .LBB6_292
.LBB6_291:
	v_and_b32_e32 v17, 7, v18
	v_lshrrev_b16 v27, 3, v18
	v_lshrrev_b16 v18, 7, v18
	s_delay_alu instid0(VALU_DEP_3) | instskip(NEXT) | instid1(VALU_DEP_3)
	v_clz_i32_u32_e32 v25, v17
	v_and_b32_e32 v27, 15, v27
	s_delay_alu instid0(VALU_DEP_3) | instskip(NEXT) | instid1(VALU_DEP_3)
	v_lshlrev_b32_e32 v18, 31, v18
	v_min_u32_e32 v25, 32, v25
	s_delay_alu instid0(VALU_DEP_3) | instskip(NEXT) | instid1(VALU_DEP_2)
	v_cmp_eq_u16_e32 vcc_lo, 0, v27
	v_subrev_nc_u32_e32 v26, 28, v25
	v_sub_nc_u32_e32 v25, 29, v25
	s_delay_alu instid0(VALU_DEP_2) | instskip(SKIP_1) | instid1(VALU_DEP_1)
	v_lshlrev_b32_e32 v26, v26, v17
	s_wait_alu 0xfffd
	v_dual_cndmask_b32 v25, v27, v25 :: v_dual_and_b32 v26, 7, v26
	s_delay_alu instid0(VALU_DEP_1) | instskip(NEXT) | instid1(VALU_DEP_2)
	v_lshl_add_u32 v25, v25, 23, 0x3b800000
	v_cndmask_b32_e32 v17, v17, v26, vcc_lo
	s_delay_alu instid0(VALU_DEP_1) | instskip(NEXT) | instid1(VALU_DEP_1)
	v_lshlrev_b32_e32 v17, 20, v17
	v_or3_b32 v17, v18, v25, v17
.LBB6_292:
	s_wait_alu 0xfffe
	s_or_b32 exec_lo, exec_lo, s1
	v_and_b32_e32 v25, 0xff, v7
	s_mov_b32 s0, 0
	s_mov_b32 s1, exec_lo
	s_delay_alu instid0(VALU_DEP_1)
	v_cmpx_lt_i16_e32 0x7f, v25
	s_wait_alu 0xfffe
	s_xor_b32 s1, exec_lo, s1
	s_cbranch_execnz .LBB6_797
; %bb.293:
	s_wait_alu 0xfffe
	s_or_saveexec_b32 s1, s1
	v_mov_b32_e32 v18, 0x7f800001
	s_wait_alu 0xfffe
	s_xor_b32 exec_lo, exec_lo, s1
	s_cbranch_execnz .LBB6_800
.LBB6_294:
	s_or_b32 exec_lo, exec_lo, s1
	s_and_saveexec_b32 s1, s0
	s_cbranch_execz .LBB6_296
.LBB6_295:
	v_lshrrev_b16 v27, 3, v7
	s_delay_alu instid0(VALU_DEP_1) | instskip(NEXT) | instid1(VALU_DEP_1)
	v_and_b32_e32 v27, 15, v27
	v_cmp_eq_u16_e32 vcc_lo, 0, v27
	v_and_b32_e32 v18, 7, v7
	v_lshrrev_b16 v7, 7, v7
	s_delay_alu instid0(VALU_DEP_2) | instskip(NEXT) | instid1(VALU_DEP_2)
	v_clz_i32_u32_e32 v25, v18
	v_lshlrev_b32_e32 v7, 31, v7
	s_delay_alu instid0(VALU_DEP_2) | instskip(NEXT) | instid1(VALU_DEP_1)
	v_min_u32_e32 v25, 32, v25
	v_subrev_nc_u32_e32 v26, 28, v25
	v_sub_nc_u32_e32 v25, 29, v25
	s_wait_alu 0xfffd
	s_delay_alu instid0(VALU_DEP_1) | instskip(NEXT) | instid1(VALU_DEP_1)
	v_dual_cndmask_b32 v25, v27, v25 :: v_dual_lshlrev_b32 v26, v26, v18
	v_lshl_add_u32 v25, v25, 23, 0x3b800000
	s_delay_alu instid0(VALU_DEP_2) | instskip(NEXT) | instid1(VALU_DEP_1)
	v_and_b32_e32 v26, 7, v26
	v_cndmask_b32_e32 v18, v18, v26, vcc_lo
	s_delay_alu instid0(VALU_DEP_1) | instskip(NEXT) | instid1(VALU_DEP_1)
	v_lshlrev_b32_e32 v18, 20, v18
	v_or3_b32 v18, v7, v25, v18
.LBB6_296:
	s_wait_alu 0xfffe
	s_or_b32 exec_lo, exec_lo, s1
	v_and_b32_e32 v25, 0xff, v21
	s_mov_b32 s0, 0
	s_mov_b32 s1, exec_lo
	s_delay_alu instid0(VALU_DEP_1)
	v_cmpx_lt_i16_e32 0x7f, v25
	s_wait_alu 0xfffe
	s_xor_b32 s1, exec_lo, s1
	s_cbranch_execnz .LBB6_801
; %bb.297:
	s_wait_alu 0xfffe
	s_or_saveexec_b32 s1, s1
	v_mov_b32_e32 v7, 0x7f800001
	s_wait_alu 0xfffe
	s_xor_b32 exec_lo, exec_lo, s1
	s_cbranch_execnz .LBB6_804
.LBB6_298:
	s_or_b32 exec_lo, exec_lo, s1
	s_and_saveexec_b32 s1, s0
	s_cbranch_execz .LBB6_300
.LBB6_299:
	v_and_b32_e32 v7, 7, v21
	v_lshrrev_b16 v27, 3, v21
	v_lshrrev_b16 v21, 7, v21
	s_delay_alu instid0(VALU_DEP_3) | instskip(NEXT) | instid1(VALU_DEP_3)
	v_clz_i32_u32_e32 v25, v7
	v_and_b32_e32 v27, 15, v27
	s_delay_alu instid0(VALU_DEP_3) | instskip(NEXT) | instid1(VALU_DEP_3)
	v_lshlrev_b32_e32 v21, 31, v21
	v_min_u32_e32 v25, 32, v25
	s_delay_alu instid0(VALU_DEP_3) | instskip(NEXT) | instid1(VALU_DEP_2)
	v_cmp_eq_u16_e32 vcc_lo, 0, v27
	v_subrev_nc_u32_e32 v26, 28, v25
	v_sub_nc_u32_e32 v25, 29, v25
	s_wait_alu 0xfffd
	s_delay_alu instid0(VALU_DEP_1) | instskip(NEXT) | instid1(VALU_DEP_1)
	v_dual_cndmask_b32 v25, v27, v25 :: v_dual_lshlrev_b32 v26, v26, v7
	v_and_b32_e32 v26, 7, v26
	s_delay_alu instid0(VALU_DEP_2) | instskip(NEXT) | instid1(VALU_DEP_2)
	v_lshl_add_u32 v25, v25, 23, 0x3b800000
	v_cndmask_b32_e32 v7, v7, v26, vcc_lo
	s_delay_alu instid0(VALU_DEP_1) | instskip(NEXT) | instid1(VALU_DEP_1)
	v_lshlrev_b32_e32 v7, 20, v7
	v_or3_b32 v7, v21, v25, v7
.LBB6_300:
	s_wait_alu 0xfffe
	s_or_b32 exec_lo, exec_lo, s1
	v_and_b32_e32 v25, 0xff, v23
	s_mov_b32 s0, 0
	s_mov_b32 s1, exec_lo
	s_delay_alu instid0(VALU_DEP_1)
	v_cmpx_lt_i16_e32 0x7f, v25
	s_wait_alu 0xfffe
	s_xor_b32 s1, exec_lo, s1
	s_cbranch_execnz .LBB6_805
; %bb.301:
	s_wait_alu 0xfffe
	s_or_saveexec_b32 s1, s1
	v_mov_b32_e32 v21, 0x7f800001
	s_wait_alu 0xfffe
	s_xor_b32 exec_lo, exec_lo, s1
	s_cbranch_execnz .LBB6_808
.LBB6_302:
	s_or_b32 exec_lo, exec_lo, s1
	s_and_saveexec_b32 s1, s0
	s_cbranch_execz .LBB6_304
.LBB6_303:
	v_and_b32_e32 v21, 7, v23
	v_lshrrev_b16 v27, 3, v23
	v_lshrrev_b16 v23, 7, v23
	s_delay_alu instid0(VALU_DEP_3) | instskip(NEXT) | instid1(VALU_DEP_3)
	v_clz_i32_u32_e32 v25, v21
	v_and_b32_e32 v27, 15, v27
	s_delay_alu instid0(VALU_DEP_3) | instskip(NEXT) | instid1(VALU_DEP_3)
	v_lshlrev_b32_e32 v23, 31, v23
	v_min_u32_e32 v25, 32, v25
	s_delay_alu instid0(VALU_DEP_3) | instskip(NEXT) | instid1(VALU_DEP_2)
	v_cmp_eq_u16_e32 vcc_lo, 0, v27
	v_subrev_nc_u32_e32 v26, 28, v25
	v_sub_nc_u32_e32 v25, 29, v25
	s_delay_alu instid0(VALU_DEP_2) | instskip(SKIP_1) | instid1(VALU_DEP_1)
	v_lshlrev_b32_e32 v26, v26, v21
	s_wait_alu 0xfffd
	v_dual_cndmask_b32 v25, v27, v25 :: v_dual_and_b32 v26, 7, v26
	s_delay_alu instid0(VALU_DEP_1) | instskip(NEXT) | instid1(VALU_DEP_2)
	v_lshl_add_u32 v25, v25, 23, 0x3b800000
	v_cndmask_b32_e32 v21, v21, v26, vcc_lo
	s_delay_alu instid0(VALU_DEP_1) | instskip(NEXT) | instid1(VALU_DEP_1)
	v_lshlrev_b32_e32 v21, 20, v21
	v_or3_b32 v21, v23, v25, v21
.LBB6_304:
	s_wait_alu 0xfffe
	s_or_b32 exec_lo, exec_lo, s1
	s_mov_b32 s0, 0
	s_mov_b32 s1, exec_lo
	v_cmpx_lt_i16_e32 0x7f, v24
	s_wait_alu 0xfffe
	s_xor_b32 s1, exec_lo, s1
	s_cbranch_execnz .LBB6_809
; %bb.305:
	s_wait_alu 0xfffe
	s_or_saveexec_b32 s1, s1
	v_mov_b32_e32 v23, 0x7f800001
	s_wait_alu 0xfffe
	s_xor_b32 exec_lo, exec_lo, s1
	s_cbranch_execnz .LBB6_812
.LBB6_306:
	s_or_b32 exec_lo, exec_lo, s1
	s_and_saveexec_b32 s1, s0
	s_cbranch_execz .LBB6_308
.LBB6_307:
	v_and_b32_e32 v23, 7, v24
	v_lshrrev_b16 v27, 3, v24
	v_lshrrev_b16 v24, 7, v24
	s_delay_alu instid0(VALU_DEP_3) | instskip(NEXT) | instid1(VALU_DEP_3)
	v_clz_i32_u32_e32 v25, v23
	v_and_b32_e32 v27, 15, v27
	s_delay_alu instid0(VALU_DEP_3) | instskip(NEXT) | instid1(VALU_DEP_3)
	v_lshlrev_b32_e32 v24, 31, v24
	v_min_u32_e32 v25, 32, v25
	s_delay_alu instid0(VALU_DEP_3) | instskip(NEXT) | instid1(VALU_DEP_2)
	v_cmp_eq_u16_e32 vcc_lo, 0, v27
	v_subrev_nc_u32_e32 v26, 28, v25
	v_sub_nc_u32_e32 v25, 29, v25
	s_wait_alu 0xfffd
	s_delay_alu instid0(VALU_DEP_1) | instskip(NEXT) | instid1(VALU_DEP_1)
	v_dual_cndmask_b32 v25, v27, v25 :: v_dual_lshlrev_b32 v26, v26, v23
	v_and_b32_e32 v26, 7, v26
	s_delay_alu instid0(VALU_DEP_2) | instskip(NEXT) | instid1(VALU_DEP_2)
	v_lshl_add_u32 v25, v25, 23, 0x3b800000
	v_cndmask_b32_e32 v23, v23, v26, vcc_lo
	s_delay_alu instid0(VALU_DEP_1) | instskip(NEXT) | instid1(VALU_DEP_1)
	v_lshlrev_b32_e32 v23, 20, v23
	v_or3_b32 v23, v24, v25, v23
.LBB6_308:
	s_wait_alu 0xfffe
	s_or_b32 exec_lo, exec_lo, s1
	v_and_b32_e32 v25, 0xff, v8
	s_mov_b32 s0, 0
	s_mov_b32 s1, exec_lo
	s_delay_alu instid0(VALU_DEP_1)
	v_cmpx_lt_i16_e32 0x7f, v25
	s_wait_alu 0xfffe
	s_xor_b32 s1, exec_lo, s1
	s_cbranch_execnz .LBB6_813
; %bb.309:
	s_wait_alu 0xfffe
	s_or_saveexec_b32 s1, s1
	v_mov_b32_e32 v24, 0x7f800001
	s_wait_alu 0xfffe
	s_xor_b32 exec_lo, exec_lo, s1
	s_cbranch_execnz .LBB6_816
.LBB6_310:
	s_or_b32 exec_lo, exec_lo, s1
	s_and_saveexec_b32 s1, s0
	s_cbranch_execz .LBB6_312
.LBB6_311:
	v_lshrrev_b16 v27, 3, v8
	s_delay_alu instid0(VALU_DEP_1) | instskip(NEXT) | instid1(VALU_DEP_1)
	v_and_b32_e32 v27, 15, v27
	v_cmp_eq_u16_e32 vcc_lo, 0, v27
	v_and_b32_e32 v24, 7, v8
	v_lshrrev_b16 v8, 7, v8
	s_delay_alu instid0(VALU_DEP_2) | instskip(NEXT) | instid1(VALU_DEP_2)
	v_clz_i32_u32_e32 v25, v24
	v_lshlrev_b32_e32 v8, 31, v8
	s_delay_alu instid0(VALU_DEP_2) | instskip(NEXT) | instid1(VALU_DEP_1)
	v_min_u32_e32 v25, 32, v25
	v_subrev_nc_u32_e32 v26, 28, v25
	v_sub_nc_u32_e32 v25, 29, v25
	s_wait_alu 0xfffd
	s_delay_alu instid0(VALU_DEP_1) | instskip(NEXT) | instid1(VALU_DEP_1)
	v_dual_cndmask_b32 v25, v27, v25 :: v_dual_lshlrev_b32 v26, v26, v24
	v_lshl_add_u32 v25, v25, 23, 0x3b800000
	s_delay_alu instid0(VALU_DEP_2) | instskip(NEXT) | instid1(VALU_DEP_1)
	v_and_b32_e32 v26, 7, v26
	v_cndmask_b32_e32 v24, v24, v26, vcc_lo
	s_delay_alu instid0(VALU_DEP_1) | instskip(NEXT) | instid1(VALU_DEP_1)
	v_lshlrev_b32_e32 v24, 20, v24
	v_or3_b32 v24, v8, v25, v24
.LBB6_312:
	s_wait_alu 0xfffe
	s_or_b32 exec_lo, exec_lo, s1
	v_and_b32_e32 v25, 0xff, v22
	s_mov_b32 s0, 0
	s_mov_b32 s1, exec_lo
	s_delay_alu instid0(VALU_DEP_1)
	v_cmpx_lt_i16_e32 0x7f, v25
	s_wait_alu 0xfffe
	s_xor_b32 s1, exec_lo, s1
	s_cbranch_execnz .LBB6_817
; %bb.313:
	s_wait_alu 0xfffe
	s_or_saveexec_b32 s1, s1
	v_mov_b32_e32 v8, 0x7f800001
	s_wait_alu 0xfffe
	s_xor_b32 exec_lo, exec_lo, s1
	s_cbranch_execnz .LBB6_820
.LBB6_314:
	s_or_b32 exec_lo, exec_lo, s1
	s_and_saveexec_b32 s1, s0
	s_cbranch_execz .LBB6_316
.LBB6_315:
	v_lshrrev_b16 v27, 3, v22
	s_delay_alu instid0(VALU_DEP_1) | instskip(NEXT) | instid1(VALU_DEP_1)
	v_and_b32_e32 v27, 15, v27
	v_cmp_eq_u16_e32 vcc_lo, 0, v27
	v_and_b32_e32 v8, 7, v22
	v_lshrrev_b16 v22, 7, v22
	s_delay_alu instid0(VALU_DEP_2) | instskip(NEXT) | instid1(VALU_DEP_2)
	v_clz_i32_u32_e32 v25, v8
	v_lshlrev_b32_e32 v22, 31, v22
	s_delay_alu instid0(VALU_DEP_2) | instskip(NEXT) | instid1(VALU_DEP_1)
	v_min_u32_e32 v25, 32, v25
	v_subrev_nc_u32_e32 v26, 28, v25
	v_sub_nc_u32_e32 v25, 29, v25
	s_wait_alu 0xfffd
	s_delay_alu instid0(VALU_DEP_1) | instskip(NEXT) | instid1(VALU_DEP_1)
	v_dual_cndmask_b32 v25, v27, v25 :: v_dual_lshlrev_b32 v26, v26, v8
	v_lshl_add_u32 v25, v25, 23, 0x3b800000
	s_delay_alu instid0(VALU_DEP_2) | instskip(NEXT) | instid1(VALU_DEP_1)
	v_and_b32_e32 v26, 7, v26
	v_cndmask_b32_e32 v8, v8, v26, vcc_lo
	s_delay_alu instid0(VALU_DEP_1) | instskip(NEXT) | instid1(VALU_DEP_1)
	v_lshlrev_b32_e32 v8, 20, v8
	v_or3_b32 v8, v22, v25, v8
.LBB6_316:
	s_wait_alu 0xfffe
	s_or_b32 exec_lo, exec_lo, s1
	v_and_b32_e32 v25, 0xff, v20
	s_mov_b32 s0, 0
	s_mov_b32 s1, exec_lo
	s_delay_alu instid0(VALU_DEP_1)
	v_cmpx_lt_i16_e32 0x7f, v25
	s_wait_alu 0xfffe
	s_xor_b32 s1, exec_lo, s1
	s_cbranch_execnz .LBB6_821
; %bb.317:
	s_wait_alu 0xfffe
	s_or_saveexec_b32 s1, s1
	v_mov_b32_e32 v22, 0x7f800001
	s_wait_alu 0xfffe
	s_xor_b32 exec_lo, exec_lo, s1
	s_cbranch_execnz .LBB6_824
.LBB6_318:
	s_or_b32 exec_lo, exec_lo, s1
	s_and_saveexec_b32 s1, s0
	s_cbranch_execz .LBB6_320
.LBB6_319:
	v_lshrrev_b16 v27, 3, v20
	s_delay_alu instid0(VALU_DEP_1) | instskip(NEXT) | instid1(VALU_DEP_1)
	v_and_b32_e32 v27, 15, v27
	v_cmp_eq_u16_e32 vcc_lo, 0, v27
	v_and_b32_e32 v22, 7, v20
	v_lshrrev_b16 v20, 7, v20
	s_delay_alu instid0(VALU_DEP_2) | instskip(NEXT) | instid1(VALU_DEP_2)
	v_clz_i32_u32_e32 v25, v22
	v_lshlrev_b32_e32 v20, 31, v20
	s_delay_alu instid0(VALU_DEP_2) | instskip(NEXT) | instid1(VALU_DEP_1)
	v_min_u32_e32 v25, 32, v25
	v_subrev_nc_u32_e32 v26, 28, v25
	v_sub_nc_u32_e32 v25, 29, v25
	s_wait_alu 0xfffd
	s_delay_alu instid0(VALU_DEP_1) | instskip(NEXT) | instid1(VALU_DEP_1)
	v_dual_cndmask_b32 v25, v27, v25 :: v_dual_lshlrev_b32 v26, v26, v22
	v_lshl_add_u32 v25, v25, 23, 0x3b800000
	s_delay_alu instid0(VALU_DEP_2) | instskip(NEXT) | instid1(VALU_DEP_1)
	v_and_b32_e32 v26, 7, v26
	v_cndmask_b32_e32 v22, v22, v26, vcc_lo
	s_delay_alu instid0(VALU_DEP_1) | instskip(NEXT) | instid1(VALU_DEP_1)
	v_lshlrev_b32_e32 v22, 20, v22
	v_or3_b32 v22, v20, v25, v22
.LBB6_320:
	s_wait_alu 0xfffe
	s_or_b32 exec_lo, exec_lo, s1
	s_mov_b32 s0, 0
	s_mov_b32 s1, exec_lo
	v_cmpx_lt_i16_e32 0x7f, v19
	s_wait_alu 0xfffe
	s_xor_b32 s1, exec_lo, s1
	s_cbranch_execnz .LBB6_825
; %bb.321:
	s_wait_alu 0xfffe
	s_or_saveexec_b32 s1, s1
	v_mov_b32_e32 v20, 0x7f800001
	s_wait_alu 0xfffe
	s_xor_b32 exec_lo, exec_lo, s1
	s_cbranch_execnz .LBB6_828
.LBB6_322:
	s_or_b32 exec_lo, exec_lo, s1
	s_and_saveexec_b32 s1, s0
	s_cbranch_execz .LBB6_324
.LBB6_323:
	v_lshrrev_b16 v27, 3, v19
	s_delay_alu instid0(VALU_DEP_1) | instskip(NEXT) | instid1(VALU_DEP_1)
	v_and_b32_e32 v27, 15, v27
	v_cmp_eq_u16_e32 vcc_lo, 0, v27
	v_and_b32_e32 v20, 7, v19
	v_lshrrev_b16 v19, 7, v19
	s_delay_alu instid0(VALU_DEP_2) | instskip(NEXT) | instid1(VALU_DEP_2)
	v_clz_i32_u32_e32 v25, v20
	v_lshlrev_b32_e32 v19, 31, v19
	s_delay_alu instid0(VALU_DEP_2) | instskip(NEXT) | instid1(VALU_DEP_1)
	v_min_u32_e32 v25, 32, v25
	v_subrev_nc_u32_e32 v26, 28, v25
	v_sub_nc_u32_e32 v25, 29, v25
	s_wait_alu 0xfffd
	s_delay_alu instid0(VALU_DEP_1) | instskip(NEXT) | instid1(VALU_DEP_1)
	v_dual_cndmask_b32 v25, v27, v25 :: v_dual_lshlrev_b32 v26, v26, v20
	v_lshl_add_u32 v25, v25, 23, 0x3b800000
	s_delay_alu instid0(VALU_DEP_2) | instskip(NEXT) | instid1(VALU_DEP_1)
	v_and_b32_e32 v26, 7, v26
	v_cndmask_b32_e32 v20, v20, v26, vcc_lo
	s_delay_alu instid0(VALU_DEP_1) | instskip(NEXT) | instid1(VALU_DEP_1)
	v_lshlrev_b32_e32 v20, 20, v20
	v_or3_b32 v20, v19, v25, v20
.LBB6_324:
	s_wait_alu 0xfffe
	s_or_b32 exec_lo, exec_lo, s1
	v_and_b32_e32 v25, 0xff, v9
	s_mov_b32 s0, 0
	s_mov_b32 s1, exec_lo
	s_delay_alu instid0(VALU_DEP_1)
	v_cmpx_lt_i16_e32 0x7f, v25
	s_wait_alu 0xfffe
	s_xor_b32 s1, exec_lo, s1
	s_cbranch_execnz .LBB6_829
; %bb.325:
	s_wait_alu 0xfffe
	s_or_saveexec_b32 s1, s1
	v_mov_b32_e32 v19, 0x7f800001
	s_wait_alu 0xfffe
	s_xor_b32 exec_lo, exec_lo, s1
	s_cbranch_execnz .LBB6_832
.LBB6_326:
	s_or_b32 exec_lo, exec_lo, s1
	s_and_saveexec_b32 s1, s0
	s_cbranch_execz .LBB6_328
.LBB6_327:
	v_and_b32_e32 v19, 7, v9
	v_lshrrev_b16 v27, 3, v9
	v_lshrrev_b16 v9, 7, v9
	s_delay_alu instid0(VALU_DEP_3) | instskip(NEXT) | instid1(VALU_DEP_3)
	v_clz_i32_u32_e32 v25, v19
	v_and_b32_e32 v27, 15, v27
	s_delay_alu instid0(VALU_DEP_3) | instskip(NEXT) | instid1(VALU_DEP_3)
	v_lshlrev_b32_e32 v9, 31, v9
	v_min_u32_e32 v25, 32, v25
	s_delay_alu instid0(VALU_DEP_3) | instskip(NEXT) | instid1(VALU_DEP_2)
	v_cmp_eq_u16_e32 vcc_lo, 0, v27
	v_subrev_nc_u32_e32 v26, 28, v25
	v_sub_nc_u32_e32 v25, 29, v25
	s_wait_alu 0xfffd
	s_delay_alu instid0(VALU_DEP_1) | instskip(NEXT) | instid1(VALU_DEP_1)
	v_dual_cndmask_b32 v25, v27, v25 :: v_dual_lshlrev_b32 v26, v26, v19
	v_and_b32_e32 v26, 7, v26
	s_delay_alu instid0(VALU_DEP_2) | instskip(NEXT) | instid1(VALU_DEP_2)
	v_lshl_add_u32 v25, v25, 23, 0x3b800000
	v_cndmask_b32_e32 v19, v19, v26, vcc_lo
	s_delay_alu instid0(VALU_DEP_1) | instskip(NEXT) | instid1(VALU_DEP_1)
	v_lshlrev_b32_e32 v19, 20, v19
	v_or3_b32 v19, v9, v25, v19
.LBB6_328:
	s_wait_alu 0xfffe
	s_or_b32 exec_lo, exec_lo, s1
	v_and_b32_e32 v25, 0xff, v15
	s_mov_b32 s0, 0
	s_mov_b32 s1, exec_lo
	s_delay_alu instid0(VALU_DEP_1)
	v_cmpx_lt_i16_e32 0x7f, v25
	s_wait_alu 0xfffe
	s_xor_b32 s1, exec_lo, s1
	s_cbranch_execnz .LBB6_833
; %bb.329:
	s_wait_alu 0xfffe
	s_or_saveexec_b32 s1, s1
	v_mov_b32_e32 v9, 0x7f800001
	s_wait_alu 0xfffe
	s_xor_b32 exec_lo, exec_lo, s1
	s_cbranch_execnz .LBB6_836
.LBB6_330:
	s_or_b32 exec_lo, exec_lo, s1
	s_and_saveexec_b32 s1, s0
	s_cbranch_execz .LBB6_332
.LBB6_331:
	v_and_b32_e32 v9, 7, v15
	v_lshrrev_b16 v27, 3, v15
	v_lshrrev_b16 v15, 7, v15
	s_delay_alu instid0(VALU_DEP_3) | instskip(NEXT) | instid1(VALU_DEP_3)
	v_clz_i32_u32_e32 v25, v9
	v_and_b32_e32 v27, 15, v27
	s_delay_alu instid0(VALU_DEP_3) | instskip(NEXT) | instid1(VALU_DEP_3)
	v_lshlrev_b32_e32 v15, 31, v15
	v_min_u32_e32 v25, 32, v25
	s_delay_alu instid0(VALU_DEP_3) | instskip(NEXT) | instid1(VALU_DEP_2)
	v_cmp_eq_u16_e32 vcc_lo, 0, v27
	v_subrev_nc_u32_e32 v26, 28, v25
	v_sub_nc_u32_e32 v25, 29, v25
	s_delay_alu instid0(VALU_DEP_2) | instskip(SKIP_1) | instid1(VALU_DEP_1)
	v_lshlrev_b32_e32 v26, v26, v9
	s_wait_alu 0xfffd
	v_dual_cndmask_b32 v25, v27, v25 :: v_dual_and_b32 v26, 7, v26
	s_delay_alu instid0(VALU_DEP_1) | instskip(NEXT) | instid1(VALU_DEP_2)
	v_lshl_add_u32 v25, v25, 23, 0x3b800000
	v_cndmask_b32_e32 v9, v9, v26, vcc_lo
	s_delay_alu instid0(VALU_DEP_1) | instskip(NEXT) | instid1(VALU_DEP_1)
	v_lshlrev_b32_e32 v9, 20, v9
	v_or3_b32 v9, v15, v25, v9
.LBB6_332:
	s_wait_alu 0xfffe
	s_or_b32 exec_lo, exec_lo, s1
	v_and_b32_e32 v25, 0xff, v14
	s_mov_b32 s0, 0
	s_mov_b32 s1, exec_lo
	s_delay_alu instid0(VALU_DEP_1)
	v_cmpx_lt_i16_e32 0x7f, v25
	s_wait_alu 0xfffe
	s_xor_b32 s1, exec_lo, s1
	s_cbranch_execnz .LBB6_837
; %bb.333:
	s_wait_alu 0xfffe
	s_or_saveexec_b32 s1, s1
	v_mov_b32_e32 v15, 0x7f800001
	s_wait_alu 0xfffe
	s_xor_b32 exec_lo, exec_lo, s1
	s_cbranch_execnz .LBB6_840
.LBB6_334:
	s_or_b32 exec_lo, exec_lo, s1
	s_and_saveexec_b32 s1, s0
	s_cbranch_execz .LBB6_336
.LBB6_335:
	v_and_b32_e32 v15, 7, v14
	v_lshrrev_b16 v27, 3, v14
	v_lshrrev_b16 v14, 7, v14
	s_delay_alu instid0(VALU_DEP_3) | instskip(NEXT) | instid1(VALU_DEP_3)
	v_clz_i32_u32_e32 v25, v15
	v_and_b32_e32 v27, 15, v27
	s_delay_alu instid0(VALU_DEP_3) | instskip(NEXT) | instid1(VALU_DEP_3)
	v_lshlrev_b32_e32 v14, 31, v14
	v_min_u32_e32 v25, 32, v25
	s_delay_alu instid0(VALU_DEP_3) | instskip(NEXT) | instid1(VALU_DEP_2)
	v_cmp_eq_u16_e32 vcc_lo, 0, v27
	v_subrev_nc_u32_e32 v26, 28, v25
	v_sub_nc_u32_e32 v25, 29, v25
	s_wait_alu 0xfffd
	s_delay_alu instid0(VALU_DEP_1) | instskip(NEXT) | instid1(VALU_DEP_1)
	v_dual_cndmask_b32 v25, v27, v25 :: v_dual_lshlrev_b32 v26, v26, v15
	v_and_b32_e32 v26, 7, v26
	s_delay_alu instid0(VALU_DEP_2) | instskip(NEXT) | instid1(VALU_DEP_2)
	v_lshl_add_u32 v25, v25, 23, 0x3b800000
	v_cndmask_b32_e32 v15, v15, v26, vcc_lo
	s_delay_alu instid0(VALU_DEP_1) | instskip(NEXT) | instid1(VALU_DEP_1)
	v_lshlrev_b32_e32 v15, 20, v15
	v_or3_b32 v15, v14, v25, v15
.LBB6_336:
	s_wait_alu 0xfffe
	s_or_b32 exec_lo, exec_lo, s1
	s_mov_b32 s0, 0
	s_mov_b32 s1, exec_lo
	v_cmpx_lt_i16_e32 0x7f, v13
	s_wait_alu 0xfffe
	s_xor_b32 s1, exec_lo, s1
	s_cbranch_execnz .LBB6_841
; %bb.337:
	s_wait_alu 0xfffe
	s_or_saveexec_b32 s1, s1
	v_mov_b32_e32 v14, 0x7f800001
	s_wait_alu 0xfffe
	s_xor_b32 exec_lo, exec_lo, s1
	s_cbranch_execnz .LBB6_844
.LBB6_338:
	s_or_b32 exec_lo, exec_lo, s1
	s_and_saveexec_b32 s1, s0
	s_cbranch_execz .LBB6_340
.LBB6_339:
	v_and_b32_e32 v14, 7, v13
	v_lshrrev_b16 v27, 3, v13
	v_lshrrev_b16 v13, 7, v13
	s_delay_alu instid0(VALU_DEP_3) | instskip(NEXT) | instid1(VALU_DEP_3)
	v_clz_i32_u32_e32 v25, v14
	v_and_b32_e32 v27, 15, v27
	s_delay_alu instid0(VALU_DEP_3) | instskip(NEXT) | instid1(VALU_DEP_3)
	v_lshlrev_b32_e32 v13, 31, v13
	v_min_u32_e32 v25, 32, v25
	s_delay_alu instid0(VALU_DEP_3) | instskip(NEXT) | instid1(VALU_DEP_2)
	v_cmp_eq_u16_e32 vcc_lo, 0, v27
	v_subrev_nc_u32_e32 v26, 28, v25
	v_sub_nc_u32_e32 v25, 29, v25
	s_wait_alu 0xfffd
	s_delay_alu instid0(VALU_DEP_1) | instskip(NEXT) | instid1(VALU_DEP_1)
	v_dual_cndmask_b32 v25, v27, v25 :: v_dual_lshlrev_b32 v26, v26, v14
	v_and_b32_e32 v26, 7, v26
	s_delay_alu instid0(VALU_DEP_2) | instskip(NEXT) | instid1(VALU_DEP_2)
	v_lshl_add_u32 v25, v25, 23, 0x3b800000
	v_cndmask_b32_e32 v14, v14, v26, vcc_lo
	s_delay_alu instid0(VALU_DEP_1) | instskip(NEXT) | instid1(VALU_DEP_1)
	v_lshlrev_b32_e32 v14, 20, v14
	v_or3_b32 v14, v13, v25, v14
.LBB6_340:
	s_wait_alu 0xfffe
	s_or_b32 exec_lo, exec_lo, s1
	v_cvt_pk_rtz_f16_f32_e32 v25, v12, v6
	v_cvt_pk_rtz_f16_f32_e32 v26, v16, v17
	;; [unrolled: 1-line block ×8, first 2 shown]
	s_clause 0x1
	flat_store_b128 v[4:5], v[25:28] offset:128
	flat_store_b128 v[4:5], v[17:20] offset:144
	s_clause 0x3
	flat_load_b64 v[12:13], v[0:1] offset:52
	flat_load_b64 v[14:15], v[0:1] offset:16
	flat_load_b32 v9, v[0:1] offset:44
	flat_load_b96 v[6:8], v[0:1]
	s_mov_b32 s0, 0
	s_mov_b32 s1, exec_lo
	s_wait_loadcnt_dscnt 0x303
	v_add_nc_u32_e32 v13, 0x50, v13
	s_wait_loadcnt_dscnt 0x202
	v_ashrrev_i32_e32 v16, 31, v14
	s_wait_loadcnt_dscnt 0x101
	v_sub_nc_u32_e32 v9, v15, v9
	s_wait_loadcnt_dscnt 0x0
	v_sub_nc_u32_e32 v8, v14, v8
	v_ashrrev_i32_e32 v17, 31, v13
	v_lshrrev_b32_e32 v16, 28, v16
	s_delay_alu instid0(VALU_DEP_3) | instskip(NEXT) | instid1(VALU_DEP_3)
	v_lshl_add_u32 v6, v8, 8, v6
	v_lshrrev_b32_e32 v17, 28, v17
	s_delay_alu instid0(VALU_DEP_3) | instskip(NEXT) | instid1(VALU_DEP_3)
	v_add_nc_u32_e32 v16, v14, v16
	v_sub_nc_u32_e32 v6, v6, v12
	s_delay_alu instid0(VALU_DEP_3) | instskip(NEXT) | instid1(VALU_DEP_3)
	v_add_nc_u32_e32 v17, v13, v17
	v_and_b32_e32 v15, 0xffffff0, v16
	s_delay_alu instid0(VALU_DEP_2) | instskip(NEXT) | instid1(VALU_DEP_2)
	v_lshrrev_b32_e32 v16, 4, v17
	v_sub_nc_u32_e32 v15, v14, v15
	v_and_b32_e32 v14, -16, v17
	s_delay_alu instid0(VALU_DEP_3) | instskip(NEXT) | instid1(VALU_DEP_2)
	v_add_nc_u32_e32 v9, v9, v16
	v_sub_nc_u32_e32 v8, v13, v14
	s_delay_alu instid0(VALU_DEP_2) | instskip(NEXT) | instid1(VALU_DEP_1)
	v_xor_b32_e32 v9, v9, v15
	v_sub_nc_u32_e32 v7, v9, v7
	s_delay_alu instid0(VALU_DEP_1) | instskip(NEXT) | instid1(VALU_DEP_1)
	v_lshlrev_b32_e32 v7, 4, v7
	v_add3_u32 v6, v6, v8, v7
	s_delay_alu instid0(VALU_DEP_1) | instskip(SKIP_2) | instid1(VALU_DEP_2)
	v_ashrrev_i32_e32 v7, 31, v6
	v_add_co_u32 v6, vcc_lo, v10, v6
	s_wait_alu 0xfffd
	v_add_co_ci_u32_e64 v7, null, v11, v7, vcc_lo
	flat_load_b128 v[6:9], v[6:7]
	s_wait_loadcnt_dscnt 0x0
	v_and_b32_e32 v13, 0xff, v6
	s_delay_alu instid0(VALU_DEP_1)
	v_cmpx_lt_i16_e32 0x7f, v13
	s_wait_alu 0xfffe
	s_xor_b32 s1, exec_lo, s1
	s_cbranch_execz .LBB6_344
; %bb.341:
	s_mov_b32 s0, -1
	s_mov_b32 s2, exec_lo
	v_cmpx_eq_u16_e32 0x80, v13
; %bb.342:
	s_xor_b32 s0, exec_lo, -1
; %bb.343:
	s_wait_alu 0xfffe
	s_or_b32 exec_lo, exec_lo, s2
	s_delay_alu instid0(SALU_CYCLE_1)
	s_and_b32 s0, s0, exec_lo
                                        ; implicit-def: $vgpr13
.LBB6_344:
	s_wait_alu 0xfffe
	s_or_saveexec_b32 s1, s1
	v_mov_b32_e32 v12, 0x7f800001
	s_wait_alu 0xfffe
	s_xor_b32 exec_lo, exec_lo, s1
; %bb.345:
	v_cmp_ne_u16_e32 vcc_lo, 0, v13
	v_mov_b32_e32 v12, 0
	s_and_not1_b32 s0, s0, exec_lo
	s_and_b32 s2, vcc_lo, exec_lo
	s_wait_alu 0xfffe
	s_or_b32 s0, s0, s2
; %bb.346:
	s_or_b32 exec_lo, exec_lo, s1
	v_lshrrev_b32_e32 v13, 24, v9
	v_lshrrev_b32_e32 v14, 16, v9
	;; [unrolled: 1-line block ×12, first 2 shown]
	s_wait_alu 0xfffe
	s_and_saveexec_b32 s1, s0
	s_cbranch_execz .LBB6_348
; %bb.347:
	v_lshrrev_b16 v27, 3, v6
	s_delay_alu instid0(VALU_DEP_1) | instskip(NEXT) | instid1(VALU_DEP_1)
	v_and_b32_e32 v27, 15, v27
	v_cmp_eq_u16_e32 vcc_lo, 0, v27
	v_and_b32_e32 v12, 7, v6
	v_lshrrev_b16 v6, 7, v6
	s_delay_alu instid0(VALU_DEP_2) | instskip(NEXT) | instid1(VALU_DEP_2)
	v_clz_i32_u32_e32 v25, v12
	v_lshlrev_b32_e32 v6, 31, v6
	s_delay_alu instid0(VALU_DEP_2) | instskip(NEXT) | instid1(VALU_DEP_1)
	v_min_u32_e32 v25, 32, v25
	v_subrev_nc_u32_e32 v26, 28, v25
	v_sub_nc_u32_e32 v25, 29, v25
	s_wait_alu 0xfffd
	s_delay_alu instid0(VALU_DEP_1) | instskip(NEXT) | instid1(VALU_DEP_1)
	v_dual_cndmask_b32 v25, v27, v25 :: v_dual_lshlrev_b32 v26, v26, v12
	v_lshl_add_u32 v25, v25, 23, 0x3b800000
	s_delay_alu instid0(VALU_DEP_2) | instskip(NEXT) | instid1(VALU_DEP_1)
	v_and_b32_e32 v26, 7, v26
	v_cndmask_b32_e32 v12, v12, v26, vcc_lo
	s_delay_alu instid0(VALU_DEP_1) | instskip(NEXT) | instid1(VALU_DEP_1)
	v_lshlrev_b32_e32 v12, 20, v12
	v_or3_b32 v12, v6, v25, v12
.LBB6_348:
	s_wait_alu 0xfffe
	s_or_b32 exec_lo, exec_lo, s1
	v_and_b32_e32 v25, 0xff, v16
	s_mov_b32 s0, 0
	s_mov_b32 s1, exec_lo
	s_delay_alu instid0(VALU_DEP_1)
	v_cmpx_lt_i16_e32 0x7f, v25
	s_wait_alu 0xfffe
	s_xor_b32 s1, exec_lo, s1
	s_cbranch_execnz .LBB6_845
; %bb.349:
	s_wait_alu 0xfffe
	s_or_saveexec_b32 s1, s1
	v_mov_b32_e32 v6, 0x7f800001
	s_wait_alu 0xfffe
	s_xor_b32 exec_lo, exec_lo, s1
	s_cbranch_execnz .LBB6_848
.LBB6_350:
	s_or_b32 exec_lo, exec_lo, s1
	s_and_saveexec_b32 s1, s0
	s_cbranch_execz .LBB6_352
.LBB6_351:
	v_lshrrev_b16 v27, 3, v16
	s_delay_alu instid0(VALU_DEP_1) | instskip(NEXT) | instid1(VALU_DEP_1)
	v_and_b32_e32 v27, 15, v27
	v_cmp_eq_u16_e32 vcc_lo, 0, v27
	v_and_b32_e32 v6, 7, v16
	v_lshrrev_b16 v16, 7, v16
	s_delay_alu instid0(VALU_DEP_2) | instskip(NEXT) | instid1(VALU_DEP_2)
	v_clz_i32_u32_e32 v25, v6
	v_lshlrev_b32_e32 v16, 31, v16
	s_delay_alu instid0(VALU_DEP_2) | instskip(NEXT) | instid1(VALU_DEP_1)
	v_min_u32_e32 v25, 32, v25
	v_subrev_nc_u32_e32 v26, 28, v25
	v_sub_nc_u32_e32 v25, 29, v25
	s_wait_alu 0xfffd
	s_delay_alu instid0(VALU_DEP_1) | instskip(NEXT) | instid1(VALU_DEP_1)
	v_dual_cndmask_b32 v25, v27, v25 :: v_dual_lshlrev_b32 v26, v26, v6
	v_lshl_add_u32 v25, v25, 23, 0x3b800000
	s_delay_alu instid0(VALU_DEP_2) | instskip(NEXT) | instid1(VALU_DEP_1)
	v_and_b32_e32 v26, 7, v26
	v_cndmask_b32_e32 v6, v6, v26, vcc_lo
	s_delay_alu instid0(VALU_DEP_1) | instskip(NEXT) | instid1(VALU_DEP_1)
	v_lshlrev_b32_e32 v6, 20, v6
	v_or3_b32 v6, v16, v25, v6
.LBB6_352:
	s_wait_alu 0xfffe
	s_or_b32 exec_lo, exec_lo, s1
	v_and_b32_e32 v25, 0xff, v17
	s_mov_b32 s0, 0
	s_mov_b32 s1, exec_lo
	s_delay_alu instid0(VALU_DEP_1)
	v_cmpx_lt_i16_e32 0x7f, v25
	s_wait_alu 0xfffe
	s_xor_b32 s1, exec_lo, s1
	s_cbranch_execnz .LBB6_849
; %bb.353:
	s_wait_alu 0xfffe
	s_or_saveexec_b32 s1, s1
	v_mov_b32_e32 v16, 0x7f800001
	s_wait_alu 0xfffe
	s_xor_b32 exec_lo, exec_lo, s1
	s_cbranch_execnz .LBB6_852
.LBB6_354:
	s_or_b32 exec_lo, exec_lo, s1
	s_and_saveexec_b32 s1, s0
	s_cbranch_execz .LBB6_356
.LBB6_355:
	v_and_b32_e32 v16, 7, v17
	v_lshrrev_b16 v27, 3, v17
	v_lshrrev_b16 v17, 7, v17
	s_delay_alu instid0(VALU_DEP_3) | instskip(NEXT) | instid1(VALU_DEP_3)
	v_clz_i32_u32_e32 v25, v16
	v_and_b32_e32 v27, 15, v27
	s_delay_alu instid0(VALU_DEP_3) | instskip(NEXT) | instid1(VALU_DEP_3)
	v_lshlrev_b32_e32 v17, 31, v17
	v_min_u32_e32 v25, 32, v25
	s_delay_alu instid0(VALU_DEP_3) | instskip(NEXT) | instid1(VALU_DEP_2)
	v_cmp_eq_u16_e32 vcc_lo, 0, v27
	v_subrev_nc_u32_e32 v26, 28, v25
	v_sub_nc_u32_e32 v25, 29, v25
	s_wait_alu 0xfffd
	s_delay_alu instid0(VALU_DEP_1) | instskip(NEXT) | instid1(VALU_DEP_1)
	v_dual_cndmask_b32 v25, v27, v25 :: v_dual_lshlrev_b32 v26, v26, v16
	v_and_b32_e32 v26, 7, v26
	s_delay_alu instid0(VALU_DEP_2) | instskip(NEXT) | instid1(VALU_DEP_2)
	v_lshl_add_u32 v25, v25, 23, 0x3b800000
	v_cndmask_b32_e32 v16, v16, v26, vcc_lo
	s_delay_alu instid0(VALU_DEP_1) | instskip(NEXT) | instid1(VALU_DEP_1)
	v_lshlrev_b32_e32 v16, 20, v16
	v_or3_b32 v16, v17, v25, v16
.LBB6_356:
	s_wait_alu 0xfffe
	s_or_b32 exec_lo, exec_lo, s1
	s_mov_b32 s0, 0
	s_mov_b32 s1, exec_lo
	v_cmpx_lt_i16_e32 0x7f, v18
	s_wait_alu 0xfffe
	s_xor_b32 s1, exec_lo, s1
	s_cbranch_execnz .LBB6_853
; %bb.357:
	s_wait_alu 0xfffe
	s_or_saveexec_b32 s1, s1
	v_mov_b32_e32 v17, 0x7f800001
	s_wait_alu 0xfffe
	s_xor_b32 exec_lo, exec_lo, s1
	s_cbranch_execnz .LBB6_856
.LBB6_358:
	s_or_b32 exec_lo, exec_lo, s1
	s_and_saveexec_b32 s1, s0
	s_cbranch_execz .LBB6_360
.LBB6_359:
	v_and_b32_e32 v17, 7, v18
	v_lshrrev_b16 v27, 3, v18
	v_lshrrev_b16 v18, 7, v18
	s_delay_alu instid0(VALU_DEP_3) | instskip(NEXT) | instid1(VALU_DEP_3)
	v_clz_i32_u32_e32 v25, v17
	v_and_b32_e32 v27, 15, v27
	s_delay_alu instid0(VALU_DEP_3) | instskip(NEXT) | instid1(VALU_DEP_3)
	v_lshlrev_b32_e32 v18, 31, v18
	v_min_u32_e32 v25, 32, v25
	s_delay_alu instid0(VALU_DEP_3) | instskip(NEXT) | instid1(VALU_DEP_2)
	v_cmp_eq_u16_e32 vcc_lo, 0, v27
	v_subrev_nc_u32_e32 v26, 28, v25
	v_sub_nc_u32_e32 v25, 29, v25
	s_delay_alu instid0(VALU_DEP_2) | instskip(SKIP_1) | instid1(VALU_DEP_1)
	v_lshlrev_b32_e32 v26, v26, v17
	s_wait_alu 0xfffd
	v_dual_cndmask_b32 v25, v27, v25 :: v_dual_and_b32 v26, 7, v26
	s_delay_alu instid0(VALU_DEP_1) | instskip(NEXT) | instid1(VALU_DEP_2)
	v_lshl_add_u32 v25, v25, 23, 0x3b800000
	v_cndmask_b32_e32 v17, v17, v26, vcc_lo
	s_delay_alu instid0(VALU_DEP_1) | instskip(NEXT) | instid1(VALU_DEP_1)
	v_lshlrev_b32_e32 v17, 20, v17
	v_or3_b32 v17, v18, v25, v17
.LBB6_360:
	s_wait_alu 0xfffe
	s_or_b32 exec_lo, exec_lo, s1
	v_and_b32_e32 v25, 0xff, v7
	s_mov_b32 s0, 0
	s_mov_b32 s1, exec_lo
	s_delay_alu instid0(VALU_DEP_1)
	v_cmpx_lt_i16_e32 0x7f, v25
	s_wait_alu 0xfffe
	s_xor_b32 s1, exec_lo, s1
	s_cbranch_execnz .LBB6_857
; %bb.361:
	s_wait_alu 0xfffe
	s_or_saveexec_b32 s1, s1
	v_mov_b32_e32 v18, 0x7f800001
	s_wait_alu 0xfffe
	s_xor_b32 exec_lo, exec_lo, s1
	s_cbranch_execnz .LBB6_860
.LBB6_362:
	s_or_b32 exec_lo, exec_lo, s1
	s_and_saveexec_b32 s1, s0
	s_cbranch_execz .LBB6_364
.LBB6_363:
	v_lshrrev_b16 v27, 3, v7
	s_delay_alu instid0(VALU_DEP_1) | instskip(NEXT) | instid1(VALU_DEP_1)
	v_and_b32_e32 v27, 15, v27
	v_cmp_eq_u16_e32 vcc_lo, 0, v27
	v_and_b32_e32 v18, 7, v7
	v_lshrrev_b16 v7, 7, v7
	s_delay_alu instid0(VALU_DEP_2) | instskip(NEXT) | instid1(VALU_DEP_2)
	v_clz_i32_u32_e32 v25, v18
	v_lshlrev_b32_e32 v7, 31, v7
	s_delay_alu instid0(VALU_DEP_2) | instskip(NEXT) | instid1(VALU_DEP_1)
	v_min_u32_e32 v25, 32, v25
	v_subrev_nc_u32_e32 v26, 28, v25
	v_sub_nc_u32_e32 v25, 29, v25
	s_wait_alu 0xfffd
	s_delay_alu instid0(VALU_DEP_1) | instskip(NEXT) | instid1(VALU_DEP_1)
	v_dual_cndmask_b32 v25, v27, v25 :: v_dual_lshlrev_b32 v26, v26, v18
	v_lshl_add_u32 v25, v25, 23, 0x3b800000
	s_delay_alu instid0(VALU_DEP_2) | instskip(NEXT) | instid1(VALU_DEP_1)
	v_and_b32_e32 v26, 7, v26
	v_cndmask_b32_e32 v18, v18, v26, vcc_lo
	s_delay_alu instid0(VALU_DEP_1) | instskip(NEXT) | instid1(VALU_DEP_1)
	v_lshlrev_b32_e32 v18, 20, v18
	v_or3_b32 v18, v7, v25, v18
.LBB6_364:
	s_wait_alu 0xfffe
	s_or_b32 exec_lo, exec_lo, s1
	v_and_b32_e32 v25, 0xff, v21
	s_mov_b32 s0, 0
	s_mov_b32 s1, exec_lo
	s_delay_alu instid0(VALU_DEP_1)
	v_cmpx_lt_i16_e32 0x7f, v25
	s_wait_alu 0xfffe
	s_xor_b32 s1, exec_lo, s1
	s_cbranch_execnz .LBB6_861
; %bb.365:
	s_wait_alu 0xfffe
	s_or_saveexec_b32 s1, s1
	v_mov_b32_e32 v7, 0x7f800001
	s_wait_alu 0xfffe
	s_xor_b32 exec_lo, exec_lo, s1
	s_cbranch_execnz .LBB6_864
.LBB6_366:
	s_or_b32 exec_lo, exec_lo, s1
	s_and_saveexec_b32 s1, s0
	s_cbranch_execz .LBB6_368
.LBB6_367:
	v_and_b32_e32 v7, 7, v21
	v_lshrrev_b16 v27, 3, v21
	v_lshrrev_b16 v21, 7, v21
	s_delay_alu instid0(VALU_DEP_3) | instskip(NEXT) | instid1(VALU_DEP_3)
	v_clz_i32_u32_e32 v25, v7
	v_and_b32_e32 v27, 15, v27
	s_delay_alu instid0(VALU_DEP_3) | instskip(NEXT) | instid1(VALU_DEP_3)
	v_lshlrev_b32_e32 v21, 31, v21
	v_min_u32_e32 v25, 32, v25
	s_delay_alu instid0(VALU_DEP_3) | instskip(NEXT) | instid1(VALU_DEP_2)
	v_cmp_eq_u16_e32 vcc_lo, 0, v27
	v_subrev_nc_u32_e32 v26, 28, v25
	v_sub_nc_u32_e32 v25, 29, v25
	s_wait_alu 0xfffd
	s_delay_alu instid0(VALU_DEP_1) | instskip(NEXT) | instid1(VALU_DEP_1)
	v_dual_cndmask_b32 v25, v27, v25 :: v_dual_lshlrev_b32 v26, v26, v7
	v_and_b32_e32 v26, 7, v26
	s_delay_alu instid0(VALU_DEP_2) | instskip(NEXT) | instid1(VALU_DEP_2)
	v_lshl_add_u32 v25, v25, 23, 0x3b800000
	v_cndmask_b32_e32 v7, v7, v26, vcc_lo
	s_delay_alu instid0(VALU_DEP_1) | instskip(NEXT) | instid1(VALU_DEP_1)
	v_lshlrev_b32_e32 v7, 20, v7
	v_or3_b32 v7, v21, v25, v7
.LBB6_368:
	s_wait_alu 0xfffe
	s_or_b32 exec_lo, exec_lo, s1
	v_and_b32_e32 v25, 0xff, v23
	s_mov_b32 s0, 0
	s_mov_b32 s1, exec_lo
	s_delay_alu instid0(VALU_DEP_1)
	v_cmpx_lt_i16_e32 0x7f, v25
	s_wait_alu 0xfffe
	s_xor_b32 s1, exec_lo, s1
	s_cbranch_execnz .LBB6_865
; %bb.369:
	s_wait_alu 0xfffe
	s_or_saveexec_b32 s1, s1
	v_mov_b32_e32 v21, 0x7f800001
	s_wait_alu 0xfffe
	s_xor_b32 exec_lo, exec_lo, s1
	s_cbranch_execnz .LBB6_868
.LBB6_370:
	s_or_b32 exec_lo, exec_lo, s1
	s_and_saveexec_b32 s1, s0
	s_cbranch_execz .LBB6_372
.LBB6_371:
	v_and_b32_e32 v21, 7, v23
	v_lshrrev_b16 v27, 3, v23
	v_lshrrev_b16 v23, 7, v23
	s_delay_alu instid0(VALU_DEP_3) | instskip(NEXT) | instid1(VALU_DEP_3)
	v_clz_i32_u32_e32 v25, v21
	v_and_b32_e32 v27, 15, v27
	s_delay_alu instid0(VALU_DEP_3) | instskip(NEXT) | instid1(VALU_DEP_3)
	v_lshlrev_b32_e32 v23, 31, v23
	v_min_u32_e32 v25, 32, v25
	s_delay_alu instid0(VALU_DEP_3) | instskip(NEXT) | instid1(VALU_DEP_2)
	v_cmp_eq_u16_e32 vcc_lo, 0, v27
	v_subrev_nc_u32_e32 v26, 28, v25
	v_sub_nc_u32_e32 v25, 29, v25
	s_delay_alu instid0(VALU_DEP_2) | instskip(SKIP_1) | instid1(VALU_DEP_1)
	v_lshlrev_b32_e32 v26, v26, v21
	s_wait_alu 0xfffd
	v_dual_cndmask_b32 v25, v27, v25 :: v_dual_and_b32 v26, 7, v26
	s_delay_alu instid0(VALU_DEP_1) | instskip(NEXT) | instid1(VALU_DEP_2)
	v_lshl_add_u32 v25, v25, 23, 0x3b800000
	v_cndmask_b32_e32 v21, v21, v26, vcc_lo
	s_delay_alu instid0(VALU_DEP_1) | instskip(NEXT) | instid1(VALU_DEP_1)
	v_lshlrev_b32_e32 v21, 20, v21
	v_or3_b32 v21, v23, v25, v21
.LBB6_372:
	s_wait_alu 0xfffe
	s_or_b32 exec_lo, exec_lo, s1
	s_mov_b32 s0, 0
	s_mov_b32 s1, exec_lo
	v_cmpx_lt_i16_e32 0x7f, v24
	s_wait_alu 0xfffe
	s_xor_b32 s1, exec_lo, s1
	s_cbranch_execnz .LBB6_869
; %bb.373:
	s_wait_alu 0xfffe
	s_or_saveexec_b32 s1, s1
	v_mov_b32_e32 v23, 0x7f800001
	s_wait_alu 0xfffe
	s_xor_b32 exec_lo, exec_lo, s1
	s_cbranch_execnz .LBB6_872
.LBB6_374:
	s_or_b32 exec_lo, exec_lo, s1
	s_and_saveexec_b32 s1, s0
	s_cbranch_execz .LBB6_376
.LBB6_375:
	v_and_b32_e32 v23, 7, v24
	v_lshrrev_b16 v27, 3, v24
	v_lshrrev_b16 v24, 7, v24
	s_delay_alu instid0(VALU_DEP_3) | instskip(NEXT) | instid1(VALU_DEP_3)
	v_clz_i32_u32_e32 v25, v23
	v_and_b32_e32 v27, 15, v27
	s_delay_alu instid0(VALU_DEP_3) | instskip(NEXT) | instid1(VALU_DEP_3)
	v_lshlrev_b32_e32 v24, 31, v24
	v_min_u32_e32 v25, 32, v25
	s_delay_alu instid0(VALU_DEP_3) | instskip(NEXT) | instid1(VALU_DEP_2)
	v_cmp_eq_u16_e32 vcc_lo, 0, v27
	v_subrev_nc_u32_e32 v26, 28, v25
	v_sub_nc_u32_e32 v25, 29, v25
	s_wait_alu 0xfffd
	s_delay_alu instid0(VALU_DEP_1) | instskip(NEXT) | instid1(VALU_DEP_1)
	v_dual_cndmask_b32 v25, v27, v25 :: v_dual_lshlrev_b32 v26, v26, v23
	v_and_b32_e32 v26, 7, v26
	s_delay_alu instid0(VALU_DEP_2) | instskip(NEXT) | instid1(VALU_DEP_2)
	v_lshl_add_u32 v25, v25, 23, 0x3b800000
	v_cndmask_b32_e32 v23, v23, v26, vcc_lo
	s_delay_alu instid0(VALU_DEP_1) | instskip(NEXT) | instid1(VALU_DEP_1)
	v_lshlrev_b32_e32 v23, 20, v23
	v_or3_b32 v23, v24, v25, v23
.LBB6_376:
	s_wait_alu 0xfffe
	s_or_b32 exec_lo, exec_lo, s1
	v_and_b32_e32 v25, 0xff, v8
	s_mov_b32 s0, 0
	s_mov_b32 s1, exec_lo
	s_delay_alu instid0(VALU_DEP_1)
	v_cmpx_lt_i16_e32 0x7f, v25
	s_wait_alu 0xfffe
	s_xor_b32 s1, exec_lo, s1
	s_cbranch_execnz .LBB6_873
; %bb.377:
	s_wait_alu 0xfffe
	s_or_saveexec_b32 s1, s1
	v_mov_b32_e32 v24, 0x7f800001
	s_wait_alu 0xfffe
	s_xor_b32 exec_lo, exec_lo, s1
	s_cbranch_execnz .LBB6_876
.LBB6_378:
	s_or_b32 exec_lo, exec_lo, s1
	s_and_saveexec_b32 s1, s0
	s_cbranch_execz .LBB6_380
.LBB6_379:
	v_lshrrev_b16 v27, 3, v8
	s_delay_alu instid0(VALU_DEP_1) | instskip(NEXT) | instid1(VALU_DEP_1)
	v_and_b32_e32 v27, 15, v27
	v_cmp_eq_u16_e32 vcc_lo, 0, v27
	v_and_b32_e32 v24, 7, v8
	v_lshrrev_b16 v8, 7, v8
	s_delay_alu instid0(VALU_DEP_2) | instskip(NEXT) | instid1(VALU_DEP_2)
	v_clz_i32_u32_e32 v25, v24
	v_lshlrev_b32_e32 v8, 31, v8
	s_delay_alu instid0(VALU_DEP_2) | instskip(NEXT) | instid1(VALU_DEP_1)
	v_min_u32_e32 v25, 32, v25
	v_subrev_nc_u32_e32 v26, 28, v25
	v_sub_nc_u32_e32 v25, 29, v25
	s_wait_alu 0xfffd
	s_delay_alu instid0(VALU_DEP_1) | instskip(NEXT) | instid1(VALU_DEP_1)
	v_dual_cndmask_b32 v25, v27, v25 :: v_dual_lshlrev_b32 v26, v26, v24
	v_lshl_add_u32 v25, v25, 23, 0x3b800000
	s_delay_alu instid0(VALU_DEP_2) | instskip(NEXT) | instid1(VALU_DEP_1)
	v_and_b32_e32 v26, 7, v26
	v_cndmask_b32_e32 v24, v24, v26, vcc_lo
	s_delay_alu instid0(VALU_DEP_1) | instskip(NEXT) | instid1(VALU_DEP_1)
	v_lshlrev_b32_e32 v24, 20, v24
	v_or3_b32 v24, v8, v25, v24
.LBB6_380:
	s_wait_alu 0xfffe
	s_or_b32 exec_lo, exec_lo, s1
	v_and_b32_e32 v25, 0xff, v22
	s_mov_b32 s0, 0
	s_mov_b32 s1, exec_lo
	s_delay_alu instid0(VALU_DEP_1)
	v_cmpx_lt_i16_e32 0x7f, v25
	s_wait_alu 0xfffe
	s_xor_b32 s1, exec_lo, s1
	s_cbranch_execnz .LBB6_877
; %bb.381:
	s_wait_alu 0xfffe
	s_or_saveexec_b32 s1, s1
	v_mov_b32_e32 v8, 0x7f800001
	s_wait_alu 0xfffe
	s_xor_b32 exec_lo, exec_lo, s1
	s_cbranch_execnz .LBB6_880
.LBB6_382:
	s_or_b32 exec_lo, exec_lo, s1
	s_and_saveexec_b32 s1, s0
	s_cbranch_execz .LBB6_384
.LBB6_383:
	v_lshrrev_b16 v27, 3, v22
	s_delay_alu instid0(VALU_DEP_1) | instskip(NEXT) | instid1(VALU_DEP_1)
	v_and_b32_e32 v27, 15, v27
	v_cmp_eq_u16_e32 vcc_lo, 0, v27
	v_and_b32_e32 v8, 7, v22
	v_lshrrev_b16 v22, 7, v22
	s_delay_alu instid0(VALU_DEP_2) | instskip(NEXT) | instid1(VALU_DEP_2)
	v_clz_i32_u32_e32 v25, v8
	v_lshlrev_b32_e32 v22, 31, v22
	s_delay_alu instid0(VALU_DEP_2) | instskip(NEXT) | instid1(VALU_DEP_1)
	v_min_u32_e32 v25, 32, v25
	v_subrev_nc_u32_e32 v26, 28, v25
	v_sub_nc_u32_e32 v25, 29, v25
	s_wait_alu 0xfffd
	s_delay_alu instid0(VALU_DEP_1) | instskip(NEXT) | instid1(VALU_DEP_1)
	v_dual_cndmask_b32 v25, v27, v25 :: v_dual_lshlrev_b32 v26, v26, v8
	v_lshl_add_u32 v25, v25, 23, 0x3b800000
	s_delay_alu instid0(VALU_DEP_2) | instskip(NEXT) | instid1(VALU_DEP_1)
	v_and_b32_e32 v26, 7, v26
	v_cndmask_b32_e32 v8, v8, v26, vcc_lo
	s_delay_alu instid0(VALU_DEP_1) | instskip(NEXT) | instid1(VALU_DEP_1)
	v_lshlrev_b32_e32 v8, 20, v8
	v_or3_b32 v8, v22, v25, v8
.LBB6_384:
	s_wait_alu 0xfffe
	s_or_b32 exec_lo, exec_lo, s1
	v_and_b32_e32 v25, 0xff, v20
	s_mov_b32 s0, 0
	s_mov_b32 s1, exec_lo
	s_delay_alu instid0(VALU_DEP_1)
	v_cmpx_lt_i16_e32 0x7f, v25
	s_wait_alu 0xfffe
	s_xor_b32 s1, exec_lo, s1
	s_cbranch_execnz .LBB6_881
; %bb.385:
	s_wait_alu 0xfffe
	s_or_saveexec_b32 s1, s1
	v_mov_b32_e32 v22, 0x7f800001
	s_wait_alu 0xfffe
	s_xor_b32 exec_lo, exec_lo, s1
	s_cbranch_execnz .LBB6_884
.LBB6_386:
	s_or_b32 exec_lo, exec_lo, s1
	s_and_saveexec_b32 s1, s0
	s_cbranch_execz .LBB6_388
.LBB6_387:
	v_lshrrev_b16 v27, 3, v20
	s_delay_alu instid0(VALU_DEP_1) | instskip(NEXT) | instid1(VALU_DEP_1)
	v_and_b32_e32 v27, 15, v27
	v_cmp_eq_u16_e32 vcc_lo, 0, v27
	v_and_b32_e32 v22, 7, v20
	v_lshrrev_b16 v20, 7, v20
	s_delay_alu instid0(VALU_DEP_2) | instskip(NEXT) | instid1(VALU_DEP_2)
	v_clz_i32_u32_e32 v25, v22
	v_lshlrev_b32_e32 v20, 31, v20
	s_delay_alu instid0(VALU_DEP_2) | instskip(NEXT) | instid1(VALU_DEP_1)
	v_min_u32_e32 v25, 32, v25
	v_subrev_nc_u32_e32 v26, 28, v25
	v_sub_nc_u32_e32 v25, 29, v25
	s_wait_alu 0xfffd
	s_delay_alu instid0(VALU_DEP_1) | instskip(NEXT) | instid1(VALU_DEP_1)
	v_dual_cndmask_b32 v25, v27, v25 :: v_dual_lshlrev_b32 v26, v26, v22
	v_lshl_add_u32 v25, v25, 23, 0x3b800000
	s_delay_alu instid0(VALU_DEP_2) | instskip(NEXT) | instid1(VALU_DEP_1)
	v_and_b32_e32 v26, 7, v26
	v_cndmask_b32_e32 v22, v22, v26, vcc_lo
	s_delay_alu instid0(VALU_DEP_1) | instskip(NEXT) | instid1(VALU_DEP_1)
	v_lshlrev_b32_e32 v22, 20, v22
	v_or3_b32 v22, v20, v25, v22
.LBB6_388:
	s_wait_alu 0xfffe
	s_or_b32 exec_lo, exec_lo, s1
	s_mov_b32 s0, 0
	s_mov_b32 s1, exec_lo
	v_cmpx_lt_i16_e32 0x7f, v19
	s_wait_alu 0xfffe
	s_xor_b32 s1, exec_lo, s1
	s_cbranch_execnz .LBB6_885
; %bb.389:
	s_wait_alu 0xfffe
	s_or_saveexec_b32 s1, s1
	v_mov_b32_e32 v20, 0x7f800001
	s_wait_alu 0xfffe
	s_xor_b32 exec_lo, exec_lo, s1
	s_cbranch_execnz .LBB6_888
.LBB6_390:
	s_or_b32 exec_lo, exec_lo, s1
	s_and_saveexec_b32 s1, s0
	s_cbranch_execz .LBB6_392
.LBB6_391:
	v_lshrrev_b16 v27, 3, v19
	s_delay_alu instid0(VALU_DEP_1) | instskip(NEXT) | instid1(VALU_DEP_1)
	v_and_b32_e32 v27, 15, v27
	v_cmp_eq_u16_e32 vcc_lo, 0, v27
	v_and_b32_e32 v20, 7, v19
	v_lshrrev_b16 v19, 7, v19
	s_delay_alu instid0(VALU_DEP_2) | instskip(NEXT) | instid1(VALU_DEP_2)
	v_clz_i32_u32_e32 v25, v20
	v_lshlrev_b32_e32 v19, 31, v19
	s_delay_alu instid0(VALU_DEP_2) | instskip(NEXT) | instid1(VALU_DEP_1)
	v_min_u32_e32 v25, 32, v25
	v_subrev_nc_u32_e32 v26, 28, v25
	v_sub_nc_u32_e32 v25, 29, v25
	s_wait_alu 0xfffd
	s_delay_alu instid0(VALU_DEP_1) | instskip(NEXT) | instid1(VALU_DEP_1)
	v_dual_cndmask_b32 v25, v27, v25 :: v_dual_lshlrev_b32 v26, v26, v20
	v_lshl_add_u32 v25, v25, 23, 0x3b800000
	s_delay_alu instid0(VALU_DEP_2) | instskip(NEXT) | instid1(VALU_DEP_1)
	v_and_b32_e32 v26, 7, v26
	v_cndmask_b32_e32 v20, v20, v26, vcc_lo
	s_delay_alu instid0(VALU_DEP_1) | instskip(NEXT) | instid1(VALU_DEP_1)
	v_lshlrev_b32_e32 v20, 20, v20
	v_or3_b32 v20, v19, v25, v20
.LBB6_392:
	s_wait_alu 0xfffe
	s_or_b32 exec_lo, exec_lo, s1
	v_and_b32_e32 v25, 0xff, v9
	s_mov_b32 s0, 0
	s_mov_b32 s1, exec_lo
	s_delay_alu instid0(VALU_DEP_1)
	v_cmpx_lt_i16_e32 0x7f, v25
	s_wait_alu 0xfffe
	s_xor_b32 s1, exec_lo, s1
	s_cbranch_execnz .LBB6_889
; %bb.393:
	s_wait_alu 0xfffe
	s_or_saveexec_b32 s1, s1
	v_mov_b32_e32 v19, 0x7f800001
	s_wait_alu 0xfffe
	s_xor_b32 exec_lo, exec_lo, s1
	s_cbranch_execnz .LBB6_892
.LBB6_394:
	s_or_b32 exec_lo, exec_lo, s1
	s_and_saveexec_b32 s1, s0
	s_cbranch_execz .LBB6_396
.LBB6_395:
	v_and_b32_e32 v19, 7, v9
	v_lshrrev_b16 v27, 3, v9
	v_lshrrev_b16 v9, 7, v9
	s_delay_alu instid0(VALU_DEP_3) | instskip(NEXT) | instid1(VALU_DEP_3)
	v_clz_i32_u32_e32 v25, v19
	v_and_b32_e32 v27, 15, v27
	s_delay_alu instid0(VALU_DEP_3) | instskip(NEXT) | instid1(VALU_DEP_3)
	v_lshlrev_b32_e32 v9, 31, v9
	v_min_u32_e32 v25, 32, v25
	s_delay_alu instid0(VALU_DEP_3) | instskip(NEXT) | instid1(VALU_DEP_2)
	v_cmp_eq_u16_e32 vcc_lo, 0, v27
	v_subrev_nc_u32_e32 v26, 28, v25
	v_sub_nc_u32_e32 v25, 29, v25
	s_wait_alu 0xfffd
	s_delay_alu instid0(VALU_DEP_1) | instskip(NEXT) | instid1(VALU_DEP_1)
	v_dual_cndmask_b32 v25, v27, v25 :: v_dual_lshlrev_b32 v26, v26, v19
	v_and_b32_e32 v26, 7, v26
	s_delay_alu instid0(VALU_DEP_2) | instskip(NEXT) | instid1(VALU_DEP_2)
	v_lshl_add_u32 v25, v25, 23, 0x3b800000
	v_cndmask_b32_e32 v19, v19, v26, vcc_lo
	s_delay_alu instid0(VALU_DEP_1) | instskip(NEXT) | instid1(VALU_DEP_1)
	v_lshlrev_b32_e32 v19, 20, v19
	v_or3_b32 v19, v9, v25, v19
.LBB6_396:
	s_wait_alu 0xfffe
	s_or_b32 exec_lo, exec_lo, s1
	v_and_b32_e32 v25, 0xff, v15
	s_mov_b32 s0, 0
	s_mov_b32 s1, exec_lo
	s_delay_alu instid0(VALU_DEP_1)
	v_cmpx_lt_i16_e32 0x7f, v25
	s_wait_alu 0xfffe
	s_xor_b32 s1, exec_lo, s1
	s_cbranch_execnz .LBB6_893
; %bb.397:
	s_wait_alu 0xfffe
	s_or_saveexec_b32 s1, s1
	v_mov_b32_e32 v9, 0x7f800001
	s_wait_alu 0xfffe
	s_xor_b32 exec_lo, exec_lo, s1
	s_cbranch_execnz .LBB6_896
.LBB6_398:
	s_or_b32 exec_lo, exec_lo, s1
	s_and_saveexec_b32 s1, s0
	s_cbranch_execz .LBB6_400
.LBB6_399:
	v_and_b32_e32 v9, 7, v15
	v_lshrrev_b16 v27, 3, v15
	v_lshrrev_b16 v15, 7, v15
	s_delay_alu instid0(VALU_DEP_3) | instskip(NEXT) | instid1(VALU_DEP_3)
	v_clz_i32_u32_e32 v25, v9
	v_and_b32_e32 v27, 15, v27
	s_delay_alu instid0(VALU_DEP_3) | instskip(NEXT) | instid1(VALU_DEP_3)
	v_lshlrev_b32_e32 v15, 31, v15
	v_min_u32_e32 v25, 32, v25
	s_delay_alu instid0(VALU_DEP_3) | instskip(NEXT) | instid1(VALU_DEP_2)
	v_cmp_eq_u16_e32 vcc_lo, 0, v27
	v_subrev_nc_u32_e32 v26, 28, v25
	v_sub_nc_u32_e32 v25, 29, v25
	s_delay_alu instid0(VALU_DEP_2) | instskip(SKIP_1) | instid1(VALU_DEP_1)
	v_lshlrev_b32_e32 v26, v26, v9
	s_wait_alu 0xfffd
	v_dual_cndmask_b32 v25, v27, v25 :: v_dual_and_b32 v26, 7, v26
	s_delay_alu instid0(VALU_DEP_1) | instskip(NEXT) | instid1(VALU_DEP_2)
	v_lshl_add_u32 v25, v25, 23, 0x3b800000
	v_cndmask_b32_e32 v9, v9, v26, vcc_lo
	s_delay_alu instid0(VALU_DEP_1) | instskip(NEXT) | instid1(VALU_DEP_1)
	v_lshlrev_b32_e32 v9, 20, v9
	v_or3_b32 v9, v15, v25, v9
.LBB6_400:
	s_wait_alu 0xfffe
	s_or_b32 exec_lo, exec_lo, s1
	v_and_b32_e32 v25, 0xff, v14
	s_mov_b32 s0, 0
	s_mov_b32 s1, exec_lo
	s_delay_alu instid0(VALU_DEP_1)
	v_cmpx_lt_i16_e32 0x7f, v25
	s_wait_alu 0xfffe
	s_xor_b32 s1, exec_lo, s1
	s_cbranch_execnz .LBB6_897
; %bb.401:
	s_wait_alu 0xfffe
	s_or_saveexec_b32 s1, s1
	v_mov_b32_e32 v15, 0x7f800001
	s_wait_alu 0xfffe
	s_xor_b32 exec_lo, exec_lo, s1
	s_cbranch_execnz .LBB6_900
.LBB6_402:
	s_or_b32 exec_lo, exec_lo, s1
	s_and_saveexec_b32 s1, s0
	s_cbranch_execz .LBB6_404
.LBB6_403:
	v_and_b32_e32 v15, 7, v14
	v_lshrrev_b16 v27, 3, v14
	v_lshrrev_b16 v14, 7, v14
	s_delay_alu instid0(VALU_DEP_3) | instskip(NEXT) | instid1(VALU_DEP_3)
	v_clz_i32_u32_e32 v25, v15
	v_and_b32_e32 v27, 15, v27
	s_delay_alu instid0(VALU_DEP_3) | instskip(NEXT) | instid1(VALU_DEP_3)
	v_lshlrev_b32_e32 v14, 31, v14
	v_min_u32_e32 v25, 32, v25
	s_delay_alu instid0(VALU_DEP_3) | instskip(NEXT) | instid1(VALU_DEP_2)
	v_cmp_eq_u16_e32 vcc_lo, 0, v27
	v_subrev_nc_u32_e32 v26, 28, v25
	v_sub_nc_u32_e32 v25, 29, v25
	s_wait_alu 0xfffd
	s_delay_alu instid0(VALU_DEP_1) | instskip(NEXT) | instid1(VALU_DEP_1)
	v_dual_cndmask_b32 v25, v27, v25 :: v_dual_lshlrev_b32 v26, v26, v15
	v_and_b32_e32 v26, 7, v26
	s_delay_alu instid0(VALU_DEP_2) | instskip(NEXT) | instid1(VALU_DEP_2)
	v_lshl_add_u32 v25, v25, 23, 0x3b800000
	v_cndmask_b32_e32 v15, v15, v26, vcc_lo
	s_delay_alu instid0(VALU_DEP_1) | instskip(NEXT) | instid1(VALU_DEP_1)
	v_lshlrev_b32_e32 v15, 20, v15
	v_or3_b32 v15, v14, v25, v15
.LBB6_404:
	s_wait_alu 0xfffe
	s_or_b32 exec_lo, exec_lo, s1
	s_mov_b32 s0, 0
	s_mov_b32 s1, exec_lo
	v_cmpx_lt_i16_e32 0x7f, v13
	s_wait_alu 0xfffe
	s_xor_b32 s1, exec_lo, s1
	s_cbranch_execnz .LBB6_901
; %bb.405:
	s_wait_alu 0xfffe
	s_or_saveexec_b32 s1, s1
	v_mov_b32_e32 v14, 0x7f800001
	s_wait_alu 0xfffe
	s_xor_b32 exec_lo, exec_lo, s1
	s_cbranch_execnz .LBB6_904
.LBB6_406:
	s_or_b32 exec_lo, exec_lo, s1
	s_and_saveexec_b32 s1, s0
	s_cbranch_execz .LBB6_408
.LBB6_407:
	v_and_b32_e32 v14, 7, v13
	v_lshrrev_b16 v27, 3, v13
	v_lshrrev_b16 v13, 7, v13
	s_delay_alu instid0(VALU_DEP_3) | instskip(NEXT) | instid1(VALU_DEP_3)
	v_clz_i32_u32_e32 v25, v14
	v_and_b32_e32 v27, 15, v27
	s_delay_alu instid0(VALU_DEP_3) | instskip(NEXT) | instid1(VALU_DEP_3)
	v_lshlrev_b32_e32 v13, 31, v13
	v_min_u32_e32 v25, 32, v25
	s_delay_alu instid0(VALU_DEP_3) | instskip(NEXT) | instid1(VALU_DEP_2)
	v_cmp_eq_u16_e32 vcc_lo, 0, v27
	v_subrev_nc_u32_e32 v26, 28, v25
	v_sub_nc_u32_e32 v25, 29, v25
	s_wait_alu 0xfffd
	s_delay_alu instid0(VALU_DEP_1) | instskip(NEXT) | instid1(VALU_DEP_1)
	v_dual_cndmask_b32 v25, v27, v25 :: v_dual_lshlrev_b32 v26, v26, v14
	v_and_b32_e32 v26, 7, v26
	s_delay_alu instid0(VALU_DEP_2) | instskip(NEXT) | instid1(VALU_DEP_2)
	v_lshl_add_u32 v25, v25, 23, 0x3b800000
	v_cndmask_b32_e32 v14, v14, v26, vcc_lo
	s_delay_alu instid0(VALU_DEP_1) | instskip(NEXT) | instid1(VALU_DEP_1)
	v_lshlrev_b32_e32 v14, 20, v14
	v_or3_b32 v14, v13, v25, v14
.LBB6_408:
	s_wait_alu 0xfffe
	s_or_b32 exec_lo, exec_lo, s1
	v_cvt_pk_rtz_f16_f32_e32 v25, v12, v6
	v_cvt_pk_rtz_f16_f32_e32 v26, v16, v17
	;; [unrolled: 1-line block ×8, first 2 shown]
	s_clause 0x1
	flat_store_b128 v[4:5], v[25:28] offset:160
	flat_store_b128 v[4:5], v[17:20] offset:176
	s_clause 0x3
	flat_load_b64 v[12:13], v[0:1] offset:52
	flat_load_b64 v[14:15], v[0:1] offset:16
	flat_load_b32 v9, v[0:1] offset:44
	flat_load_b96 v[6:8], v[0:1]
	s_mov_b32 s0, 0
	s_mov_b32 s1, exec_lo
	s_wait_loadcnt_dscnt 0x303
	v_add_nc_u32_e32 v13, 0x60, v13
	s_wait_loadcnt_dscnt 0x202
	v_ashrrev_i32_e32 v16, 31, v14
	s_wait_loadcnt_dscnt 0x101
	v_sub_nc_u32_e32 v9, v15, v9
	s_wait_loadcnt_dscnt 0x0
	v_sub_nc_u32_e32 v8, v14, v8
	v_ashrrev_i32_e32 v17, 31, v13
	v_lshrrev_b32_e32 v16, 28, v16
	s_delay_alu instid0(VALU_DEP_3) | instskip(NEXT) | instid1(VALU_DEP_3)
	v_lshl_add_u32 v6, v8, 8, v6
	v_lshrrev_b32_e32 v17, 28, v17
	s_delay_alu instid0(VALU_DEP_3) | instskip(NEXT) | instid1(VALU_DEP_3)
	v_add_nc_u32_e32 v16, v14, v16
	v_sub_nc_u32_e32 v6, v6, v12
	s_delay_alu instid0(VALU_DEP_3) | instskip(NEXT) | instid1(VALU_DEP_3)
	v_add_nc_u32_e32 v17, v13, v17
	v_and_b32_e32 v15, 0xffffff0, v16
	s_delay_alu instid0(VALU_DEP_2) | instskip(NEXT) | instid1(VALU_DEP_2)
	v_lshrrev_b32_e32 v16, 4, v17
	v_sub_nc_u32_e32 v15, v14, v15
	v_and_b32_e32 v14, -16, v17
	s_delay_alu instid0(VALU_DEP_3) | instskip(NEXT) | instid1(VALU_DEP_2)
	v_add_nc_u32_e32 v9, v9, v16
	v_sub_nc_u32_e32 v8, v13, v14
	s_delay_alu instid0(VALU_DEP_2) | instskip(NEXT) | instid1(VALU_DEP_1)
	v_xor_b32_e32 v9, v9, v15
	v_sub_nc_u32_e32 v7, v9, v7
	s_delay_alu instid0(VALU_DEP_1) | instskip(NEXT) | instid1(VALU_DEP_1)
	v_lshlrev_b32_e32 v7, 4, v7
	v_add3_u32 v6, v6, v8, v7
	s_delay_alu instid0(VALU_DEP_1) | instskip(SKIP_2) | instid1(VALU_DEP_2)
	v_ashrrev_i32_e32 v7, 31, v6
	v_add_co_u32 v6, vcc_lo, v10, v6
	s_wait_alu 0xfffd
	v_add_co_ci_u32_e64 v7, null, v11, v7, vcc_lo
	flat_load_b128 v[6:9], v[6:7]
	s_wait_loadcnt_dscnt 0x0
	v_and_b32_e32 v11, 0xff, v6
	s_delay_alu instid0(VALU_DEP_1)
	v_cmpx_lt_i16_e32 0x7f, v11
	s_wait_alu 0xfffe
	s_xor_b32 s1, exec_lo, s1
	s_cbranch_execz .LBB6_412
; %bb.409:
	s_mov_b32 s0, -1
	s_mov_b32 s2, exec_lo
	v_cmpx_eq_u16_e32 0x80, v11
; %bb.410:
	s_xor_b32 s0, exec_lo, -1
; %bb.411:
	s_wait_alu 0xfffe
	s_or_b32 exec_lo, exec_lo, s2
	s_delay_alu instid0(SALU_CYCLE_1)
	s_and_b32 s0, s0, exec_lo
                                        ; implicit-def: $vgpr11
.LBB6_412:
	s_wait_alu 0xfffe
	s_or_saveexec_b32 s1, s1
	v_mov_b32_e32 v10, 0x7f800001
	s_wait_alu 0xfffe
	s_xor_b32 exec_lo, exec_lo, s1
; %bb.413:
	v_cmp_ne_u16_e32 vcc_lo, 0, v11
	v_mov_b32_e32 v10, 0
	s_and_not1_b32 s0, s0, exec_lo
	s_and_b32 s2, vcc_lo, exec_lo
	s_wait_alu 0xfffe
	s_or_b32 s0, s0, s2
; %bb.414:
	s_or_b32 exec_lo, exec_lo, s1
	v_lshrrev_b32_e32 v11, 24, v9
	v_lshrrev_b32_e32 v12, 16, v9
	;; [unrolled: 1-line block ×12, first 2 shown]
	s_wait_alu 0xfffe
	s_and_saveexec_b32 s1, s0
	s_cbranch_execz .LBB6_416
; %bb.415:
	v_lshrrev_b16 v25, 3, v6
	s_delay_alu instid0(VALU_DEP_1) | instskip(NEXT) | instid1(VALU_DEP_1)
	v_and_b32_e32 v25, 15, v25
	v_cmp_eq_u16_e32 vcc_lo, 0, v25
	v_and_b32_e32 v10, 7, v6
	v_lshrrev_b16 v6, 7, v6
	s_delay_alu instid0(VALU_DEP_2) | instskip(NEXT) | instid1(VALU_DEP_2)
	v_clz_i32_u32_e32 v23, v10
	v_lshlrev_b32_e32 v6, 31, v6
	s_delay_alu instid0(VALU_DEP_2) | instskip(NEXT) | instid1(VALU_DEP_1)
	v_min_u32_e32 v23, 32, v23
	v_subrev_nc_u32_e32 v24, 28, v23
	v_sub_nc_u32_e32 v23, 29, v23
	s_wait_alu 0xfffd
	s_delay_alu instid0(VALU_DEP_1) | instskip(NEXT) | instid1(VALU_DEP_1)
	v_dual_cndmask_b32 v23, v25, v23 :: v_dual_lshlrev_b32 v24, v24, v10
	v_lshl_add_u32 v23, v23, 23, 0x3b800000
	s_delay_alu instid0(VALU_DEP_2) | instskip(NEXT) | instid1(VALU_DEP_1)
	v_and_b32_e32 v24, 7, v24
	v_cndmask_b32_e32 v10, v10, v24, vcc_lo
	s_delay_alu instid0(VALU_DEP_1) | instskip(NEXT) | instid1(VALU_DEP_1)
	v_lshlrev_b32_e32 v10, 20, v10
	v_or3_b32 v10, v6, v23, v10
.LBB6_416:
	s_wait_alu 0xfffe
	s_or_b32 exec_lo, exec_lo, s1
	v_and_b32_e32 v23, 0xff, v14
	s_mov_b32 s0, 0
	s_mov_b32 s1, exec_lo
	s_delay_alu instid0(VALU_DEP_1)
	v_cmpx_lt_i16_e32 0x7f, v23
	s_wait_alu 0xfffe
	s_xor_b32 s1, exec_lo, s1
	s_cbranch_execnz .LBB6_905
; %bb.417:
	s_wait_alu 0xfffe
	s_or_saveexec_b32 s1, s1
	v_mov_b32_e32 v6, 0x7f800001
	s_wait_alu 0xfffe
	s_xor_b32 exec_lo, exec_lo, s1
	s_cbranch_execnz .LBB6_908
.LBB6_418:
	s_or_b32 exec_lo, exec_lo, s1
	s_and_saveexec_b32 s1, s0
	s_cbranch_execz .LBB6_420
.LBB6_419:
	v_lshrrev_b16 v25, 3, v14
	s_delay_alu instid0(VALU_DEP_1) | instskip(NEXT) | instid1(VALU_DEP_1)
	v_and_b32_e32 v25, 15, v25
	v_cmp_eq_u16_e32 vcc_lo, 0, v25
	v_and_b32_e32 v6, 7, v14
	v_lshrrev_b16 v14, 7, v14
	s_delay_alu instid0(VALU_DEP_2) | instskip(NEXT) | instid1(VALU_DEP_2)
	v_clz_i32_u32_e32 v23, v6
	v_lshlrev_b32_e32 v14, 31, v14
	s_delay_alu instid0(VALU_DEP_2) | instskip(NEXT) | instid1(VALU_DEP_1)
	v_min_u32_e32 v23, 32, v23
	v_subrev_nc_u32_e32 v24, 28, v23
	v_sub_nc_u32_e32 v23, 29, v23
	s_wait_alu 0xfffd
	s_delay_alu instid0(VALU_DEP_1) | instskip(NEXT) | instid1(VALU_DEP_1)
	v_dual_cndmask_b32 v23, v25, v23 :: v_dual_lshlrev_b32 v24, v24, v6
	v_lshl_add_u32 v23, v23, 23, 0x3b800000
	s_delay_alu instid0(VALU_DEP_2) | instskip(NEXT) | instid1(VALU_DEP_1)
	v_and_b32_e32 v24, 7, v24
	v_cndmask_b32_e32 v6, v6, v24, vcc_lo
	s_delay_alu instid0(VALU_DEP_1) | instskip(NEXT) | instid1(VALU_DEP_1)
	v_lshlrev_b32_e32 v6, 20, v6
	v_or3_b32 v6, v14, v23, v6
.LBB6_420:
	s_wait_alu 0xfffe
	s_or_b32 exec_lo, exec_lo, s1
	v_and_b32_e32 v23, 0xff, v15
	s_mov_b32 s0, 0
	s_mov_b32 s1, exec_lo
	s_delay_alu instid0(VALU_DEP_1)
	v_cmpx_lt_i16_e32 0x7f, v23
	s_wait_alu 0xfffe
	s_xor_b32 s1, exec_lo, s1
	s_cbranch_execnz .LBB6_909
; %bb.421:
	s_wait_alu 0xfffe
	s_or_saveexec_b32 s1, s1
	v_mov_b32_e32 v14, 0x7f800001
	s_wait_alu 0xfffe
	s_xor_b32 exec_lo, exec_lo, s1
	s_cbranch_execnz .LBB6_912
.LBB6_422:
	s_or_b32 exec_lo, exec_lo, s1
	s_and_saveexec_b32 s1, s0
	s_cbranch_execz .LBB6_424
.LBB6_423:
	v_and_b32_e32 v14, 7, v15
	v_lshrrev_b16 v25, 3, v15
	v_lshrrev_b16 v15, 7, v15
	s_delay_alu instid0(VALU_DEP_3) | instskip(NEXT) | instid1(VALU_DEP_3)
	v_clz_i32_u32_e32 v23, v14
	v_and_b32_e32 v25, 15, v25
	s_delay_alu instid0(VALU_DEP_3) | instskip(NEXT) | instid1(VALU_DEP_3)
	v_lshlrev_b32_e32 v15, 31, v15
	v_min_u32_e32 v23, 32, v23
	s_delay_alu instid0(VALU_DEP_3) | instskip(NEXT) | instid1(VALU_DEP_2)
	v_cmp_eq_u16_e32 vcc_lo, 0, v25
	v_subrev_nc_u32_e32 v24, 28, v23
	v_sub_nc_u32_e32 v23, 29, v23
	s_wait_alu 0xfffd
	s_delay_alu instid0(VALU_DEP_1) | instskip(NEXT) | instid1(VALU_DEP_1)
	v_dual_cndmask_b32 v23, v25, v23 :: v_dual_lshlrev_b32 v24, v24, v14
	v_and_b32_e32 v24, 7, v24
	s_delay_alu instid0(VALU_DEP_2) | instskip(NEXT) | instid1(VALU_DEP_2)
	v_lshl_add_u32 v23, v23, 23, 0x3b800000
	v_cndmask_b32_e32 v14, v14, v24, vcc_lo
	s_delay_alu instid0(VALU_DEP_1) | instskip(NEXT) | instid1(VALU_DEP_1)
	v_lshlrev_b32_e32 v14, 20, v14
	v_or3_b32 v14, v15, v23, v14
.LBB6_424:
	s_wait_alu 0xfffe
	s_or_b32 exec_lo, exec_lo, s1
	s_mov_b32 s0, 0
	s_mov_b32 s1, exec_lo
	v_cmpx_lt_i16_e32 0x7f, v16
	s_wait_alu 0xfffe
	s_xor_b32 s1, exec_lo, s1
	s_cbranch_execnz .LBB6_913
; %bb.425:
	s_wait_alu 0xfffe
	s_or_saveexec_b32 s1, s1
	v_mov_b32_e32 v15, 0x7f800001
	s_wait_alu 0xfffe
	s_xor_b32 exec_lo, exec_lo, s1
	s_cbranch_execnz .LBB6_916
.LBB6_426:
	s_or_b32 exec_lo, exec_lo, s1
	s_and_saveexec_b32 s1, s0
	s_cbranch_execz .LBB6_428
.LBB6_427:
	v_and_b32_e32 v15, 7, v16
	v_lshrrev_b16 v25, 3, v16
	v_lshrrev_b16 v16, 7, v16
	s_delay_alu instid0(VALU_DEP_3) | instskip(NEXT) | instid1(VALU_DEP_3)
	v_clz_i32_u32_e32 v23, v15
	v_and_b32_e32 v25, 15, v25
	s_delay_alu instid0(VALU_DEP_3) | instskip(NEXT) | instid1(VALU_DEP_3)
	v_lshlrev_b32_e32 v16, 31, v16
	v_min_u32_e32 v23, 32, v23
	s_delay_alu instid0(VALU_DEP_3) | instskip(NEXT) | instid1(VALU_DEP_2)
	v_cmp_eq_u16_e32 vcc_lo, 0, v25
	v_subrev_nc_u32_e32 v24, 28, v23
	v_sub_nc_u32_e32 v23, 29, v23
	s_delay_alu instid0(VALU_DEP_2) | instskip(SKIP_1) | instid1(VALU_DEP_1)
	v_lshlrev_b32_e32 v24, v24, v15
	s_wait_alu 0xfffd
	v_dual_cndmask_b32 v23, v25, v23 :: v_dual_and_b32 v24, 7, v24
	s_delay_alu instid0(VALU_DEP_1) | instskip(NEXT) | instid1(VALU_DEP_2)
	v_lshl_add_u32 v23, v23, 23, 0x3b800000
	v_cndmask_b32_e32 v15, v15, v24, vcc_lo
	s_delay_alu instid0(VALU_DEP_1) | instskip(NEXT) | instid1(VALU_DEP_1)
	v_lshlrev_b32_e32 v15, 20, v15
	v_or3_b32 v15, v16, v23, v15
.LBB6_428:
	s_wait_alu 0xfffe
	s_or_b32 exec_lo, exec_lo, s1
	v_and_b32_e32 v23, 0xff, v7
	s_mov_b32 s0, 0
	s_mov_b32 s1, exec_lo
	s_delay_alu instid0(VALU_DEP_1)
	v_cmpx_lt_i16_e32 0x7f, v23
	s_wait_alu 0xfffe
	s_xor_b32 s1, exec_lo, s1
	s_cbranch_execnz .LBB6_917
; %bb.429:
	s_wait_alu 0xfffe
	s_or_saveexec_b32 s1, s1
	v_mov_b32_e32 v16, 0x7f800001
	s_wait_alu 0xfffe
	s_xor_b32 exec_lo, exec_lo, s1
	s_cbranch_execnz .LBB6_920
.LBB6_430:
	s_or_b32 exec_lo, exec_lo, s1
	s_and_saveexec_b32 s1, s0
	s_cbranch_execz .LBB6_432
.LBB6_431:
	v_and_b32_e32 v16, 7, v7
	v_lshrrev_b16 v25, 3, v7
	v_lshrrev_b16 v7, 7, v7
	s_delay_alu instid0(VALU_DEP_3) | instskip(NEXT) | instid1(VALU_DEP_3)
	v_clz_i32_u32_e32 v23, v16
	v_and_b32_e32 v25, 15, v25
	s_delay_alu instid0(VALU_DEP_3) | instskip(NEXT) | instid1(VALU_DEP_3)
	v_lshlrev_b32_e32 v7, 31, v7
	v_min_u32_e32 v23, 32, v23
	s_delay_alu instid0(VALU_DEP_3) | instskip(NEXT) | instid1(VALU_DEP_2)
	v_cmp_eq_u16_e32 vcc_lo, 0, v25
	v_subrev_nc_u32_e32 v24, 28, v23
	v_sub_nc_u32_e32 v23, 29, v23
	s_wait_alu 0xfffd
	s_delay_alu instid0(VALU_DEP_1) | instskip(NEXT) | instid1(VALU_DEP_1)
	v_dual_cndmask_b32 v23, v25, v23 :: v_dual_lshlrev_b32 v24, v24, v16
	v_and_b32_e32 v24, 7, v24
	s_delay_alu instid0(VALU_DEP_2) | instskip(NEXT) | instid1(VALU_DEP_2)
	v_lshl_add_u32 v23, v23, 23, 0x3b800000
	v_cndmask_b32_e32 v16, v16, v24, vcc_lo
	s_delay_alu instid0(VALU_DEP_1) | instskip(NEXT) | instid1(VALU_DEP_1)
	v_lshlrev_b32_e32 v16, 20, v16
	v_or3_b32 v16, v7, v23, v16
.LBB6_432:
	s_wait_alu 0xfffe
	s_or_b32 exec_lo, exec_lo, s1
	v_and_b32_e32 v23, 0xff, v19
	s_mov_b32 s0, 0
	s_mov_b32 s1, exec_lo
	s_delay_alu instid0(VALU_DEP_1)
	v_cmpx_lt_i16_e32 0x7f, v23
	s_wait_alu 0xfffe
	s_xor_b32 s1, exec_lo, s1
	s_cbranch_execnz .LBB6_921
; %bb.433:
	s_wait_alu 0xfffe
	s_or_saveexec_b32 s1, s1
	v_mov_b32_e32 v7, 0x7f800001
	s_wait_alu 0xfffe
	s_xor_b32 exec_lo, exec_lo, s1
	s_cbranch_execnz .LBB6_924
.LBB6_434:
	s_or_b32 exec_lo, exec_lo, s1
	s_and_saveexec_b32 s1, s0
	s_cbranch_execz .LBB6_436
.LBB6_435:
	v_and_b32_e32 v7, 7, v19
	v_lshrrev_b16 v25, 3, v19
	v_lshrrev_b16 v19, 7, v19
	s_delay_alu instid0(VALU_DEP_3) | instskip(NEXT) | instid1(VALU_DEP_3)
	v_clz_i32_u32_e32 v23, v7
	v_and_b32_e32 v25, 15, v25
	s_delay_alu instid0(VALU_DEP_3) | instskip(NEXT) | instid1(VALU_DEP_3)
	v_lshlrev_b32_e32 v19, 31, v19
	v_min_u32_e32 v23, 32, v23
	s_delay_alu instid0(VALU_DEP_3) | instskip(NEXT) | instid1(VALU_DEP_2)
	v_cmp_eq_u16_e32 vcc_lo, 0, v25
	v_subrev_nc_u32_e32 v24, 28, v23
	v_sub_nc_u32_e32 v23, 29, v23
	s_delay_alu instid0(VALU_DEP_2) | instskip(SKIP_1) | instid1(VALU_DEP_1)
	v_lshlrev_b32_e32 v24, v24, v7
	s_wait_alu 0xfffd
	v_dual_cndmask_b32 v23, v25, v23 :: v_dual_and_b32 v24, 7, v24
	s_delay_alu instid0(VALU_DEP_1) | instskip(NEXT) | instid1(VALU_DEP_2)
	v_lshl_add_u32 v23, v23, 23, 0x3b800000
	v_cndmask_b32_e32 v7, v7, v24, vcc_lo
	s_delay_alu instid0(VALU_DEP_1) | instskip(NEXT) | instid1(VALU_DEP_1)
	v_lshlrev_b32_e32 v7, 20, v7
	v_or3_b32 v7, v19, v23, v7
.LBB6_436:
	s_wait_alu 0xfffe
	s_or_b32 exec_lo, exec_lo, s1
	v_and_b32_e32 v23, 0xff, v21
	s_mov_b32 s0, 0
	s_mov_b32 s1, exec_lo
	s_delay_alu instid0(VALU_DEP_1)
	v_cmpx_lt_i16_e32 0x7f, v23
	s_wait_alu 0xfffe
	s_xor_b32 s1, exec_lo, s1
	s_cbranch_execnz .LBB6_925
; %bb.437:
	s_wait_alu 0xfffe
	s_or_saveexec_b32 s1, s1
	v_mov_b32_e32 v19, 0x7f800001
	s_wait_alu 0xfffe
	s_xor_b32 exec_lo, exec_lo, s1
	s_cbranch_execnz .LBB6_928
.LBB6_438:
	s_or_b32 exec_lo, exec_lo, s1
	s_and_saveexec_b32 s1, s0
	s_cbranch_execz .LBB6_440
.LBB6_439:
	v_and_b32_e32 v19, 7, v21
	v_lshrrev_b16 v25, 3, v21
	v_lshrrev_b16 v21, 7, v21
	s_delay_alu instid0(VALU_DEP_3) | instskip(NEXT) | instid1(VALU_DEP_3)
	v_clz_i32_u32_e32 v23, v19
	v_and_b32_e32 v25, 15, v25
	s_delay_alu instid0(VALU_DEP_3) | instskip(NEXT) | instid1(VALU_DEP_3)
	v_lshlrev_b32_e32 v21, 31, v21
	v_min_u32_e32 v23, 32, v23
	s_delay_alu instid0(VALU_DEP_3) | instskip(NEXT) | instid1(VALU_DEP_2)
	v_cmp_eq_u16_e32 vcc_lo, 0, v25
	v_subrev_nc_u32_e32 v24, 28, v23
	v_sub_nc_u32_e32 v23, 29, v23
	s_delay_alu instid0(VALU_DEP_2) | instskip(SKIP_1) | instid1(VALU_DEP_1)
	v_lshlrev_b32_e32 v24, v24, v19
	s_wait_alu 0xfffd
	v_dual_cndmask_b32 v23, v25, v23 :: v_dual_and_b32 v24, 7, v24
	s_delay_alu instid0(VALU_DEP_1) | instskip(NEXT) | instid1(VALU_DEP_2)
	v_lshl_add_u32 v23, v23, 23, 0x3b800000
	v_cndmask_b32_e32 v19, v19, v24, vcc_lo
	s_delay_alu instid0(VALU_DEP_1) | instskip(NEXT) | instid1(VALU_DEP_1)
	v_lshlrev_b32_e32 v19, 20, v19
	v_or3_b32 v19, v21, v23, v19
.LBB6_440:
	s_wait_alu 0xfffe
	s_or_b32 exec_lo, exec_lo, s1
	s_mov_b32 s0, 0
	s_mov_b32 s1, exec_lo
	v_cmpx_lt_i16_e32 0x7f, v22
	s_wait_alu 0xfffe
	s_xor_b32 s1, exec_lo, s1
	s_cbranch_execnz .LBB6_929
; %bb.441:
	s_wait_alu 0xfffe
	s_or_saveexec_b32 s1, s1
	v_mov_b32_e32 v21, 0x7f800001
	s_wait_alu 0xfffe
	s_xor_b32 exec_lo, exec_lo, s1
	s_cbranch_execnz .LBB6_932
.LBB6_442:
	s_or_b32 exec_lo, exec_lo, s1
	s_and_saveexec_b32 s1, s0
	s_cbranch_execz .LBB6_444
.LBB6_443:
	v_and_b32_e32 v21, 7, v22
	v_lshrrev_b16 v25, 3, v22
	v_lshrrev_b16 v22, 7, v22
	s_delay_alu instid0(VALU_DEP_3) | instskip(NEXT) | instid1(VALU_DEP_3)
	v_clz_i32_u32_e32 v23, v21
	v_and_b32_e32 v25, 15, v25
	s_delay_alu instid0(VALU_DEP_3) | instskip(NEXT) | instid1(VALU_DEP_3)
	v_lshlrev_b32_e32 v22, 31, v22
	v_min_u32_e32 v23, 32, v23
	s_delay_alu instid0(VALU_DEP_3) | instskip(NEXT) | instid1(VALU_DEP_2)
	v_cmp_eq_u16_e32 vcc_lo, 0, v25
	v_subrev_nc_u32_e32 v24, 28, v23
	v_sub_nc_u32_e32 v23, 29, v23
	s_wait_alu 0xfffd
	s_delay_alu instid0(VALU_DEP_1) | instskip(NEXT) | instid1(VALU_DEP_1)
	v_dual_cndmask_b32 v23, v25, v23 :: v_dual_lshlrev_b32 v24, v24, v21
	v_and_b32_e32 v24, 7, v24
	s_delay_alu instid0(VALU_DEP_2) | instskip(NEXT) | instid1(VALU_DEP_2)
	v_lshl_add_u32 v23, v23, 23, 0x3b800000
	v_cndmask_b32_e32 v21, v21, v24, vcc_lo
	s_delay_alu instid0(VALU_DEP_1) | instskip(NEXT) | instid1(VALU_DEP_1)
	v_lshlrev_b32_e32 v21, 20, v21
	v_or3_b32 v21, v22, v23, v21
.LBB6_444:
	s_wait_alu 0xfffe
	s_or_b32 exec_lo, exec_lo, s1
	v_and_b32_e32 v23, 0xff, v8
	s_mov_b32 s0, 0
	s_mov_b32 s1, exec_lo
	s_delay_alu instid0(VALU_DEP_1)
	v_cmpx_lt_i16_e32 0x7f, v23
	s_wait_alu 0xfffe
	s_xor_b32 s1, exec_lo, s1
	s_cbranch_execnz .LBB6_933
; %bb.445:
	s_wait_alu 0xfffe
	s_or_saveexec_b32 s1, s1
	v_mov_b32_e32 v22, 0x7f800001
	s_wait_alu 0xfffe
	s_xor_b32 exec_lo, exec_lo, s1
	s_cbranch_execnz .LBB6_936
.LBB6_446:
	s_or_b32 exec_lo, exec_lo, s1
	s_and_saveexec_b32 s1, s0
	s_cbranch_execz .LBB6_448
.LBB6_447:
	v_lshrrev_b16 v25, 3, v8
	s_delay_alu instid0(VALU_DEP_1) | instskip(NEXT) | instid1(VALU_DEP_1)
	v_and_b32_e32 v25, 15, v25
	v_cmp_eq_u16_e32 vcc_lo, 0, v25
	v_and_b32_e32 v22, 7, v8
	v_lshrrev_b16 v8, 7, v8
	s_delay_alu instid0(VALU_DEP_2) | instskip(NEXT) | instid1(VALU_DEP_2)
	v_clz_i32_u32_e32 v23, v22
	v_lshlrev_b32_e32 v8, 31, v8
	s_delay_alu instid0(VALU_DEP_2) | instskip(NEXT) | instid1(VALU_DEP_1)
	v_min_u32_e32 v23, 32, v23
	v_subrev_nc_u32_e32 v24, 28, v23
	v_sub_nc_u32_e32 v23, 29, v23
	s_wait_alu 0xfffd
	s_delay_alu instid0(VALU_DEP_1) | instskip(NEXT) | instid1(VALU_DEP_1)
	v_dual_cndmask_b32 v23, v25, v23 :: v_dual_lshlrev_b32 v24, v24, v22
	v_lshl_add_u32 v23, v23, 23, 0x3b800000
	s_delay_alu instid0(VALU_DEP_2) | instskip(NEXT) | instid1(VALU_DEP_1)
	v_and_b32_e32 v24, 7, v24
	v_cndmask_b32_e32 v22, v22, v24, vcc_lo
	s_delay_alu instid0(VALU_DEP_1) | instskip(NEXT) | instid1(VALU_DEP_1)
	v_lshlrev_b32_e32 v22, 20, v22
	v_or3_b32 v22, v8, v23, v22
.LBB6_448:
	s_wait_alu 0xfffe
	s_or_b32 exec_lo, exec_lo, s1
	v_and_b32_e32 v23, 0xff, v20
	s_mov_b32 s0, 0
	s_mov_b32 s1, exec_lo
	s_delay_alu instid0(VALU_DEP_1)
	v_cmpx_lt_i16_e32 0x7f, v23
	s_wait_alu 0xfffe
	s_xor_b32 s1, exec_lo, s1
	s_cbranch_execnz .LBB6_937
; %bb.449:
	s_wait_alu 0xfffe
	s_or_saveexec_b32 s1, s1
	v_mov_b32_e32 v8, 0x7f800001
	s_wait_alu 0xfffe
	s_xor_b32 exec_lo, exec_lo, s1
	s_cbranch_execnz .LBB6_940
.LBB6_450:
	s_or_b32 exec_lo, exec_lo, s1
	s_and_saveexec_b32 s1, s0
	s_cbranch_execz .LBB6_452
.LBB6_451:
	v_lshrrev_b16 v25, 3, v20
	s_delay_alu instid0(VALU_DEP_1) | instskip(NEXT) | instid1(VALU_DEP_1)
	v_and_b32_e32 v25, 15, v25
	v_cmp_eq_u16_e32 vcc_lo, 0, v25
	v_and_b32_e32 v8, 7, v20
	v_lshrrev_b16 v20, 7, v20
	s_delay_alu instid0(VALU_DEP_2) | instskip(NEXT) | instid1(VALU_DEP_2)
	v_clz_i32_u32_e32 v23, v8
	v_lshlrev_b32_e32 v20, 31, v20
	s_delay_alu instid0(VALU_DEP_2) | instskip(NEXT) | instid1(VALU_DEP_1)
	v_min_u32_e32 v23, 32, v23
	v_subrev_nc_u32_e32 v24, 28, v23
	v_sub_nc_u32_e32 v23, 29, v23
	s_wait_alu 0xfffd
	s_delay_alu instid0(VALU_DEP_1) | instskip(NEXT) | instid1(VALU_DEP_1)
	v_dual_cndmask_b32 v23, v25, v23 :: v_dual_lshlrev_b32 v24, v24, v8
	v_lshl_add_u32 v23, v23, 23, 0x3b800000
	s_delay_alu instid0(VALU_DEP_2) | instskip(NEXT) | instid1(VALU_DEP_1)
	v_and_b32_e32 v24, 7, v24
	v_cndmask_b32_e32 v8, v8, v24, vcc_lo
	s_delay_alu instid0(VALU_DEP_1) | instskip(NEXT) | instid1(VALU_DEP_1)
	v_lshlrev_b32_e32 v8, 20, v8
	v_or3_b32 v8, v20, v23, v8
.LBB6_452:
	s_wait_alu 0xfffe
	s_or_b32 exec_lo, exec_lo, s1
	v_and_b32_e32 v23, 0xff, v18
	s_mov_b32 s0, 0
	s_mov_b32 s1, exec_lo
	s_delay_alu instid0(VALU_DEP_1)
	v_cmpx_lt_i16_e32 0x7f, v23
	s_wait_alu 0xfffe
	s_xor_b32 s1, exec_lo, s1
	s_cbranch_execnz .LBB6_941
; %bb.453:
	s_wait_alu 0xfffe
	s_or_saveexec_b32 s1, s1
	v_mov_b32_e32 v20, 0x7f800001
	s_wait_alu 0xfffe
	s_xor_b32 exec_lo, exec_lo, s1
	s_cbranch_execnz .LBB6_944
.LBB6_454:
	s_or_b32 exec_lo, exec_lo, s1
	s_and_saveexec_b32 s1, s0
	s_cbranch_execz .LBB6_456
.LBB6_455:
	v_lshrrev_b16 v25, 3, v18
	s_delay_alu instid0(VALU_DEP_1) | instskip(NEXT) | instid1(VALU_DEP_1)
	v_and_b32_e32 v25, 15, v25
	v_cmp_eq_u16_e32 vcc_lo, 0, v25
	v_and_b32_e32 v20, 7, v18
	v_lshrrev_b16 v18, 7, v18
	s_delay_alu instid0(VALU_DEP_2) | instskip(NEXT) | instid1(VALU_DEP_2)
	v_clz_i32_u32_e32 v23, v20
	v_lshlrev_b32_e32 v18, 31, v18
	s_delay_alu instid0(VALU_DEP_2) | instskip(NEXT) | instid1(VALU_DEP_1)
	v_min_u32_e32 v23, 32, v23
	v_subrev_nc_u32_e32 v24, 28, v23
	v_sub_nc_u32_e32 v23, 29, v23
	s_wait_alu 0xfffd
	s_delay_alu instid0(VALU_DEP_1) | instskip(NEXT) | instid1(VALU_DEP_1)
	v_dual_cndmask_b32 v23, v25, v23 :: v_dual_lshlrev_b32 v24, v24, v20
	v_lshl_add_u32 v23, v23, 23, 0x3b800000
	s_delay_alu instid0(VALU_DEP_2) | instskip(NEXT) | instid1(VALU_DEP_1)
	v_and_b32_e32 v24, 7, v24
	v_cndmask_b32_e32 v20, v20, v24, vcc_lo
	s_delay_alu instid0(VALU_DEP_1) | instskip(NEXT) | instid1(VALU_DEP_1)
	v_lshlrev_b32_e32 v20, 20, v20
	v_or3_b32 v20, v18, v23, v20
.LBB6_456:
	s_wait_alu 0xfffe
	s_or_b32 exec_lo, exec_lo, s1
	s_mov_b32 s0, 0
	s_mov_b32 s1, exec_lo
	v_cmpx_lt_i16_e32 0x7f, v17
	s_wait_alu 0xfffe
	s_xor_b32 s1, exec_lo, s1
	s_cbranch_execnz .LBB6_945
; %bb.457:
	s_wait_alu 0xfffe
	s_or_saveexec_b32 s1, s1
	v_mov_b32_e32 v18, 0x7f800001
	s_wait_alu 0xfffe
	s_xor_b32 exec_lo, exec_lo, s1
	s_cbranch_execnz .LBB6_948
.LBB6_458:
	s_or_b32 exec_lo, exec_lo, s1
	s_and_saveexec_b32 s1, s0
	s_cbranch_execz .LBB6_460
.LBB6_459:
	v_lshrrev_b16 v25, 3, v17
	s_delay_alu instid0(VALU_DEP_1) | instskip(NEXT) | instid1(VALU_DEP_1)
	v_and_b32_e32 v25, 15, v25
	v_cmp_eq_u16_e32 vcc_lo, 0, v25
	v_and_b32_e32 v18, 7, v17
	v_lshrrev_b16 v17, 7, v17
	s_delay_alu instid0(VALU_DEP_2) | instskip(NEXT) | instid1(VALU_DEP_2)
	v_clz_i32_u32_e32 v23, v18
	v_lshlrev_b32_e32 v17, 31, v17
	s_delay_alu instid0(VALU_DEP_2) | instskip(NEXT) | instid1(VALU_DEP_1)
	v_min_u32_e32 v23, 32, v23
	v_subrev_nc_u32_e32 v24, 28, v23
	v_sub_nc_u32_e32 v23, 29, v23
	s_wait_alu 0xfffd
	s_delay_alu instid0(VALU_DEP_1) | instskip(NEXT) | instid1(VALU_DEP_1)
	v_dual_cndmask_b32 v23, v25, v23 :: v_dual_lshlrev_b32 v24, v24, v18
	v_lshl_add_u32 v23, v23, 23, 0x3b800000
	s_delay_alu instid0(VALU_DEP_2) | instskip(NEXT) | instid1(VALU_DEP_1)
	v_and_b32_e32 v24, 7, v24
	v_cndmask_b32_e32 v18, v18, v24, vcc_lo
	s_delay_alu instid0(VALU_DEP_1) | instskip(NEXT) | instid1(VALU_DEP_1)
	v_lshlrev_b32_e32 v18, 20, v18
	v_or3_b32 v18, v17, v23, v18
.LBB6_460:
	s_wait_alu 0xfffe
	s_or_b32 exec_lo, exec_lo, s1
	v_and_b32_e32 v23, 0xff, v9
	s_mov_b32 s0, 0
	s_mov_b32 s1, exec_lo
	s_delay_alu instid0(VALU_DEP_1)
	v_cmpx_lt_i16_e32 0x7f, v23
	s_wait_alu 0xfffe
	s_xor_b32 s1, exec_lo, s1
	s_cbranch_execnz .LBB6_949
; %bb.461:
	s_wait_alu 0xfffe
	s_or_saveexec_b32 s1, s1
	v_mov_b32_e32 v17, 0x7f800001
	s_wait_alu 0xfffe
	s_xor_b32 exec_lo, exec_lo, s1
	s_cbranch_execnz .LBB6_952
.LBB6_462:
	s_or_b32 exec_lo, exec_lo, s1
	s_and_saveexec_b32 s1, s0
	s_cbranch_execz .LBB6_464
.LBB6_463:
	v_and_b32_e32 v17, 7, v9
	v_lshrrev_b16 v25, 3, v9
	v_lshrrev_b16 v9, 7, v9
	s_delay_alu instid0(VALU_DEP_3) | instskip(NEXT) | instid1(VALU_DEP_3)
	v_clz_i32_u32_e32 v23, v17
	v_and_b32_e32 v25, 15, v25
	s_delay_alu instid0(VALU_DEP_3) | instskip(NEXT) | instid1(VALU_DEP_3)
	v_lshlrev_b32_e32 v9, 31, v9
	v_min_u32_e32 v23, 32, v23
	s_delay_alu instid0(VALU_DEP_3) | instskip(NEXT) | instid1(VALU_DEP_2)
	v_cmp_eq_u16_e32 vcc_lo, 0, v25
	v_subrev_nc_u32_e32 v24, 28, v23
	v_sub_nc_u32_e32 v23, 29, v23
	s_wait_alu 0xfffd
	s_delay_alu instid0(VALU_DEP_1) | instskip(NEXT) | instid1(VALU_DEP_1)
	v_dual_cndmask_b32 v23, v25, v23 :: v_dual_lshlrev_b32 v24, v24, v17
	v_and_b32_e32 v24, 7, v24
	s_delay_alu instid0(VALU_DEP_2) | instskip(NEXT) | instid1(VALU_DEP_2)
	v_lshl_add_u32 v23, v23, 23, 0x3b800000
	v_cndmask_b32_e32 v17, v17, v24, vcc_lo
	s_delay_alu instid0(VALU_DEP_1) | instskip(NEXT) | instid1(VALU_DEP_1)
	v_lshlrev_b32_e32 v17, 20, v17
	v_or3_b32 v17, v9, v23, v17
.LBB6_464:
	s_wait_alu 0xfffe
	s_or_b32 exec_lo, exec_lo, s1
	v_and_b32_e32 v23, 0xff, v13
	s_mov_b32 s0, 0
	s_mov_b32 s1, exec_lo
	s_delay_alu instid0(VALU_DEP_1)
	v_cmpx_lt_i16_e32 0x7f, v23
	s_wait_alu 0xfffe
	s_xor_b32 s1, exec_lo, s1
	s_cbranch_execnz .LBB6_953
; %bb.465:
	s_wait_alu 0xfffe
	s_or_saveexec_b32 s1, s1
	v_mov_b32_e32 v9, 0x7f800001
	s_wait_alu 0xfffe
	s_xor_b32 exec_lo, exec_lo, s1
	s_cbranch_execnz .LBB6_956
.LBB6_466:
	s_or_b32 exec_lo, exec_lo, s1
	s_and_saveexec_b32 s1, s0
	s_cbranch_execz .LBB6_468
.LBB6_467:
	v_and_b32_e32 v9, 7, v13
	v_lshrrev_b16 v25, 3, v13
	v_lshrrev_b16 v13, 7, v13
	s_delay_alu instid0(VALU_DEP_3) | instskip(NEXT) | instid1(VALU_DEP_3)
	v_clz_i32_u32_e32 v23, v9
	v_and_b32_e32 v25, 15, v25
	s_delay_alu instid0(VALU_DEP_3) | instskip(NEXT) | instid1(VALU_DEP_3)
	v_lshlrev_b32_e32 v13, 31, v13
	v_min_u32_e32 v23, 32, v23
	s_delay_alu instid0(VALU_DEP_3) | instskip(NEXT) | instid1(VALU_DEP_2)
	v_cmp_eq_u16_e32 vcc_lo, 0, v25
	v_subrev_nc_u32_e32 v24, 28, v23
	v_sub_nc_u32_e32 v23, 29, v23
	s_wait_alu 0xfffd
	s_delay_alu instid0(VALU_DEP_1) | instskip(NEXT) | instid1(VALU_DEP_1)
	v_dual_cndmask_b32 v23, v25, v23 :: v_dual_lshlrev_b32 v24, v24, v9
	v_and_b32_e32 v24, 7, v24
	s_delay_alu instid0(VALU_DEP_2) | instskip(NEXT) | instid1(VALU_DEP_2)
	v_lshl_add_u32 v23, v23, 23, 0x3b800000
	v_cndmask_b32_e32 v9, v9, v24, vcc_lo
	s_delay_alu instid0(VALU_DEP_1) | instskip(NEXT) | instid1(VALU_DEP_1)
	v_lshlrev_b32_e32 v9, 20, v9
	v_or3_b32 v9, v13, v23, v9
.LBB6_468:
	s_wait_alu 0xfffe
	s_or_b32 exec_lo, exec_lo, s1
	v_and_b32_e32 v23, 0xff, v12
	s_mov_b32 s0, 0
	s_mov_b32 s1, exec_lo
	s_delay_alu instid0(VALU_DEP_1)
	v_cmpx_lt_i16_e32 0x7f, v23
	s_wait_alu 0xfffe
	s_xor_b32 s1, exec_lo, s1
	s_cbranch_execnz .LBB6_957
; %bb.469:
	s_wait_alu 0xfffe
	s_or_saveexec_b32 s1, s1
	v_mov_b32_e32 v13, 0x7f800001
	s_wait_alu 0xfffe
	s_xor_b32 exec_lo, exec_lo, s1
	s_cbranch_execnz .LBB6_960
.LBB6_470:
	s_or_b32 exec_lo, exec_lo, s1
	s_and_saveexec_b32 s1, s0
	s_cbranch_execz .LBB6_472
.LBB6_471:
	v_and_b32_e32 v13, 7, v12
	v_lshrrev_b16 v25, 3, v12
	v_lshrrev_b16 v12, 7, v12
	s_delay_alu instid0(VALU_DEP_3) | instskip(NEXT) | instid1(VALU_DEP_3)
	v_clz_i32_u32_e32 v23, v13
	v_and_b32_e32 v25, 15, v25
	s_delay_alu instid0(VALU_DEP_3) | instskip(NEXT) | instid1(VALU_DEP_3)
	v_lshlrev_b32_e32 v12, 31, v12
	v_min_u32_e32 v23, 32, v23
	s_delay_alu instid0(VALU_DEP_3) | instskip(NEXT) | instid1(VALU_DEP_2)
	v_cmp_eq_u16_e32 vcc_lo, 0, v25
	v_subrev_nc_u32_e32 v24, 28, v23
	v_sub_nc_u32_e32 v23, 29, v23
	s_wait_alu 0xfffd
	s_delay_alu instid0(VALU_DEP_1) | instskip(NEXT) | instid1(VALU_DEP_1)
	v_dual_cndmask_b32 v23, v25, v23 :: v_dual_lshlrev_b32 v24, v24, v13
	v_and_b32_e32 v24, 7, v24
	s_delay_alu instid0(VALU_DEP_2) | instskip(NEXT) | instid1(VALU_DEP_2)
	v_lshl_add_u32 v23, v23, 23, 0x3b800000
	v_cndmask_b32_e32 v13, v13, v24, vcc_lo
	s_delay_alu instid0(VALU_DEP_1) | instskip(NEXT) | instid1(VALU_DEP_1)
	v_lshlrev_b32_e32 v13, 20, v13
	v_or3_b32 v13, v12, v23, v13
.LBB6_472:
	s_wait_alu 0xfffe
	s_or_b32 exec_lo, exec_lo, s1
	s_mov_b32 s0, 0
	s_mov_b32 s1, exec_lo
	v_cmpx_lt_i16_e32 0x7f, v11
	s_wait_alu 0xfffe
	s_xor_b32 s1, exec_lo, s1
	s_cbranch_execnz .LBB6_961
; %bb.473:
	s_wait_alu 0xfffe
	s_or_saveexec_b32 s1, s1
	v_mov_b32_e32 v12, 0x7f800001
	s_wait_alu 0xfffe
	s_xor_b32 exec_lo, exec_lo, s1
	s_cbranch_execnz .LBB6_964
.LBB6_474:
	s_or_b32 exec_lo, exec_lo, s1
	s_and_saveexec_b32 s1, s0
	s_cbranch_execz .LBB6_476
.LBB6_475:
	v_and_b32_e32 v12, 7, v11
	v_lshrrev_b16 v25, 3, v11
	v_lshrrev_b16 v11, 7, v11
	s_delay_alu instid0(VALU_DEP_3) | instskip(NEXT) | instid1(VALU_DEP_3)
	v_clz_i32_u32_e32 v23, v12
	v_and_b32_e32 v25, 15, v25
	s_delay_alu instid0(VALU_DEP_3) | instskip(NEXT) | instid1(VALU_DEP_3)
	v_lshlrev_b32_e32 v11, 31, v11
	v_min_u32_e32 v23, 32, v23
	s_delay_alu instid0(VALU_DEP_3) | instskip(NEXT) | instid1(VALU_DEP_2)
	v_cmp_eq_u16_e32 vcc_lo, 0, v25
	v_subrev_nc_u32_e32 v24, 28, v23
	v_sub_nc_u32_e32 v23, 29, v23
	s_wait_alu 0xfffd
	s_delay_alu instid0(VALU_DEP_1) | instskip(NEXT) | instid1(VALU_DEP_1)
	v_dual_cndmask_b32 v23, v25, v23 :: v_dual_lshlrev_b32 v24, v24, v12
	v_and_b32_e32 v24, 7, v24
	s_delay_alu instid0(VALU_DEP_2) | instskip(NEXT) | instid1(VALU_DEP_2)
	v_lshl_add_u32 v23, v23, 23, 0x3b800000
	v_cndmask_b32_e32 v12, v12, v24, vcc_lo
	s_delay_alu instid0(VALU_DEP_1) | instskip(NEXT) | instid1(VALU_DEP_1)
	v_lshlrev_b32_e32 v12, 20, v12
	v_or3_b32 v12, v11, v23, v12
.LBB6_476:
	s_wait_alu 0xfffe
	s_or_b32 exec_lo, exec_lo, s1
	v_cvt_pk_rtz_f16_f32_e32 v23, v10, v6
	v_cvt_pk_rtz_f16_f32_e32 v24, v14, v15
	;; [unrolled: 1-line block ×8, first 2 shown]
	s_clause 0x1
	flat_store_b128 v[4:5], v[23:26] offset:192
	flat_store_b128 v[4:5], v[7:10] offset:208
	s_clause 0x3
	flat_load_b64 v[9:10], v[0:1] offset:52
	flat_load_b64 v[11:12], v[0:1] offset:16
	flat_load_b32 v13, v[0:1] offset:44
	flat_load_b96 v[6:8], v[0:1]
	flat_load_b64 v[0:1], v[2:3]
	s_mov_b32 s0, 0
	s_mov_b32 s1, exec_lo
	s_wait_loadcnt_dscnt 0x404
	v_add_nc_u32_e32 v2, 0x70, v10
	s_wait_loadcnt_dscnt 0x303
	v_ashrrev_i32_e32 v3, 31, v11
	s_wait_loadcnt_dscnt 0x202
	v_sub_nc_u32_e32 v12, v12, v13
	s_wait_loadcnt_dscnt 0x101
	v_sub_nc_u32_e32 v8, v11, v8
	v_ashrrev_i32_e32 v10, 31, v2
	v_lshrrev_b32_e32 v3, 28, v3
	s_delay_alu instid0(VALU_DEP_3) | instskip(NEXT) | instid1(VALU_DEP_3)
	v_lshl_add_u32 v6, v8, 8, v6
	v_lshrrev_b32_e32 v10, 28, v10
	s_delay_alu instid0(VALU_DEP_3) | instskip(NEXT) | instid1(VALU_DEP_3)
	v_add_nc_u32_e32 v3, v11, v3
	v_sub_nc_u32_e32 v6, v6, v9
	s_delay_alu instid0(VALU_DEP_3) | instskip(NEXT) | instid1(VALU_DEP_3)
	v_add_nc_u32_e32 v10, v2, v10
	v_and_b32_e32 v3, 0xffffff0, v3
	s_delay_alu instid0(VALU_DEP_2) | instskip(NEXT) | instid1(VALU_DEP_2)
	v_lshrrev_b32_e32 v13, 4, v10
	v_sub_nc_u32_e32 v3, v11, v3
	v_and_b32_e32 v10, -16, v10
	s_delay_alu instid0(VALU_DEP_3) | instskip(NEXT) | instid1(VALU_DEP_2)
	v_add_nc_u32_e32 v12, v12, v13
	v_sub_nc_u32_e32 v2, v2, v10
	s_delay_alu instid0(VALU_DEP_2) | instskip(NEXT) | instid1(VALU_DEP_1)
	v_xor_b32_e32 v3, v12, v3
	v_sub_nc_u32_e32 v3, v3, v7
	s_delay_alu instid0(VALU_DEP_1) | instskip(NEXT) | instid1(VALU_DEP_1)
	v_lshlrev_b32_e32 v3, 4, v3
	v_add3_u32 v2, v6, v2, v3
	s_delay_alu instid0(VALU_DEP_1) | instskip(SKIP_3) | instid1(VALU_DEP_2)
	v_ashrrev_i32_e32 v3, 31, v2
	s_wait_loadcnt_dscnt 0x0
	v_add_co_u32 v0, vcc_lo, v0, v2
	s_wait_alu 0xfffd
	v_add_co_ci_u32_e64 v1, null, v1, v3, vcc_lo
	flat_load_b128 v[0:3], v[0:1]
	s_wait_loadcnt_dscnt 0x0
	v_and_b32_e32 v7, 0xff, v0
	s_delay_alu instid0(VALU_DEP_1)
	v_cmpx_lt_i16_e32 0x7f, v7
	s_wait_alu 0xfffe
	s_xor_b32 s1, exec_lo, s1
	s_cbranch_execz .LBB6_480
; %bb.477:
	s_mov_b32 s0, -1
	s_mov_b32 s2, exec_lo
	v_cmpx_eq_u16_e32 0x80, v7
; %bb.478:
	s_xor_b32 s0, exec_lo, -1
; %bb.479:
	s_wait_alu 0xfffe
	s_or_b32 exec_lo, exec_lo, s2
	s_delay_alu instid0(SALU_CYCLE_1)
	s_and_b32 s0, s0, exec_lo
                                        ; implicit-def: $vgpr7
.LBB6_480:
	s_wait_alu 0xfffe
	s_or_saveexec_b32 s1, s1
	v_mov_b32_e32 v6, 0x7f800001
	s_wait_alu 0xfffe
	s_xor_b32 exec_lo, exec_lo, s1
; %bb.481:
	v_cmp_ne_u16_e32 vcc_lo, 0, v7
	v_mov_b32_e32 v6, 0
	s_and_not1_b32 s0, s0, exec_lo
	s_and_b32 s2, vcc_lo, exec_lo
	s_wait_alu 0xfffe
	s_or_b32 s0, s0, s2
; %bb.482:
	s_or_b32 exec_lo, exec_lo, s1
	v_lshrrev_b32_e32 v7, 24, v3
	v_lshrrev_b32_e32 v8, 16, v3
	;; [unrolled: 1-line block ×12, first 2 shown]
	s_wait_alu 0xfffe
	s_and_saveexec_b32 s1, s0
	s_cbranch_execz .LBB6_484
; %bb.483:
	v_lshrrev_b16 v21, 3, v0
	s_delay_alu instid0(VALU_DEP_1) | instskip(NEXT) | instid1(VALU_DEP_1)
	v_and_b32_e32 v21, 15, v21
	v_cmp_eq_u16_e32 vcc_lo, 0, v21
	v_and_b32_e32 v6, 7, v0
	v_lshrrev_b16 v0, 7, v0
	s_delay_alu instid0(VALU_DEP_2) | instskip(NEXT) | instid1(VALU_DEP_2)
	v_clz_i32_u32_e32 v19, v6
	v_lshlrev_b32_e32 v0, 31, v0
	s_delay_alu instid0(VALU_DEP_2) | instskip(NEXT) | instid1(VALU_DEP_1)
	v_min_u32_e32 v19, 32, v19
	v_subrev_nc_u32_e32 v20, 28, v19
	v_sub_nc_u32_e32 v19, 29, v19
	s_wait_alu 0xfffd
	s_delay_alu instid0(VALU_DEP_1) | instskip(NEXT) | instid1(VALU_DEP_1)
	v_dual_cndmask_b32 v19, v21, v19 :: v_dual_lshlrev_b32 v20, v20, v6
	v_lshl_add_u32 v19, v19, 23, 0x3b800000
	s_delay_alu instid0(VALU_DEP_2) | instskip(NEXT) | instid1(VALU_DEP_1)
	v_and_b32_e32 v20, 7, v20
	v_cndmask_b32_e32 v6, v6, v20, vcc_lo
	s_delay_alu instid0(VALU_DEP_1) | instskip(NEXT) | instid1(VALU_DEP_1)
	v_lshlrev_b32_e32 v6, 20, v6
	v_or3_b32 v6, v0, v19, v6
.LBB6_484:
	s_wait_alu 0xfffe
	s_or_b32 exec_lo, exec_lo, s1
	v_and_b32_e32 v19, 0xff, v10
	s_mov_b32 s0, 0
	s_mov_b32 s1, exec_lo
	s_delay_alu instid0(VALU_DEP_1)
	v_cmpx_lt_i16_e32 0x7f, v19
	s_wait_alu 0xfffe
	s_xor_b32 s1, exec_lo, s1
	s_cbranch_execnz .LBB6_965
; %bb.485:
	s_wait_alu 0xfffe
	s_or_saveexec_b32 s1, s1
	v_mov_b32_e32 v0, 0x7f800001
	s_wait_alu 0xfffe
	s_xor_b32 exec_lo, exec_lo, s1
	s_cbranch_execnz .LBB6_968
.LBB6_486:
	s_or_b32 exec_lo, exec_lo, s1
	s_and_saveexec_b32 s1, s0
	s_cbranch_execz .LBB6_488
.LBB6_487:
	v_lshrrev_b16 v21, 3, v10
	s_delay_alu instid0(VALU_DEP_1) | instskip(NEXT) | instid1(VALU_DEP_1)
	v_and_b32_e32 v21, 15, v21
	v_cmp_eq_u16_e32 vcc_lo, 0, v21
	v_and_b32_e32 v0, 7, v10
	v_lshrrev_b16 v10, 7, v10
	s_delay_alu instid0(VALU_DEP_2) | instskip(NEXT) | instid1(VALU_DEP_2)
	v_clz_i32_u32_e32 v19, v0
	v_lshlrev_b32_e32 v10, 31, v10
	s_delay_alu instid0(VALU_DEP_2) | instskip(NEXT) | instid1(VALU_DEP_1)
	v_min_u32_e32 v19, 32, v19
	v_subrev_nc_u32_e32 v20, 28, v19
	v_sub_nc_u32_e32 v19, 29, v19
	s_wait_alu 0xfffd
	s_delay_alu instid0(VALU_DEP_1) | instskip(NEXT) | instid1(VALU_DEP_1)
	v_dual_cndmask_b32 v19, v21, v19 :: v_dual_lshlrev_b32 v20, v20, v0
	v_lshl_add_u32 v19, v19, 23, 0x3b800000
	s_delay_alu instid0(VALU_DEP_2) | instskip(NEXT) | instid1(VALU_DEP_1)
	v_and_b32_e32 v20, 7, v20
	v_cndmask_b32_e32 v0, v0, v20, vcc_lo
	s_delay_alu instid0(VALU_DEP_1) | instskip(NEXT) | instid1(VALU_DEP_1)
	v_lshlrev_b32_e32 v0, 20, v0
	v_or3_b32 v0, v10, v19, v0
.LBB6_488:
	s_wait_alu 0xfffe
	s_or_b32 exec_lo, exec_lo, s1
	v_and_b32_e32 v19, 0xff, v11
	s_mov_b32 s0, 0
	s_mov_b32 s1, exec_lo
	s_delay_alu instid0(VALU_DEP_1)
	v_cmpx_lt_i16_e32 0x7f, v19
	s_wait_alu 0xfffe
	s_xor_b32 s1, exec_lo, s1
	s_cbranch_execnz .LBB6_969
; %bb.489:
	s_wait_alu 0xfffe
	s_or_saveexec_b32 s1, s1
	v_mov_b32_e32 v10, 0x7f800001
	s_wait_alu 0xfffe
	s_xor_b32 exec_lo, exec_lo, s1
	s_cbranch_execnz .LBB6_972
.LBB6_490:
	s_or_b32 exec_lo, exec_lo, s1
	s_and_saveexec_b32 s1, s0
	s_cbranch_execz .LBB6_492
.LBB6_491:
	v_and_b32_e32 v10, 7, v11
	v_lshrrev_b16 v21, 3, v11
	v_lshrrev_b16 v11, 7, v11
	s_delay_alu instid0(VALU_DEP_3) | instskip(NEXT) | instid1(VALU_DEP_3)
	v_clz_i32_u32_e32 v19, v10
	v_and_b32_e32 v21, 15, v21
	s_delay_alu instid0(VALU_DEP_3) | instskip(NEXT) | instid1(VALU_DEP_3)
	v_lshlrev_b32_e32 v11, 31, v11
	v_min_u32_e32 v19, 32, v19
	s_delay_alu instid0(VALU_DEP_3) | instskip(NEXT) | instid1(VALU_DEP_2)
	v_cmp_eq_u16_e32 vcc_lo, 0, v21
	v_subrev_nc_u32_e32 v20, 28, v19
	v_sub_nc_u32_e32 v19, 29, v19
	s_wait_alu 0xfffd
	s_delay_alu instid0(VALU_DEP_1) | instskip(NEXT) | instid1(VALU_DEP_1)
	v_dual_cndmask_b32 v19, v21, v19 :: v_dual_lshlrev_b32 v20, v20, v10
	v_and_b32_e32 v20, 7, v20
	s_delay_alu instid0(VALU_DEP_2) | instskip(NEXT) | instid1(VALU_DEP_2)
	v_lshl_add_u32 v19, v19, 23, 0x3b800000
	v_cndmask_b32_e32 v10, v10, v20, vcc_lo
	s_delay_alu instid0(VALU_DEP_1) | instskip(NEXT) | instid1(VALU_DEP_1)
	v_lshlrev_b32_e32 v10, 20, v10
	v_or3_b32 v10, v11, v19, v10
.LBB6_492:
	s_wait_alu 0xfffe
	s_or_b32 exec_lo, exec_lo, s1
	s_mov_b32 s0, 0
	s_mov_b32 s1, exec_lo
	v_cmpx_lt_i16_e32 0x7f, v12
	s_wait_alu 0xfffe
	s_xor_b32 s1, exec_lo, s1
	s_cbranch_execnz .LBB6_973
; %bb.493:
	s_wait_alu 0xfffe
	s_or_saveexec_b32 s1, s1
	v_mov_b32_e32 v11, 0x7f800001
	s_wait_alu 0xfffe
	s_xor_b32 exec_lo, exec_lo, s1
	s_cbranch_execnz .LBB6_976
.LBB6_494:
	s_or_b32 exec_lo, exec_lo, s1
	s_and_saveexec_b32 s1, s0
	s_cbranch_execz .LBB6_496
.LBB6_495:
	v_and_b32_e32 v11, 7, v12
	v_lshrrev_b16 v21, 3, v12
	v_lshrrev_b16 v12, 7, v12
	s_delay_alu instid0(VALU_DEP_3) | instskip(NEXT) | instid1(VALU_DEP_3)
	v_clz_i32_u32_e32 v19, v11
	v_and_b32_e32 v21, 15, v21
	s_delay_alu instid0(VALU_DEP_3) | instskip(NEXT) | instid1(VALU_DEP_3)
	v_lshlrev_b32_e32 v12, 31, v12
	v_min_u32_e32 v19, 32, v19
	s_delay_alu instid0(VALU_DEP_3) | instskip(NEXT) | instid1(VALU_DEP_2)
	v_cmp_eq_u16_e32 vcc_lo, 0, v21
	v_subrev_nc_u32_e32 v20, 28, v19
	v_sub_nc_u32_e32 v19, 29, v19
	s_delay_alu instid0(VALU_DEP_2) | instskip(SKIP_1) | instid1(VALU_DEP_1)
	v_lshlrev_b32_e32 v20, v20, v11
	s_wait_alu 0xfffd
	v_dual_cndmask_b32 v19, v21, v19 :: v_dual_and_b32 v20, 7, v20
	s_delay_alu instid0(VALU_DEP_1) | instskip(NEXT) | instid1(VALU_DEP_2)
	v_lshl_add_u32 v19, v19, 23, 0x3b800000
	v_cndmask_b32_e32 v11, v11, v20, vcc_lo
	s_delay_alu instid0(VALU_DEP_1) | instskip(NEXT) | instid1(VALU_DEP_1)
	v_lshlrev_b32_e32 v11, 20, v11
	v_or3_b32 v11, v12, v19, v11
.LBB6_496:
	s_wait_alu 0xfffe
	s_or_b32 exec_lo, exec_lo, s1
	v_and_b32_e32 v19, 0xff, v1
	s_mov_b32 s0, 0
	s_mov_b32 s1, exec_lo
	s_delay_alu instid0(VALU_DEP_1)
	v_cmpx_lt_i16_e32 0x7f, v19
	s_wait_alu 0xfffe
	s_xor_b32 s1, exec_lo, s1
	s_cbranch_execnz .LBB6_977
; %bb.497:
	s_wait_alu 0xfffe
	s_or_saveexec_b32 s1, s1
	v_mov_b32_e32 v12, 0x7f800001
	s_wait_alu 0xfffe
	s_xor_b32 exec_lo, exec_lo, s1
	s_cbranch_execnz .LBB6_980
.LBB6_498:
	s_or_b32 exec_lo, exec_lo, s1
	s_and_saveexec_b32 s1, s0
	s_cbranch_execz .LBB6_500
.LBB6_499:
	v_lshrrev_b16 v21, 3, v1
	s_delay_alu instid0(VALU_DEP_1) | instskip(NEXT) | instid1(VALU_DEP_1)
	v_and_b32_e32 v21, 15, v21
	v_cmp_eq_u16_e32 vcc_lo, 0, v21
	v_and_b32_e32 v12, 7, v1
	v_lshrrev_b16 v1, 7, v1
	s_delay_alu instid0(VALU_DEP_2) | instskip(NEXT) | instid1(VALU_DEP_2)
	v_clz_i32_u32_e32 v19, v12
	v_lshlrev_b32_e32 v1, 31, v1
	s_delay_alu instid0(VALU_DEP_2) | instskip(NEXT) | instid1(VALU_DEP_1)
	v_min_u32_e32 v19, 32, v19
	v_subrev_nc_u32_e32 v20, 28, v19
	v_sub_nc_u32_e32 v19, 29, v19
	s_wait_alu 0xfffd
	s_delay_alu instid0(VALU_DEP_1) | instskip(NEXT) | instid1(VALU_DEP_1)
	v_dual_cndmask_b32 v19, v21, v19 :: v_dual_lshlrev_b32 v20, v20, v12
	v_lshl_add_u32 v19, v19, 23, 0x3b800000
	s_delay_alu instid0(VALU_DEP_2) | instskip(NEXT) | instid1(VALU_DEP_1)
	v_and_b32_e32 v20, 7, v20
	v_cndmask_b32_e32 v12, v12, v20, vcc_lo
	s_delay_alu instid0(VALU_DEP_1) | instskip(NEXT) | instid1(VALU_DEP_1)
	v_lshlrev_b32_e32 v12, 20, v12
	v_or3_b32 v12, v1, v19, v12
.LBB6_500:
	s_wait_alu 0xfffe
	s_or_b32 exec_lo, exec_lo, s1
	v_and_b32_e32 v19, 0xff, v15
	s_mov_b32 s0, 0
	s_mov_b32 s1, exec_lo
	s_delay_alu instid0(VALU_DEP_1)
	v_cmpx_lt_i16_e32 0x7f, v19
	s_wait_alu 0xfffe
	s_xor_b32 s1, exec_lo, s1
	s_cbranch_execnz .LBB6_981
; %bb.501:
	s_wait_alu 0xfffe
	s_or_saveexec_b32 s1, s1
	v_mov_b32_e32 v1, 0x7f800001
	s_wait_alu 0xfffe
	s_xor_b32 exec_lo, exec_lo, s1
	s_cbranch_execnz .LBB6_984
.LBB6_502:
	s_or_b32 exec_lo, exec_lo, s1
	s_and_saveexec_b32 s1, s0
	s_cbranch_execz .LBB6_504
.LBB6_503:
	v_and_b32_e32 v1, 7, v15
	v_lshrrev_b16 v21, 3, v15
	v_lshrrev_b16 v15, 7, v15
	s_delay_alu instid0(VALU_DEP_3) | instskip(NEXT) | instid1(VALU_DEP_3)
	v_clz_i32_u32_e32 v19, v1
	v_and_b32_e32 v21, 15, v21
	s_delay_alu instid0(VALU_DEP_3) | instskip(NEXT) | instid1(VALU_DEP_3)
	v_lshlrev_b32_e32 v15, 31, v15
	v_min_u32_e32 v19, 32, v19
	s_delay_alu instid0(VALU_DEP_3) | instskip(NEXT) | instid1(VALU_DEP_2)
	v_cmp_eq_u16_e32 vcc_lo, 0, v21
	v_subrev_nc_u32_e32 v20, 28, v19
	v_sub_nc_u32_e32 v19, 29, v19
	s_wait_alu 0xfffd
	s_delay_alu instid0(VALU_DEP_1) | instskip(NEXT) | instid1(VALU_DEP_1)
	v_dual_cndmask_b32 v19, v21, v19 :: v_dual_lshlrev_b32 v20, v20, v1
	v_and_b32_e32 v20, 7, v20
	s_delay_alu instid0(VALU_DEP_2) | instskip(NEXT) | instid1(VALU_DEP_2)
	v_lshl_add_u32 v19, v19, 23, 0x3b800000
	v_cndmask_b32_e32 v1, v1, v20, vcc_lo
	s_delay_alu instid0(VALU_DEP_1) | instskip(NEXT) | instid1(VALU_DEP_1)
	v_lshlrev_b32_e32 v1, 20, v1
	v_or3_b32 v1, v15, v19, v1
.LBB6_504:
	s_wait_alu 0xfffe
	s_or_b32 exec_lo, exec_lo, s1
	v_and_b32_e32 v19, 0xff, v17
	s_mov_b32 s0, 0
	s_mov_b32 s1, exec_lo
	s_delay_alu instid0(VALU_DEP_1)
	v_cmpx_lt_i16_e32 0x7f, v19
	s_wait_alu 0xfffe
	s_xor_b32 s1, exec_lo, s1
	s_cbranch_execnz .LBB6_985
; %bb.505:
	s_wait_alu 0xfffe
	s_or_saveexec_b32 s1, s1
	v_mov_b32_e32 v15, 0x7f800001
	s_wait_alu 0xfffe
	s_xor_b32 exec_lo, exec_lo, s1
	s_cbranch_execnz .LBB6_988
.LBB6_506:
	s_or_b32 exec_lo, exec_lo, s1
	s_and_saveexec_b32 s1, s0
	s_cbranch_execz .LBB6_508
.LBB6_507:
	v_and_b32_e32 v15, 7, v17
	v_lshrrev_b16 v21, 3, v17
	v_lshrrev_b16 v17, 7, v17
	s_delay_alu instid0(VALU_DEP_3) | instskip(NEXT) | instid1(VALU_DEP_3)
	v_clz_i32_u32_e32 v19, v15
	v_and_b32_e32 v21, 15, v21
	s_delay_alu instid0(VALU_DEP_3) | instskip(NEXT) | instid1(VALU_DEP_3)
	v_lshlrev_b32_e32 v17, 31, v17
	v_min_u32_e32 v19, 32, v19
	s_delay_alu instid0(VALU_DEP_3) | instskip(NEXT) | instid1(VALU_DEP_2)
	v_cmp_eq_u16_e32 vcc_lo, 0, v21
	v_subrev_nc_u32_e32 v20, 28, v19
	v_sub_nc_u32_e32 v19, 29, v19
	s_delay_alu instid0(VALU_DEP_2) | instskip(SKIP_1) | instid1(VALU_DEP_1)
	v_lshlrev_b32_e32 v20, v20, v15
	s_wait_alu 0xfffd
	v_dual_cndmask_b32 v19, v21, v19 :: v_dual_and_b32 v20, 7, v20
	s_delay_alu instid0(VALU_DEP_1) | instskip(NEXT) | instid1(VALU_DEP_2)
	v_lshl_add_u32 v19, v19, 23, 0x3b800000
	v_cndmask_b32_e32 v15, v15, v20, vcc_lo
	s_delay_alu instid0(VALU_DEP_1) | instskip(NEXT) | instid1(VALU_DEP_1)
	v_lshlrev_b32_e32 v15, 20, v15
	v_or3_b32 v15, v17, v19, v15
.LBB6_508:
	s_wait_alu 0xfffe
	s_or_b32 exec_lo, exec_lo, s1
	s_mov_b32 s0, 0
	s_mov_b32 s1, exec_lo
	v_cmpx_lt_i16_e32 0x7f, v18
	s_wait_alu 0xfffe
	s_xor_b32 s1, exec_lo, s1
	s_cbranch_execnz .LBB6_989
; %bb.509:
	s_wait_alu 0xfffe
	s_or_saveexec_b32 s1, s1
	v_mov_b32_e32 v17, 0x7f800001
	s_wait_alu 0xfffe
	s_xor_b32 exec_lo, exec_lo, s1
	s_cbranch_execnz .LBB6_992
.LBB6_510:
	s_or_b32 exec_lo, exec_lo, s1
	s_and_saveexec_b32 s1, s0
	s_cbranch_execz .LBB6_512
.LBB6_511:
	v_and_b32_e32 v17, 7, v18
	v_lshrrev_b16 v21, 3, v18
	v_lshrrev_b16 v18, 7, v18
	s_delay_alu instid0(VALU_DEP_3) | instskip(NEXT) | instid1(VALU_DEP_3)
	v_clz_i32_u32_e32 v19, v17
	v_and_b32_e32 v21, 15, v21
	s_delay_alu instid0(VALU_DEP_3) | instskip(NEXT) | instid1(VALU_DEP_3)
	v_lshlrev_b32_e32 v18, 31, v18
	v_min_u32_e32 v19, 32, v19
	s_delay_alu instid0(VALU_DEP_3) | instskip(NEXT) | instid1(VALU_DEP_2)
	v_cmp_eq_u16_e32 vcc_lo, 0, v21
	v_subrev_nc_u32_e32 v20, 28, v19
	v_sub_nc_u32_e32 v19, 29, v19
	s_wait_alu 0xfffd
	s_delay_alu instid0(VALU_DEP_1) | instskip(NEXT) | instid1(VALU_DEP_1)
	v_dual_cndmask_b32 v19, v21, v19 :: v_dual_lshlrev_b32 v20, v20, v17
	v_and_b32_e32 v20, 7, v20
	s_delay_alu instid0(VALU_DEP_2) | instskip(NEXT) | instid1(VALU_DEP_2)
	v_lshl_add_u32 v19, v19, 23, 0x3b800000
	v_cndmask_b32_e32 v17, v17, v20, vcc_lo
	s_delay_alu instid0(VALU_DEP_1) | instskip(NEXT) | instid1(VALU_DEP_1)
	v_lshlrev_b32_e32 v17, 20, v17
	v_or3_b32 v17, v18, v19, v17
.LBB6_512:
	s_wait_alu 0xfffe
	s_or_b32 exec_lo, exec_lo, s1
	v_and_b32_e32 v19, 0xff, v2
	s_mov_b32 s0, 0
	s_mov_b32 s1, exec_lo
	s_delay_alu instid0(VALU_DEP_1)
	v_cmpx_lt_i16_e32 0x7f, v19
	s_wait_alu 0xfffe
	s_xor_b32 s1, exec_lo, s1
	s_cbranch_execnz .LBB6_993
; %bb.513:
	s_wait_alu 0xfffe
	s_or_saveexec_b32 s1, s1
	v_mov_b32_e32 v18, 0x7f800001
	s_wait_alu 0xfffe
	s_xor_b32 exec_lo, exec_lo, s1
	s_cbranch_execnz .LBB6_996
.LBB6_514:
	s_or_b32 exec_lo, exec_lo, s1
	s_and_saveexec_b32 s1, s0
	s_cbranch_execz .LBB6_516
.LBB6_515:
	v_lshrrev_b16 v21, 3, v2
	s_delay_alu instid0(VALU_DEP_1) | instskip(NEXT) | instid1(VALU_DEP_1)
	v_and_b32_e32 v21, 15, v21
	v_cmp_eq_u16_e32 vcc_lo, 0, v21
	v_and_b32_e32 v18, 7, v2
	v_lshrrev_b16 v2, 7, v2
	s_delay_alu instid0(VALU_DEP_2) | instskip(NEXT) | instid1(VALU_DEP_2)
	v_clz_i32_u32_e32 v19, v18
	v_lshlrev_b32_e32 v2, 31, v2
	s_delay_alu instid0(VALU_DEP_2) | instskip(NEXT) | instid1(VALU_DEP_1)
	v_min_u32_e32 v19, 32, v19
	v_subrev_nc_u32_e32 v20, 28, v19
	v_sub_nc_u32_e32 v19, 29, v19
	s_wait_alu 0xfffd
	s_delay_alu instid0(VALU_DEP_1) | instskip(NEXT) | instid1(VALU_DEP_1)
	v_dual_cndmask_b32 v19, v21, v19 :: v_dual_lshlrev_b32 v20, v20, v18
	v_lshl_add_u32 v19, v19, 23, 0x3b800000
	s_delay_alu instid0(VALU_DEP_2) | instskip(NEXT) | instid1(VALU_DEP_1)
	v_and_b32_e32 v20, 7, v20
	v_cndmask_b32_e32 v18, v18, v20, vcc_lo
	s_delay_alu instid0(VALU_DEP_1) | instskip(NEXT) | instid1(VALU_DEP_1)
	v_lshlrev_b32_e32 v18, 20, v18
	v_or3_b32 v18, v2, v19, v18
.LBB6_516:
	s_wait_alu 0xfffe
	s_or_b32 exec_lo, exec_lo, s1
	v_and_b32_e32 v19, 0xff, v16
	s_mov_b32 s0, 0
	s_mov_b32 s1, exec_lo
	s_delay_alu instid0(VALU_DEP_1)
	v_cmpx_lt_i16_e32 0x7f, v19
	s_wait_alu 0xfffe
	s_xor_b32 s1, exec_lo, s1
	s_cbranch_execnz .LBB6_997
; %bb.517:
	s_wait_alu 0xfffe
	s_or_saveexec_b32 s1, s1
	v_mov_b32_e32 v2, 0x7f800001
	s_wait_alu 0xfffe
	s_xor_b32 exec_lo, exec_lo, s1
	s_cbranch_execnz .LBB6_1000
.LBB6_518:
	s_or_b32 exec_lo, exec_lo, s1
	s_and_saveexec_b32 s1, s0
	s_cbranch_execz .LBB6_520
.LBB6_519:
	v_lshrrev_b16 v21, 3, v16
	s_delay_alu instid0(VALU_DEP_1) | instskip(NEXT) | instid1(VALU_DEP_1)
	v_and_b32_e32 v21, 15, v21
	v_cmp_eq_u16_e32 vcc_lo, 0, v21
	v_and_b32_e32 v2, 7, v16
	v_lshrrev_b16 v16, 7, v16
	s_delay_alu instid0(VALU_DEP_2) | instskip(NEXT) | instid1(VALU_DEP_2)
	v_clz_i32_u32_e32 v19, v2
	v_lshlrev_b32_e32 v16, 31, v16
	s_delay_alu instid0(VALU_DEP_2) | instskip(NEXT) | instid1(VALU_DEP_1)
	v_min_u32_e32 v19, 32, v19
	v_subrev_nc_u32_e32 v20, 28, v19
	v_sub_nc_u32_e32 v19, 29, v19
	s_wait_alu 0xfffd
	s_delay_alu instid0(VALU_DEP_1) | instskip(NEXT) | instid1(VALU_DEP_1)
	v_dual_cndmask_b32 v19, v21, v19 :: v_dual_lshlrev_b32 v20, v20, v2
	v_lshl_add_u32 v19, v19, 23, 0x3b800000
	s_delay_alu instid0(VALU_DEP_2) | instskip(NEXT) | instid1(VALU_DEP_1)
	v_and_b32_e32 v20, 7, v20
	v_cndmask_b32_e32 v2, v2, v20, vcc_lo
	s_delay_alu instid0(VALU_DEP_1) | instskip(NEXT) | instid1(VALU_DEP_1)
	v_lshlrev_b32_e32 v2, 20, v2
	v_or3_b32 v2, v16, v19, v2
.LBB6_520:
	s_wait_alu 0xfffe
	s_or_b32 exec_lo, exec_lo, s1
	v_and_b32_e32 v19, 0xff, v14
	s_mov_b32 s0, 0
	s_mov_b32 s1, exec_lo
	s_delay_alu instid0(VALU_DEP_1)
	v_cmpx_lt_i16_e32 0x7f, v19
	s_wait_alu 0xfffe
	s_xor_b32 s1, exec_lo, s1
	s_cbranch_execnz .LBB6_1001
; %bb.521:
	s_wait_alu 0xfffe
	s_or_saveexec_b32 s1, s1
	v_mov_b32_e32 v16, 0x7f800001
	s_wait_alu 0xfffe
	s_xor_b32 exec_lo, exec_lo, s1
	s_cbranch_execnz .LBB6_1004
.LBB6_522:
	s_or_b32 exec_lo, exec_lo, s1
	s_and_saveexec_b32 s1, s0
	s_cbranch_execz .LBB6_524
.LBB6_523:
	v_lshrrev_b16 v21, 3, v14
	s_delay_alu instid0(VALU_DEP_1) | instskip(NEXT) | instid1(VALU_DEP_1)
	v_and_b32_e32 v21, 15, v21
	v_cmp_eq_u16_e32 vcc_lo, 0, v21
	v_and_b32_e32 v16, 7, v14
	v_lshrrev_b16 v14, 7, v14
	s_delay_alu instid0(VALU_DEP_2) | instskip(NEXT) | instid1(VALU_DEP_2)
	v_clz_i32_u32_e32 v19, v16
	v_lshlrev_b32_e32 v14, 31, v14
	s_delay_alu instid0(VALU_DEP_2) | instskip(NEXT) | instid1(VALU_DEP_1)
	v_min_u32_e32 v19, 32, v19
	v_subrev_nc_u32_e32 v20, 28, v19
	v_sub_nc_u32_e32 v19, 29, v19
	s_wait_alu 0xfffd
	s_delay_alu instid0(VALU_DEP_1) | instskip(NEXT) | instid1(VALU_DEP_1)
	v_dual_cndmask_b32 v19, v21, v19 :: v_dual_lshlrev_b32 v20, v20, v16
	v_lshl_add_u32 v19, v19, 23, 0x3b800000
	s_delay_alu instid0(VALU_DEP_2) | instskip(NEXT) | instid1(VALU_DEP_1)
	v_and_b32_e32 v20, 7, v20
	v_cndmask_b32_e32 v16, v16, v20, vcc_lo
	s_delay_alu instid0(VALU_DEP_1) | instskip(NEXT) | instid1(VALU_DEP_1)
	v_lshlrev_b32_e32 v16, 20, v16
	v_or3_b32 v16, v14, v19, v16
.LBB6_524:
	s_wait_alu 0xfffe
	s_or_b32 exec_lo, exec_lo, s1
	s_mov_b32 s0, 0
	s_mov_b32 s1, exec_lo
	v_cmpx_lt_i16_e32 0x7f, v13
	s_wait_alu 0xfffe
	s_xor_b32 s1, exec_lo, s1
	s_cbranch_execnz .LBB6_1005
; %bb.525:
	s_wait_alu 0xfffe
	s_or_saveexec_b32 s1, s1
	v_mov_b32_e32 v14, 0x7f800001
	s_wait_alu 0xfffe
	s_xor_b32 exec_lo, exec_lo, s1
	s_cbranch_execnz .LBB6_1008
.LBB6_526:
	s_or_b32 exec_lo, exec_lo, s1
	s_and_saveexec_b32 s1, s0
	s_cbranch_execz .LBB6_528
.LBB6_527:
	v_lshrrev_b16 v21, 3, v13
	s_delay_alu instid0(VALU_DEP_1) | instskip(NEXT) | instid1(VALU_DEP_1)
	v_and_b32_e32 v21, 15, v21
	v_cmp_eq_u16_e32 vcc_lo, 0, v21
	v_and_b32_e32 v14, 7, v13
	v_lshrrev_b16 v13, 7, v13
	s_delay_alu instid0(VALU_DEP_2) | instskip(NEXT) | instid1(VALU_DEP_2)
	v_clz_i32_u32_e32 v19, v14
	v_lshlrev_b32_e32 v13, 31, v13
	s_delay_alu instid0(VALU_DEP_2) | instskip(NEXT) | instid1(VALU_DEP_1)
	v_min_u32_e32 v19, 32, v19
	v_subrev_nc_u32_e32 v20, 28, v19
	v_sub_nc_u32_e32 v19, 29, v19
	s_wait_alu 0xfffd
	s_delay_alu instid0(VALU_DEP_1) | instskip(NEXT) | instid1(VALU_DEP_1)
	v_dual_cndmask_b32 v19, v21, v19 :: v_dual_lshlrev_b32 v20, v20, v14
	v_lshl_add_u32 v19, v19, 23, 0x3b800000
	s_delay_alu instid0(VALU_DEP_2) | instskip(NEXT) | instid1(VALU_DEP_1)
	v_and_b32_e32 v20, 7, v20
	v_cndmask_b32_e32 v14, v14, v20, vcc_lo
	s_delay_alu instid0(VALU_DEP_1) | instskip(NEXT) | instid1(VALU_DEP_1)
	v_lshlrev_b32_e32 v14, 20, v14
	v_or3_b32 v14, v13, v19, v14
.LBB6_528:
	s_wait_alu 0xfffe
	s_or_b32 exec_lo, exec_lo, s1
	v_and_b32_e32 v19, 0xff, v3
	s_mov_b32 s0, 0
	s_mov_b32 s1, exec_lo
	s_delay_alu instid0(VALU_DEP_1)
	v_cmpx_lt_i16_e32 0x7f, v19
	s_wait_alu 0xfffe
	s_xor_b32 s1, exec_lo, s1
	s_cbranch_execnz .LBB6_1009
; %bb.529:
	s_wait_alu 0xfffe
	s_or_saveexec_b32 s1, s1
	v_mov_b32_e32 v13, 0x7f800001
	s_wait_alu 0xfffe
	s_xor_b32 exec_lo, exec_lo, s1
	s_cbranch_execnz .LBB6_1012
.LBB6_530:
	s_or_b32 exec_lo, exec_lo, s1
	s_and_saveexec_b32 s1, s0
	s_cbranch_execz .LBB6_532
.LBB6_531:
	v_and_b32_e32 v13, 7, v3
	v_lshrrev_b16 v21, 3, v3
	v_lshrrev_b16 v3, 7, v3
	s_delay_alu instid0(VALU_DEP_3) | instskip(NEXT) | instid1(VALU_DEP_3)
	v_clz_i32_u32_e32 v19, v13
	v_and_b32_e32 v21, 15, v21
	s_delay_alu instid0(VALU_DEP_3) | instskip(NEXT) | instid1(VALU_DEP_3)
	v_lshlrev_b32_e32 v3, 31, v3
	v_min_u32_e32 v19, 32, v19
	s_delay_alu instid0(VALU_DEP_3) | instskip(NEXT) | instid1(VALU_DEP_2)
	v_cmp_eq_u16_e32 vcc_lo, 0, v21
	v_subrev_nc_u32_e32 v20, 28, v19
	v_sub_nc_u32_e32 v19, 29, v19
	s_wait_alu 0xfffd
	s_delay_alu instid0(VALU_DEP_1) | instskip(NEXT) | instid1(VALU_DEP_1)
	v_dual_cndmask_b32 v19, v21, v19 :: v_dual_lshlrev_b32 v20, v20, v13
	v_and_b32_e32 v20, 7, v20
	s_delay_alu instid0(VALU_DEP_2) | instskip(NEXT) | instid1(VALU_DEP_2)
	v_lshl_add_u32 v19, v19, 23, 0x3b800000
	v_cndmask_b32_e32 v13, v13, v20, vcc_lo
	s_delay_alu instid0(VALU_DEP_1) | instskip(NEXT) | instid1(VALU_DEP_1)
	v_lshlrev_b32_e32 v13, 20, v13
	v_or3_b32 v13, v3, v19, v13
.LBB6_532:
	s_wait_alu 0xfffe
	s_or_b32 exec_lo, exec_lo, s1
	v_and_b32_e32 v19, 0xff, v9
	s_mov_b32 s0, 0
	s_mov_b32 s1, exec_lo
	s_delay_alu instid0(VALU_DEP_1)
	v_cmpx_lt_i16_e32 0x7f, v19
	s_wait_alu 0xfffe
	s_xor_b32 s1, exec_lo, s1
	s_cbranch_execnz .LBB6_1013
; %bb.533:
	s_wait_alu 0xfffe
	s_or_saveexec_b32 s1, s1
	v_mov_b32_e32 v3, 0x7f800001
	s_wait_alu 0xfffe
	s_xor_b32 exec_lo, exec_lo, s1
	s_cbranch_execnz .LBB6_1016
.LBB6_534:
	s_or_b32 exec_lo, exec_lo, s1
	s_and_saveexec_b32 s1, s0
	s_cbranch_execz .LBB6_536
.LBB6_535:
	v_and_b32_e32 v3, 7, v9
	v_lshrrev_b16 v21, 3, v9
	v_lshrrev_b16 v9, 7, v9
	s_delay_alu instid0(VALU_DEP_3) | instskip(NEXT) | instid1(VALU_DEP_3)
	v_clz_i32_u32_e32 v19, v3
	v_and_b32_e32 v21, 15, v21
	s_delay_alu instid0(VALU_DEP_3) | instskip(NEXT) | instid1(VALU_DEP_3)
	v_lshlrev_b32_e32 v9, 31, v9
	v_min_u32_e32 v19, 32, v19
	s_delay_alu instid0(VALU_DEP_3) | instskip(NEXT) | instid1(VALU_DEP_2)
	v_cmp_eq_u16_e32 vcc_lo, 0, v21
	v_subrev_nc_u32_e32 v20, 28, v19
	v_sub_nc_u32_e32 v19, 29, v19
	s_delay_alu instid0(VALU_DEP_2) | instskip(SKIP_1) | instid1(VALU_DEP_1)
	v_lshlrev_b32_e32 v20, v20, v3
	s_wait_alu 0xfffd
	v_dual_cndmask_b32 v19, v21, v19 :: v_dual_and_b32 v20, 7, v20
	s_delay_alu instid0(VALU_DEP_1) | instskip(NEXT) | instid1(VALU_DEP_2)
	v_lshl_add_u32 v19, v19, 23, 0x3b800000
	v_cndmask_b32_e32 v3, v3, v20, vcc_lo
	s_delay_alu instid0(VALU_DEP_1) | instskip(NEXT) | instid1(VALU_DEP_1)
	v_lshlrev_b32_e32 v3, 20, v3
	v_or3_b32 v3, v9, v19, v3
.LBB6_536:
	s_wait_alu 0xfffe
	s_or_b32 exec_lo, exec_lo, s1
	v_and_b32_e32 v19, 0xff, v8
	s_mov_b32 s0, 0
	s_mov_b32 s1, exec_lo
	s_delay_alu instid0(VALU_DEP_1)
	v_cmpx_lt_i16_e32 0x7f, v19
	s_wait_alu 0xfffe
	s_xor_b32 s1, exec_lo, s1
	s_cbranch_execnz .LBB6_1017
; %bb.537:
	s_wait_alu 0xfffe
	s_or_saveexec_b32 s1, s1
	v_mov_b32_e32 v9, 0x7f800001
	s_wait_alu 0xfffe
	s_xor_b32 exec_lo, exec_lo, s1
	s_cbranch_execnz .LBB6_1020
.LBB6_538:
	s_or_b32 exec_lo, exec_lo, s1
	s_and_saveexec_b32 s1, s0
	s_cbranch_execz .LBB6_540
.LBB6_539:
	v_and_b32_e32 v9, 7, v8
	v_lshrrev_b16 v21, 3, v8
	v_lshrrev_b16 v8, 7, v8
	s_delay_alu instid0(VALU_DEP_3) | instskip(NEXT) | instid1(VALU_DEP_3)
	v_clz_i32_u32_e32 v19, v9
	v_and_b32_e32 v21, 15, v21
	s_delay_alu instid0(VALU_DEP_3) | instskip(NEXT) | instid1(VALU_DEP_3)
	v_lshlrev_b32_e32 v8, 31, v8
	v_min_u32_e32 v19, 32, v19
	s_delay_alu instid0(VALU_DEP_3) | instskip(NEXT) | instid1(VALU_DEP_2)
	v_cmp_eq_u16_e32 vcc_lo, 0, v21
	v_subrev_nc_u32_e32 v20, 28, v19
	v_sub_nc_u32_e32 v19, 29, v19
	s_wait_alu 0xfffd
	s_delay_alu instid0(VALU_DEP_1) | instskip(NEXT) | instid1(VALU_DEP_1)
	v_dual_cndmask_b32 v19, v21, v19 :: v_dual_lshlrev_b32 v20, v20, v9
	v_and_b32_e32 v20, 7, v20
	s_delay_alu instid0(VALU_DEP_2) | instskip(NEXT) | instid1(VALU_DEP_2)
	v_lshl_add_u32 v19, v19, 23, 0x3b800000
	v_cndmask_b32_e32 v9, v9, v20, vcc_lo
	s_delay_alu instid0(VALU_DEP_1) | instskip(NEXT) | instid1(VALU_DEP_1)
	v_lshlrev_b32_e32 v9, 20, v9
	v_or3_b32 v9, v8, v19, v9
.LBB6_540:
	s_wait_alu 0xfffe
	s_or_b32 exec_lo, exec_lo, s1
	s_mov_b32 s0, 0
	s_mov_b32 s1, exec_lo
	v_cmpx_lt_i16_e32 0x7f, v7
	s_wait_alu 0xfffe
	s_xor_b32 s1, exec_lo, s1
	s_cbranch_execnz .LBB6_1021
; %bb.541:
	s_wait_alu 0xfffe
	s_or_saveexec_b32 s1, s1
	v_mov_b32_e32 v8, 0x7f800001
	s_wait_alu 0xfffe
	s_xor_b32 exec_lo, exec_lo, s1
	s_cbranch_execnz .LBB6_1024
.LBB6_542:
	s_or_b32 exec_lo, exec_lo, s1
	s_and_saveexec_b32 s1, s0
	s_cbranch_execz .LBB6_544
.LBB6_543:
	v_and_b32_e32 v8, 7, v7
	v_lshrrev_b16 v21, 3, v7
	v_lshrrev_b16 v7, 7, v7
	s_delay_alu instid0(VALU_DEP_3) | instskip(NEXT) | instid1(VALU_DEP_3)
	v_clz_i32_u32_e32 v19, v8
	v_and_b32_e32 v21, 15, v21
	s_delay_alu instid0(VALU_DEP_3) | instskip(NEXT) | instid1(VALU_DEP_3)
	v_lshlrev_b32_e32 v7, 31, v7
	v_min_u32_e32 v19, 32, v19
	s_delay_alu instid0(VALU_DEP_3) | instskip(NEXT) | instid1(VALU_DEP_2)
	v_cmp_eq_u16_e32 vcc_lo, 0, v21
	v_subrev_nc_u32_e32 v20, 28, v19
	v_sub_nc_u32_e32 v19, 29, v19
	s_wait_alu 0xfffd
	s_delay_alu instid0(VALU_DEP_1) | instskip(NEXT) | instid1(VALU_DEP_1)
	v_dual_cndmask_b32 v19, v21, v19 :: v_dual_lshlrev_b32 v20, v20, v8
	v_and_b32_e32 v20, 7, v20
	s_delay_alu instid0(VALU_DEP_2) | instskip(NEXT) | instid1(VALU_DEP_2)
	v_lshl_add_u32 v19, v19, 23, 0x3b800000
	v_cndmask_b32_e32 v8, v8, v20, vcc_lo
	s_delay_alu instid0(VALU_DEP_1) | instskip(NEXT) | instid1(VALU_DEP_1)
	v_lshlrev_b32_e32 v8, 20, v8
	v_or3_b32 v8, v7, v19, v8
.LBB6_544:
	s_wait_alu 0xfffe
	s_or_b32 exec_lo, exec_lo, s1
	v_cvt_pk_rtz_f16_f32_e32 v19, v6, v0
	v_cvt_pk_rtz_f16_f32_e32 v20, v10, v11
	;; [unrolled: 1-line block ×8, first 2 shown]
	s_clause 0x1
	flat_store_b128 v[4:5], v[19:22] offset:224
	flat_store_b128 v[4:5], v[11:14] offset:240
	s_wait_dscnt 0x0
	s_setpc_b64 s[30:31]
.LBB6_545:
	s_mov_b32 s0, -1
	s_mov_b32 s2, exec_lo
	v_cmpx_eq_u16_e32 0x80, v25
; %bb.546:
	s_xor_b32 s0, exec_lo, -1
; %bb.547:
	s_wait_alu 0xfffe
	s_or_b32 exec_lo, exec_lo, s2
	s_delay_alu instid0(SALU_CYCLE_1)
	s_and_b32 s0, s0, exec_lo
                                        ; implicit-def: $vgpr25
	s_or_saveexec_b32 s1, s1
	v_mov_b32_e32 v6, 0x7f800001
	s_wait_alu 0xfffe
	s_xor_b32 exec_lo, exec_lo, s1
	s_cbranch_execz .LBB6_10
.LBB6_548:
	v_cmp_ne_u16_e32 vcc_lo, 0, v25
	v_mov_b32_e32 v6, 0
	s_and_not1_b32 s0, s0, exec_lo
	s_and_b32 s2, vcc_lo, exec_lo
	s_wait_alu 0xfffe
	s_or_b32 s0, s0, s2
	s_or_b32 exec_lo, exec_lo, s1
	s_wait_alu 0xfffe
	s_and_saveexec_b32 s1, s0
	s_cbranch_execnz .LBB6_11
	s_branch .LBB6_12
.LBB6_549:
	s_mov_b32 s0, -1
	s_mov_b32 s2, exec_lo
	v_cmpx_eq_u16_e32 0x80, v25
; %bb.550:
	s_xor_b32 s0, exec_lo, -1
; %bb.551:
	s_wait_alu 0xfffe
	s_or_b32 exec_lo, exec_lo, s2
	s_delay_alu instid0(SALU_CYCLE_1)
	s_and_b32 s0, s0, exec_lo
                                        ; implicit-def: $vgpr25
	s_or_saveexec_b32 s1, s1
	v_mov_b32_e32 v16, 0x7f800001
	s_wait_alu 0xfffe
	s_xor_b32 exec_lo, exec_lo, s1
	s_cbranch_execz .LBB6_14
.LBB6_552:
	v_cmp_ne_u16_e32 vcc_lo, 0, v25
	v_mov_b32_e32 v16, 0
	s_and_not1_b32 s0, s0, exec_lo
	s_and_b32 s2, vcc_lo, exec_lo
	s_wait_alu 0xfffe
	s_or_b32 s0, s0, s2
	s_or_b32 exec_lo, exec_lo, s1
	s_wait_alu 0xfffe
	s_and_saveexec_b32 s1, s0
	s_cbranch_execnz .LBB6_15
	s_branch .LBB6_16
.LBB6_553:
	s_mov_b32 s0, -1
	s_mov_b32 s2, exec_lo
	v_cmpx_eq_u16_e32 0x80, v18
; %bb.554:
	s_xor_b32 s0, exec_lo, -1
; %bb.555:
	s_wait_alu 0xfffe
	s_or_b32 exec_lo, exec_lo, s2
	s_delay_alu instid0(SALU_CYCLE_1)
	s_and_b32 s0, s0, exec_lo
	s_or_saveexec_b32 s1, s1
	v_mov_b32_e32 v17, 0x7f800001
	s_wait_alu 0xfffe
	s_xor_b32 exec_lo, exec_lo, s1
	s_cbranch_execz .LBB6_18
.LBB6_556:
	v_cmp_ne_u16_e32 vcc_lo, 0, v18
	v_mov_b32_e32 v17, 0
	s_and_not1_b32 s0, s0, exec_lo
	s_and_b32 s2, vcc_lo, exec_lo
	s_wait_alu 0xfffe
	s_or_b32 s0, s0, s2
	s_or_b32 exec_lo, exec_lo, s1
	s_wait_alu 0xfffe
	s_and_saveexec_b32 s1, s0
	s_cbranch_execnz .LBB6_19
	s_branch .LBB6_20
.LBB6_557:
	s_mov_b32 s0, -1
	s_mov_b32 s2, exec_lo
	v_cmpx_eq_u16_e32 0x80, v25
; %bb.558:
	s_xor_b32 s0, exec_lo, -1
; %bb.559:
	s_wait_alu 0xfffe
	s_or_b32 exec_lo, exec_lo, s2
	s_delay_alu instid0(SALU_CYCLE_1)
	s_and_b32 s0, s0, exec_lo
                                        ; implicit-def: $vgpr25
	s_or_saveexec_b32 s1, s1
	v_mov_b32_e32 v18, 0x7f800001
	s_wait_alu 0xfffe
	s_xor_b32 exec_lo, exec_lo, s1
	s_cbranch_execz .LBB6_22
.LBB6_560:
	v_cmp_ne_u16_e32 vcc_lo, 0, v25
	v_mov_b32_e32 v18, 0
	s_and_not1_b32 s0, s0, exec_lo
	s_and_b32 s2, vcc_lo, exec_lo
	s_wait_alu 0xfffe
	s_or_b32 s0, s0, s2
	s_or_b32 exec_lo, exec_lo, s1
	s_wait_alu 0xfffe
	s_and_saveexec_b32 s1, s0
	s_cbranch_execnz .LBB6_23
	s_branch .LBB6_24
.LBB6_561:
	s_mov_b32 s0, -1
	s_mov_b32 s2, exec_lo
	v_cmpx_eq_u16_e32 0x80, v25
; %bb.562:
	s_xor_b32 s0, exec_lo, -1
; %bb.563:
	s_wait_alu 0xfffe
	s_or_b32 exec_lo, exec_lo, s2
	s_delay_alu instid0(SALU_CYCLE_1)
	s_and_b32 s0, s0, exec_lo
                                        ; implicit-def: $vgpr25
	s_or_saveexec_b32 s1, s1
	v_mov_b32_e32 v7, 0x7f800001
	s_wait_alu 0xfffe
	s_xor_b32 exec_lo, exec_lo, s1
	s_cbranch_execz .LBB6_26
.LBB6_564:
	v_cmp_ne_u16_e32 vcc_lo, 0, v25
	v_mov_b32_e32 v7, 0
	s_and_not1_b32 s0, s0, exec_lo
	s_and_b32 s2, vcc_lo, exec_lo
	s_wait_alu 0xfffe
	s_or_b32 s0, s0, s2
	s_or_b32 exec_lo, exec_lo, s1
	s_wait_alu 0xfffe
	s_and_saveexec_b32 s1, s0
	s_cbranch_execnz .LBB6_27
	s_branch .LBB6_28
.LBB6_565:
	s_mov_b32 s0, -1
	s_mov_b32 s2, exec_lo
	v_cmpx_eq_u16_e32 0x80, v25
; %bb.566:
	s_xor_b32 s0, exec_lo, -1
; %bb.567:
	s_wait_alu 0xfffe
	s_or_b32 exec_lo, exec_lo, s2
	s_delay_alu instid0(SALU_CYCLE_1)
	s_and_b32 s0, s0, exec_lo
                                        ; implicit-def: $vgpr25
	s_or_saveexec_b32 s1, s1
	v_mov_b32_e32 v21, 0x7f800001
	s_wait_alu 0xfffe
	s_xor_b32 exec_lo, exec_lo, s1
	s_cbranch_execz .LBB6_30
.LBB6_568:
	v_cmp_ne_u16_e32 vcc_lo, 0, v25
	v_mov_b32_e32 v21, 0
	s_and_not1_b32 s0, s0, exec_lo
	s_and_b32 s2, vcc_lo, exec_lo
	s_wait_alu 0xfffe
	s_or_b32 s0, s0, s2
	s_or_b32 exec_lo, exec_lo, s1
	s_wait_alu 0xfffe
	s_and_saveexec_b32 s1, s0
	s_cbranch_execnz .LBB6_31
	s_branch .LBB6_32
.LBB6_569:
	s_mov_b32 s0, -1
	s_mov_b32 s2, exec_lo
	v_cmpx_eq_u16_e32 0x80, v24
; %bb.570:
	s_xor_b32 s0, exec_lo, -1
; %bb.571:
	s_wait_alu 0xfffe
	s_or_b32 exec_lo, exec_lo, s2
	s_delay_alu instid0(SALU_CYCLE_1)
	s_and_b32 s0, s0, exec_lo
	s_or_saveexec_b32 s1, s1
	v_mov_b32_e32 v23, 0x7f800001
	s_wait_alu 0xfffe
	s_xor_b32 exec_lo, exec_lo, s1
	s_cbranch_execz .LBB6_34
.LBB6_572:
	v_cmp_ne_u16_e32 vcc_lo, 0, v24
	v_mov_b32_e32 v23, 0
	s_and_not1_b32 s0, s0, exec_lo
	s_and_b32 s2, vcc_lo, exec_lo
	s_wait_alu 0xfffe
	s_or_b32 s0, s0, s2
	s_or_b32 exec_lo, exec_lo, s1
	s_wait_alu 0xfffe
	s_and_saveexec_b32 s1, s0
	s_cbranch_execnz .LBB6_35
	s_branch .LBB6_36
.LBB6_573:
	s_mov_b32 s0, -1
	s_mov_b32 s2, exec_lo
	v_cmpx_eq_u16_e32 0x80, v25
; %bb.574:
	s_xor_b32 s0, exec_lo, -1
; %bb.575:
	s_wait_alu 0xfffe
	s_or_b32 exec_lo, exec_lo, s2
	s_delay_alu instid0(SALU_CYCLE_1)
	s_and_b32 s0, s0, exec_lo
                                        ; implicit-def: $vgpr25
	s_or_saveexec_b32 s1, s1
	v_mov_b32_e32 v24, 0x7f800001
	s_wait_alu 0xfffe
	s_xor_b32 exec_lo, exec_lo, s1
	s_cbranch_execz .LBB6_38
.LBB6_576:
	v_cmp_ne_u16_e32 vcc_lo, 0, v25
	v_mov_b32_e32 v24, 0
	s_and_not1_b32 s0, s0, exec_lo
	s_and_b32 s2, vcc_lo, exec_lo
	s_wait_alu 0xfffe
	s_or_b32 s0, s0, s2
	s_or_b32 exec_lo, exec_lo, s1
	s_wait_alu 0xfffe
	s_and_saveexec_b32 s1, s0
	s_cbranch_execnz .LBB6_39
	s_branch .LBB6_40
.LBB6_577:
	s_mov_b32 s0, -1
	s_mov_b32 s2, exec_lo
	v_cmpx_eq_u16_e32 0x80, v25
; %bb.578:
	s_xor_b32 s0, exec_lo, -1
; %bb.579:
	s_wait_alu 0xfffe
	s_or_b32 exec_lo, exec_lo, s2
	s_delay_alu instid0(SALU_CYCLE_1)
	s_and_b32 s0, s0, exec_lo
                                        ; implicit-def: $vgpr25
	s_or_saveexec_b32 s1, s1
	v_mov_b32_e32 v8, 0x7f800001
	s_wait_alu 0xfffe
	s_xor_b32 exec_lo, exec_lo, s1
	s_cbranch_execz .LBB6_42
.LBB6_580:
	v_cmp_ne_u16_e32 vcc_lo, 0, v25
	v_mov_b32_e32 v8, 0
	s_and_not1_b32 s0, s0, exec_lo
	s_and_b32 s2, vcc_lo, exec_lo
	s_wait_alu 0xfffe
	s_or_b32 s0, s0, s2
	s_or_b32 exec_lo, exec_lo, s1
	s_wait_alu 0xfffe
	s_and_saveexec_b32 s1, s0
	s_cbranch_execnz .LBB6_43
	s_branch .LBB6_44
.LBB6_581:
	s_mov_b32 s0, -1
	s_mov_b32 s2, exec_lo
	v_cmpx_eq_u16_e32 0x80, v25
; %bb.582:
	s_xor_b32 s0, exec_lo, -1
; %bb.583:
	s_wait_alu 0xfffe
	s_or_b32 exec_lo, exec_lo, s2
	s_delay_alu instid0(SALU_CYCLE_1)
	s_and_b32 s0, s0, exec_lo
                                        ; implicit-def: $vgpr25
	s_or_saveexec_b32 s1, s1
	v_mov_b32_e32 v22, 0x7f800001
	s_wait_alu 0xfffe
	s_xor_b32 exec_lo, exec_lo, s1
	s_cbranch_execz .LBB6_46
.LBB6_584:
	v_cmp_ne_u16_e32 vcc_lo, 0, v25
	v_mov_b32_e32 v22, 0
	s_and_not1_b32 s0, s0, exec_lo
	s_and_b32 s2, vcc_lo, exec_lo
	s_wait_alu 0xfffe
	s_or_b32 s0, s0, s2
	s_or_b32 exec_lo, exec_lo, s1
	s_wait_alu 0xfffe
	s_and_saveexec_b32 s1, s0
	s_cbranch_execnz .LBB6_47
	s_branch .LBB6_48
.LBB6_585:
	s_mov_b32 s0, -1
	s_mov_b32 s2, exec_lo
	v_cmpx_eq_u16_e32 0x80, v19
; %bb.586:
	s_xor_b32 s0, exec_lo, -1
; %bb.587:
	s_wait_alu 0xfffe
	s_or_b32 exec_lo, exec_lo, s2
	s_delay_alu instid0(SALU_CYCLE_1)
	s_and_b32 s0, s0, exec_lo
	s_or_saveexec_b32 s1, s1
	v_mov_b32_e32 v20, 0x7f800001
	s_wait_alu 0xfffe
	s_xor_b32 exec_lo, exec_lo, s1
	s_cbranch_execz .LBB6_50
.LBB6_588:
	v_cmp_ne_u16_e32 vcc_lo, 0, v19
	v_mov_b32_e32 v20, 0
	s_and_not1_b32 s0, s0, exec_lo
	s_and_b32 s2, vcc_lo, exec_lo
	s_wait_alu 0xfffe
	s_or_b32 s0, s0, s2
	s_or_b32 exec_lo, exec_lo, s1
	s_wait_alu 0xfffe
	s_and_saveexec_b32 s1, s0
	s_cbranch_execnz .LBB6_51
	s_branch .LBB6_52
.LBB6_589:
	s_mov_b32 s0, -1
	s_mov_b32 s2, exec_lo
	v_cmpx_eq_u16_e32 0x80, v25
; %bb.590:
	s_xor_b32 s0, exec_lo, -1
; %bb.591:
	s_wait_alu 0xfffe
	s_or_b32 exec_lo, exec_lo, s2
	s_delay_alu instid0(SALU_CYCLE_1)
	s_and_b32 s0, s0, exec_lo
                                        ; implicit-def: $vgpr25
	s_or_saveexec_b32 s1, s1
	v_mov_b32_e32 v19, 0x7f800001
	s_wait_alu 0xfffe
	s_xor_b32 exec_lo, exec_lo, s1
	s_cbranch_execz .LBB6_54
.LBB6_592:
	v_cmp_ne_u16_e32 vcc_lo, 0, v25
	v_mov_b32_e32 v19, 0
	s_and_not1_b32 s0, s0, exec_lo
	s_and_b32 s2, vcc_lo, exec_lo
	s_wait_alu 0xfffe
	s_or_b32 s0, s0, s2
	s_or_b32 exec_lo, exec_lo, s1
	s_wait_alu 0xfffe
	s_and_saveexec_b32 s1, s0
	s_cbranch_execnz .LBB6_55
	s_branch .LBB6_56
.LBB6_593:
	s_mov_b32 s0, -1
	s_mov_b32 s2, exec_lo
	v_cmpx_eq_u16_e32 0x80, v25
; %bb.594:
	s_xor_b32 s0, exec_lo, -1
; %bb.595:
	s_wait_alu 0xfffe
	s_or_b32 exec_lo, exec_lo, s2
	s_delay_alu instid0(SALU_CYCLE_1)
	s_and_b32 s0, s0, exec_lo
                                        ; implicit-def: $vgpr25
	s_or_saveexec_b32 s1, s1
	v_mov_b32_e32 v9, 0x7f800001
	s_wait_alu 0xfffe
	s_xor_b32 exec_lo, exec_lo, s1
	s_cbranch_execz .LBB6_58
.LBB6_596:
	v_cmp_ne_u16_e32 vcc_lo, 0, v25
	v_mov_b32_e32 v9, 0
	s_and_not1_b32 s0, s0, exec_lo
	s_and_b32 s2, vcc_lo, exec_lo
	s_wait_alu 0xfffe
	s_or_b32 s0, s0, s2
	s_or_b32 exec_lo, exec_lo, s1
	s_wait_alu 0xfffe
	s_and_saveexec_b32 s1, s0
	s_cbranch_execnz .LBB6_59
	s_branch .LBB6_60
.LBB6_597:
	s_mov_b32 s0, -1
	s_mov_b32 s2, exec_lo
	v_cmpx_eq_u16_e32 0x80, v25
; %bb.598:
	s_xor_b32 s0, exec_lo, -1
; %bb.599:
	s_wait_alu 0xfffe
	s_or_b32 exec_lo, exec_lo, s2
	s_delay_alu instid0(SALU_CYCLE_1)
	s_and_b32 s0, s0, exec_lo
                                        ; implicit-def: $vgpr25
	s_or_saveexec_b32 s1, s1
	v_mov_b32_e32 v15, 0x7f800001
	s_wait_alu 0xfffe
	s_xor_b32 exec_lo, exec_lo, s1
	s_cbranch_execz .LBB6_62
.LBB6_600:
	v_cmp_ne_u16_e32 vcc_lo, 0, v25
	v_mov_b32_e32 v15, 0
	s_and_not1_b32 s0, s0, exec_lo
	s_and_b32 s2, vcc_lo, exec_lo
	s_wait_alu 0xfffe
	s_or_b32 s0, s0, s2
	s_or_b32 exec_lo, exec_lo, s1
	s_wait_alu 0xfffe
	s_and_saveexec_b32 s1, s0
	s_cbranch_execnz .LBB6_63
	s_branch .LBB6_64
.LBB6_601:
	s_mov_b32 s0, -1
	s_mov_b32 s2, exec_lo
	v_cmpx_eq_u16_e32 0x80, v13
; %bb.602:
	s_xor_b32 s0, exec_lo, -1
; %bb.603:
	s_wait_alu 0xfffe
	s_or_b32 exec_lo, exec_lo, s2
	s_delay_alu instid0(SALU_CYCLE_1)
	s_and_b32 s0, s0, exec_lo
	s_or_saveexec_b32 s1, s1
	v_mov_b32_e32 v14, 0x7f800001
	s_wait_alu 0xfffe
	s_xor_b32 exec_lo, exec_lo, s1
	s_cbranch_execz .LBB6_66
.LBB6_604:
	v_cmp_ne_u16_e32 vcc_lo, 0, v13
	v_mov_b32_e32 v14, 0
	s_and_not1_b32 s0, s0, exec_lo
	s_and_b32 s2, vcc_lo, exec_lo
	s_wait_alu 0xfffe
	s_or_b32 s0, s0, s2
	s_or_b32 exec_lo, exec_lo, s1
	s_wait_alu 0xfffe
	s_and_saveexec_b32 s1, s0
	s_cbranch_execnz .LBB6_67
	s_branch .LBB6_68
.LBB6_605:
	s_mov_b32 s0, -1
	s_mov_b32 s2, exec_lo
	v_cmpx_eq_u16_e32 0x80, v25
; %bb.606:
	s_xor_b32 s0, exec_lo, -1
; %bb.607:
	s_wait_alu 0xfffe
	s_or_b32 exec_lo, exec_lo, s2
	s_delay_alu instid0(SALU_CYCLE_1)
	s_and_b32 s0, s0, exec_lo
                                        ; implicit-def: $vgpr25
	s_or_saveexec_b32 s1, s1
	v_mov_b32_e32 v6, 0x7f800001
	s_wait_alu 0xfffe
	s_xor_b32 exec_lo, exec_lo, s1
	s_cbranch_execz .LBB6_78
.LBB6_608:
	v_cmp_ne_u16_e32 vcc_lo, 0, v25
	v_mov_b32_e32 v6, 0
	s_and_not1_b32 s0, s0, exec_lo
	s_and_b32 s2, vcc_lo, exec_lo
	s_wait_alu 0xfffe
	s_or_b32 s0, s0, s2
	s_or_b32 exec_lo, exec_lo, s1
	s_wait_alu 0xfffe
	s_and_saveexec_b32 s1, s0
	s_cbranch_execnz .LBB6_79
	s_branch .LBB6_80
.LBB6_609:
	s_mov_b32 s0, -1
	s_mov_b32 s2, exec_lo
	v_cmpx_eq_u16_e32 0x80, v25
; %bb.610:
	s_xor_b32 s0, exec_lo, -1
; %bb.611:
	s_wait_alu 0xfffe
	s_or_b32 exec_lo, exec_lo, s2
	s_delay_alu instid0(SALU_CYCLE_1)
	s_and_b32 s0, s0, exec_lo
                                        ; implicit-def: $vgpr25
	s_or_saveexec_b32 s1, s1
	v_mov_b32_e32 v16, 0x7f800001
	s_wait_alu 0xfffe
	s_xor_b32 exec_lo, exec_lo, s1
	s_cbranch_execz .LBB6_82
.LBB6_612:
	v_cmp_ne_u16_e32 vcc_lo, 0, v25
	v_mov_b32_e32 v16, 0
	s_and_not1_b32 s0, s0, exec_lo
	s_and_b32 s2, vcc_lo, exec_lo
	s_wait_alu 0xfffe
	s_or_b32 s0, s0, s2
	s_or_b32 exec_lo, exec_lo, s1
	s_wait_alu 0xfffe
	s_and_saveexec_b32 s1, s0
	s_cbranch_execnz .LBB6_83
	s_branch .LBB6_84
.LBB6_613:
	s_mov_b32 s0, -1
	s_mov_b32 s2, exec_lo
	v_cmpx_eq_u16_e32 0x80, v18
; %bb.614:
	s_xor_b32 s0, exec_lo, -1
; %bb.615:
	s_wait_alu 0xfffe
	s_or_b32 exec_lo, exec_lo, s2
	s_delay_alu instid0(SALU_CYCLE_1)
	s_and_b32 s0, s0, exec_lo
	s_or_saveexec_b32 s1, s1
	v_mov_b32_e32 v17, 0x7f800001
	s_wait_alu 0xfffe
	s_xor_b32 exec_lo, exec_lo, s1
	s_cbranch_execz .LBB6_86
.LBB6_616:
	v_cmp_ne_u16_e32 vcc_lo, 0, v18
	v_mov_b32_e32 v17, 0
	s_and_not1_b32 s0, s0, exec_lo
	s_and_b32 s2, vcc_lo, exec_lo
	s_wait_alu 0xfffe
	s_or_b32 s0, s0, s2
	s_or_b32 exec_lo, exec_lo, s1
	s_wait_alu 0xfffe
	s_and_saveexec_b32 s1, s0
	s_cbranch_execnz .LBB6_87
	s_branch .LBB6_88
.LBB6_617:
	s_mov_b32 s0, -1
	s_mov_b32 s2, exec_lo
	v_cmpx_eq_u16_e32 0x80, v25
; %bb.618:
	s_xor_b32 s0, exec_lo, -1
; %bb.619:
	s_wait_alu 0xfffe
	s_or_b32 exec_lo, exec_lo, s2
	s_delay_alu instid0(SALU_CYCLE_1)
	s_and_b32 s0, s0, exec_lo
                                        ; implicit-def: $vgpr25
	s_or_saveexec_b32 s1, s1
	v_mov_b32_e32 v18, 0x7f800001
	s_wait_alu 0xfffe
	s_xor_b32 exec_lo, exec_lo, s1
	s_cbranch_execz .LBB6_90
.LBB6_620:
	v_cmp_ne_u16_e32 vcc_lo, 0, v25
	v_mov_b32_e32 v18, 0
	s_and_not1_b32 s0, s0, exec_lo
	s_and_b32 s2, vcc_lo, exec_lo
	s_wait_alu 0xfffe
	s_or_b32 s0, s0, s2
	s_or_b32 exec_lo, exec_lo, s1
	s_wait_alu 0xfffe
	s_and_saveexec_b32 s1, s0
	s_cbranch_execnz .LBB6_91
	s_branch .LBB6_92
.LBB6_621:
	s_mov_b32 s0, -1
	s_mov_b32 s2, exec_lo
	v_cmpx_eq_u16_e32 0x80, v25
; %bb.622:
	s_xor_b32 s0, exec_lo, -1
; %bb.623:
	s_wait_alu 0xfffe
	s_or_b32 exec_lo, exec_lo, s2
	s_delay_alu instid0(SALU_CYCLE_1)
	s_and_b32 s0, s0, exec_lo
                                        ; implicit-def: $vgpr25
	s_or_saveexec_b32 s1, s1
	v_mov_b32_e32 v7, 0x7f800001
	s_wait_alu 0xfffe
	s_xor_b32 exec_lo, exec_lo, s1
	s_cbranch_execz .LBB6_94
.LBB6_624:
	v_cmp_ne_u16_e32 vcc_lo, 0, v25
	v_mov_b32_e32 v7, 0
	s_and_not1_b32 s0, s0, exec_lo
	s_and_b32 s2, vcc_lo, exec_lo
	s_wait_alu 0xfffe
	s_or_b32 s0, s0, s2
	s_or_b32 exec_lo, exec_lo, s1
	s_wait_alu 0xfffe
	s_and_saveexec_b32 s1, s0
	s_cbranch_execnz .LBB6_95
	s_branch .LBB6_96
.LBB6_625:
	s_mov_b32 s0, -1
	s_mov_b32 s2, exec_lo
	v_cmpx_eq_u16_e32 0x80, v25
; %bb.626:
	s_xor_b32 s0, exec_lo, -1
; %bb.627:
	s_wait_alu 0xfffe
	s_or_b32 exec_lo, exec_lo, s2
	s_delay_alu instid0(SALU_CYCLE_1)
	s_and_b32 s0, s0, exec_lo
                                        ; implicit-def: $vgpr25
	s_or_saveexec_b32 s1, s1
	v_mov_b32_e32 v21, 0x7f800001
	s_wait_alu 0xfffe
	s_xor_b32 exec_lo, exec_lo, s1
	s_cbranch_execz .LBB6_98
.LBB6_628:
	v_cmp_ne_u16_e32 vcc_lo, 0, v25
	v_mov_b32_e32 v21, 0
	s_and_not1_b32 s0, s0, exec_lo
	s_and_b32 s2, vcc_lo, exec_lo
	s_wait_alu 0xfffe
	s_or_b32 s0, s0, s2
	s_or_b32 exec_lo, exec_lo, s1
	s_wait_alu 0xfffe
	s_and_saveexec_b32 s1, s0
	s_cbranch_execnz .LBB6_99
	s_branch .LBB6_100
.LBB6_629:
	s_mov_b32 s0, -1
	s_mov_b32 s2, exec_lo
	v_cmpx_eq_u16_e32 0x80, v24
; %bb.630:
	s_xor_b32 s0, exec_lo, -1
; %bb.631:
	s_wait_alu 0xfffe
	s_or_b32 exec_lo, exec_lo, s2
	s_delay_alu instid0(SALU_CYCLE_1)
	s_and_b32 s0, s0, exec_lo
	s_or_saveexec_b32 s1, s1
	v_mov_b32_e32 v23, 0x7f800001
	s_wait_alu 0xfffe
	s_xor_b32 exec_lo, exec_lo, s1
	s_cbranch_execz .LBB6_102
.LBB6_632:
	v_cmp_ne_u16_e32 vcc_lo, 0, v24
	v_mov_b32_e32 v23, 0
	s_and_not1_b32 s0, s0, exec_lo
	s_and_b32 s2, vcc_lo, exec_lo
	s_wait_alu 0xfffe
	s_or_b32 s0, s0, s2
	s_or_b32 exec_lo, exec_lo, s1
	s_wait_alu 0xfffe
	s_and_saveexec_b32 s1, s0
	s_cbranch_execnz .LBB6_103
	s_branch .LBB6_104
.LBB6_633:
	s_mov_b32 s0, -1
	s_mov_b32 s2, exec_lo
	v_cmpx_eq_u16_e32 0x80, v25
; %bb.634:
	s_xor_b32 s0, exec_lo, -1
; %bb.635:
	s_wait_alu 0xfffe
	s_or_b32 exec_lo, exec_lo, s2
	s_delay_alu instid0(SALU_CYCLE_1)
	s_and_b32 s0, s0, exec_lo
                                        ; implicit-def: $vgpr25
	s_or_saveexec_b32 s1, s1
	v_mov_b32_e32 v24, 0x7f800001
	s_wait_alu 0xfffe
	s_xor_b32 exec_lo, exec_lo, s1
	s_cbranch_execz .LBB6_106
.LBB6_636:
	v_cmp_ne_u16_e32 vcc_lo, 0, v25
	v_mov_b32_e32 v24, 0
	s_and_not1_b32 s0, s0, exec_lo
	s_and_b32 s2, vcc_lo, exec_lo
	s_wait_alu 0xfffe
	s_or_b32 s0, s0, s2
	s_or_b32 exec_lo, exec_lo, s1
	s_wait_alu 0xfffe
	s_and_saveexec_b32 s1, s0
	s_cbranch_execnz .LBB6_107
	s_branch .LBB6_108
.LBB6_637:
	s_mov_b32 s0, -1
	s_mov_b32 s2, exec_lo
	v_cmpx_eq_u16_e32 0x80, v25
; %bb.638:
	s_xor_b32 s0, exec_lo, -1
; %bb.639:
	s_wait_alu 0xfffe
	s_or_b32 exec_lo, exec_lo, s2
	s_delay_alu instid0(SALU_CYCLE_1)
	s_and_b32 s0, s0, exec_lo
                                        ; implicit-def: $vgpr25
	s_or_saveexec_b32 s1, s1
	v_mov_b32_e32 v8, 0x7f800001
	s_wait_alu 0xfffe
	s_xor_b32 exec_lo, exec_lo, s1
	s_cbranch_execz .LBB6_110
.LBB6_640:
	v_cmp_ne_u16_e32 vcc_lo, 0, v25
	v_mov_b32_e32 v8, 0
	s_and_not1_b32 s0, s0, exec_lo
	s_and_b32 s2, vcc_lo, exec_lo
	s_wait_alu 0xfffe
	s_or_b32 s0, s0, s2
	s_or_b32 exec_lo, exec_lo, s1
	s_wait_alu 0xfffe
	s_and_saveexec_b32 s1, s0
	s_cbranch_execnz .LBB6_111
	s_branch .LBB6_112
.LBB6_641:
	s_mov_b32 s0, -1
	s_mov_b32 s2, exec_lo
	v_cmpx_eq_u16_e32 0x80, v25
; %bb.642:
	s_xor_b32 s0, exec_lo, -1
; %bb.643:
	s_wait_alu 0xfffe
	s_or_b32 exec_lo, exec_lo, s2
	s_delay_alu instid0(SALU_CYCLE_1)
	s_and_b32 s0, s0, exec_lo
                                        ; implicit-def: $vgpr25
	s_or_saveexec_b32 s1, s1
	v_mov_b32_e32 v22, 0x7f800001
	s_wait_alu 0xfffe
	s_xor_b32 exec_lo, exec_lo, s1
	s_cbranch_execz .LBB6_114
.LBB6_644:
	v_cmp_ne_u16_e32 vcc_lo, 0, v25
	v_mov_b32_e32 v22, 0
	s_and_not1_b32 s0, s0, exec_lo
	s_and_b32 s2, vcc_lo, exec_lo
	s_wait_alu 0xfffe
	s_or_b32 s0, s0, s2
	s_or_b32 exec_lo, exec_lo, s1
	s_wait_alu 0xfffe
	s_and_saveexec_b32 s1, s0
	s_cbranch_execnz .LBB6_115
	s_branch .LBB6_116
.LBB6_645:
	s_mov_b32 s0, -1
	s_mov_b32 s2, exec_lo
	v_cmpx_eq_u16_e32 0x80, v19
; %bb.646:
	s_xor_b32 s0, exec_lo, -1
; %bb.647:
	s_wait_alu 0xfffe
	s_or_b32 exec_lo, exec_lo, s2
	s_delay_alu instid0(SALU_CYCLE_1)
	s_and_b32 s0, s0, exec_lo
	s_or_saveexec_b32 s1, s1
	v_mov_b32_e32 v20, 0x7f800001
	s_wait_alu 0xfffe
	s_xor_b32 exec_lo, exec_lo, s1
	s_cbranch_execz .LBB6_118
.LBB6_648:
	v_cmp_ne_u16_e32 vcc_lo, 0, v19
	v_mov_b32_e32 v20, 0
	s_and_not1_b32 s0, s0, exec_lo
	s_and_b32 s2, vcc_lo, exec_lo
	s_wait_alu 0xfffe
	s_or_b32 s0, s0, s2
	s_or_b32 exec_lo, exec_lo, s1
	s_wait_alu 0xfffe
	s_and_saveexec_b32 s1, s0
	s_cbranch_execnz .LBB6_119
	s_branch .LBB6_120
.LBB6_649:
	s_mov_b32 s0, -1
	s_mov_b32 s2, exec_lo
	v_cmpx_eq_u16_e32 0x80, v25
; %bb.650:
	s_xor_b32 s0, exec_lo, -1
; %bb.651:
	s_wait_alu 0xfffe
	s_or_b32 exec_lo, exec_lo, s2
	s_delay_alu instid0(SALU_CYCLE_1)
	s_and_b32 s0, s0, exec_lo
                                        ; implicit-def: $vgpr25
	s_or_saveexec_b32 s1, s1
	v_mov_b32_e32 v19, 0x7f800001
	s_wait_alu 0xfffe
	s_xor_b32 exec_lo, exec_lo, s1
	s_cbranch_execz .LBB6_122
.LBB6_652:
	v_cmp_ne_u16_e32 vcc_lo, 0, v25
	v_mov_b32_e32 v19, 0
	s_and_not1_b32 s0, s0, exec_lo
	s_and_b32 s2, vcc_lo, exec_lo
	s_wait_alu 0xfffe
	s_or_b32 s0, s0, s2
	s_or_b32 exec_lo, exec_lo, s1
	s_wait_alu 0xfffe
	s_and_saveexec_b32 s1, s0
	s_cbranch_execnz .LBB6_123
	s_branch .LBB6_124
.LBB6_653:
	s_mov_b32 s0, -1
	s_mov_b32 s2, exec_lo
	v_cmpx_eq_u16_e32 0x80, v25
; %bb.654:
	s_xor_b32 s0, exec_lo, -1
; %bb.655:
	s_wait_alu 0xfffe
	s_or_b32 exec_lo, exec_lo, s2
	s_delay_alu instid0(SALU_CYCLE_1)
	s_and_b32 s0, s0, exec_lo
                                        ; implicit-def: $vgpr25
	s_or_saveexec_b32 s1, s1
	v_mov_b32_e32 v9, 0x7f800001
	s_wait_alu 0xfffe
	s_xor_b32 exec_lo, exec_lo, s1
	s_cbranch_execz .LBB6_126
.LBB6_656:
	v_cmp_ne_u16_e32 vcc_lo, 0, v25
	v_mov_b32_e32 v9, 0
	s_and_not1_b32 s0, s0, exec_lo
	s_and_b32 s2, vcc_lo, exec_lo
	s_wait_alu 0xfffe
	s_or_b32 s0, s0, s2
	s_or_b32 exec_lo, exec_lo, s1
	s_wait_alu 0xfffe
	s_and_saveexec_b32 s1, s0
	s_cbranch_execnz .LBB6_127
	s_branch .LBB6_128
.LBB6_657:
	s_mov_b32 s0, -1
	s_mov_b32 s2, exec_lo
	v_cmpx_eq_u16_e32 0x80, v25
; %bb.658:
	s_xor_b32 s0, exec_lo, -1
; %bb.659:
	s_wait_alu 0xfffe
	s_or_b32 exec_lo, exec_lo, s2
	s_delay_alu instid0(SALU_CYCLE_1)
	s_and_b32 s0, s0, exec_lo
                                        ; implicit-def: $vgpr25
	s_or_saveexec_b32 s1, s1
	v_mov_b32_e32 v15, 0x7f800001
	s_wait_alu 0xfffe
	s_xor_b32 exec_lo, exec_lo, s1
	s_cbranch_execz .LBB6_130
.LBB6_660:
	v_cmp_ne_u16_e32 vcc_lo, 0, v25
	v_mov_b32_e32 v15, 0
	s_and_not1_b32 s0, s0, exec_lo
	s_and_b32 s2, vcc_lo, exec_lo
	s_wait_alu 0xfffe
	s_or_b32 s0, s0, s2
	s_or_b32 exec_lo, exec_lo, s1
	s_wait_alu 0xfffe
	s_and_saveexec_b32 s1, s0
	s_cbranch_execnz .LBB6_131
	s_branch .LBB6_132
.LBB6_661:
	s_mov_b32 s0, -1
	s_mov_b32 s2, exec_lo
	v_cmpx_eq_u16_e32 0x80, v13
; %bb.662:
	s_xor_b32 s0, exec_lo, -1
; %bb.663:
	s_wait_alu 0xfffe
	s_or_b32 exec_lo, exec_lo, s2
	s_delay_alu instid0(SALU_CYCLE_1)
	s_and_b32 s0, s0, exec_lo
	s_or_saveexec_b32 s1, s1
	v_mov_b32_e32 v14, 0x7f800001
	s_wait_alu 0xfffe
	s_xor_b32 exec_lo, exec_lo, s1
	s_cbranch_execz .LBB6_134
.LBB6_664:
	v_cmp_ne_u16_e32 vcc_lo, 0, v13
	v_mov_b32_e32 v14, 0
	s_and_not1_b32 s0, s0, exec_lo
	s_and_b32 s2, vcc_lo, exec_lo
	s_wait_alu 0xfffe
	s_or_b32 s0, s0, s2
	s_or_b32 exec_lo, exec_lo, s1
	s_wait_alu 0xfffe
	s_and_saveexec_b32 s1, s0
	s_cbranch_execnz .LBB6_135
	s_branch .LBB6_136
.LBB6_665:
	s_mov_b32 s0, -1
	s_mov_b32 s2, exec_lo
	v_cmpx_eq_u16_e32 0x80, v25
; %bb.666:
	s_xor_b32 s0, exec_lo, -1
; %bb.667:
	s_wait_alu 0xfffe
	s_or_b32 exec_lo, exec_lo, s2
	s_delay_alu instid0(SALU_CYCLE_1)
	s_and_b32 s0, s0, exec_lo
                                        ; implicit-def: $vgpr25
	s_or_saveexec_b32 s1, s1
	v_mov_b32_e32 v6, 0x7f800001
	s_wait_alu 0xfffe
	s_xor_b32 exec_lo, exec_lo, s1
	s_cbranch_execz .LBB6_146
.LBB6_668:
	v_cmp_ne_u16_e32 vcc_lo, 0, v25
	v_mov_b32_e32 v6, 0
	s_and_not1_b32 s0, s0, exec_lo
	s_and_b32 s2, vcc_lo, exec_lo
	s_wait_alu 0xfffe
	s_or_b32 s0, s0, s2
	s_or_b32 exec_lo, exec_lo, s1
	s_wait_alu 0xfffe
	s_and_saveexec_b32 s1, s0
	s_cbranch_execnz .LBB6_147
	s_branch .LBB6_148
.LBB6_669:
	s_mov_b32 s0, -1
	s_mov_b32 s2, exec_lo
	v_cmpx_eq_u16_e32 0x80, v25
; %bb.670:
	s_xor_b32 s0, exec_lo, -1
; %bb.671:
	s_wait_alu 0xfffe
	s_or_b32 exec_lo, exec_lo, s2
	s_delay_alu instid0(SALU_CYCLE_1)
	s_and_b32 s0, s0, exec_lo
                                        ; implicit-def: $vgpr25
	s_or_saveexec_b32 s1, s1
	v_mov_b32_e32 v16, 0x7f800001
	s_wait_alu 0xfffe
	s_xor_b32 exec_lo, exec_lo, s1
	s_cbranch_execz .LBB6_150
.LBB6_672:
	v_cmp_ne_u16_e32 vcc_lo, 0, v25
	v_mov_b32_e32 v16, 0
	s_and_not1_b32 s0, s0, exec_lo
	s_and_b32 s2, vcc_lo, exec_lo
	s_wait_alu 0xfffe
	s_or_b32 s0, s0, s2
	s_or_b32 exec_lo, exec_lo, s1
	s_wait_alu 0xfffe
	s_and_saveexec_b32 s1, s0
	s_cbranch_execnz .LBB6_151
	s_branch .LBB6_152
.LBB6_673:
	s_mov_b32 s0, -1
	s_mov_b32 s2, exec_lo
	v_cmpx_eq_u16_e32 0x80, v18
; %bb.674:
	s_xor_b32 s0, exec_lo, -1
; %bb.675:
	s_wait_alu 0xfffe
	s_or_b32 exec_lo, exec_lo, s2
	s_delay_alu instid0(SALU_CYCLE_1)
	s_and_b32 s0, s0, exec_lo
	s_or_saveexec_b32 s1, s1
	v_mov_b32_e32 v17, 0x7f800001
	s_wait_alu 0xfffe
	s_xor_b32 exec_lo, exec_lo, s1
	s_cbranch_execz .LBB6_154
.LBB6_676:
	v_cmp_ne_u16_e32 vcc_lo, 0, v18
	v_mov_b32_e32 v17, 0
	s_and_not1_b32 s0, s0, exec_lo
	s_and_b32 s2, vcc_lo, exec_lo
	s_wait_alu 0xfffe
	s_or_b32 s0, s0, s2
	s_or_b32 exec_lo, exec_lo, s1
	s_wait_alu 0xfffe
	s_and_saveexec_b32 s1, s0
	s_cbranch_execnz .LBB6_155
	s_branch .LBB6_156
.LBB6_677:
	s_mov_b32 s0, -1
	s_mov_b32 s2, exec_lo
	v_cmpx_eq_u16_e32 0x80, v25
; %bb.678:
	s_xor_b32 s0, exec_lo, -1
; %bb.679:
	s_wait_alu 0xfffe
	s_or_b32 exec_lo, exec_lo, s2
	s_delay_alu instid0(SALU_CYCLE_1)
	s_and_b32 s0, s0, exec_lo
                                        ; implicit-def: $vgpr25
	s_or_saveexec_b32 s1, s1
	v_mov_b32_e32 v18, 0x7f800001
	s_wait_alu 0xfffe
	s_xor_b32 exec_lo, exec_lo, s1
	s_cbranch_execz .LBB6_158
.LBB6_680:
	v_cmp_ne_u16_e32 vcc_lo, 0, v25
	v_mov_b32_e32 v18, 0
	s_and_not1_b32 s0, s0, exec_lo
	s_and_b32 s2, vcc_lo, exec_lo
	s_wait_alu 0xfffe
	s_or_b32 s0, s0, s2
	s_or_b32 exec_lo, exec_lo, s1
	s_wait_alu 0xfffe
	s_and_saveexec_b32 s1, s0
	s_cbranch_execnz .LBB6_159
	s_branch .LBB6_160
.LBB6_681:
	s_mov_b32 s0, -1
	s_mov_b32 s2, exec_lo
	v_cmpx_eq_u16_e32 0x80, v25
; %bb.682:
	s_xor_b32 s0, exec_lo, -1
; %bb.683:
	s_wait_alu 0xfffe
	s_or_b32 exec_lo, exec_lo, s2
	s_delay_alu instid0(SALU_CYCLE_1)
	s_and_b32 s0, s0, exec_lo
                                        ; implicit-def: $vgpr25
	s_or_saveexec_b32 s1, s1
	v_mov_b32_e32 v7, 0x7f800001
	s_wait_alu 0xfffe
	s_xor_b32 exec_lo, exec_lo, s1
	s_cbranch_execz .LBB6_162
.LBB6_684:
	v_cmp_ne_u16_e32 vcc_lo, 0, v25
	v_mov_b32_e32 v7, 0
	s_and_not1_b32 s0, s0, exec_lo
	s_and_b32 s2, vcc_lo, exec_lo
	s_wait_alu 0xfffe
	s_or_b32 s0, s0, s2
	s_or_b32 exec_lo, exec_lo, s1
	s_wait_alu 0xfffe
	s_and_saveexec_b32 s1, s0
	s_cbranch_execnz .LBB6_163
	s_branch .LBB6_164
.LBB6_685:
	s_mov_b32 s0, -1
	s_mov_b32 s2, exec_lo
	v_cmpx_eq_u16_e32 0x80, v25
; %bb.686:
	s_xor_b32 s0, exec_lo, -1
; %bb.687:
	s_wait_alu 0xfffe
	s_or_b32 exec_lo, exec_lo, s2
	s_delay_alu instid0(SALU_CYCLE_1)
	s_and_b32 s0, s0, exec_lo
                                        ; implicit-def: $vgpr25
	s_or_saveexec_b32 s1, s1
	v_mov_b32_e32 v21, 0x7f800001
	s_wait_alu 0xfffe
	s_xor_b32 exec_lo, exec_lo, s1
	s_cbranch_execz .LBB6_166
.LBB6_688:
	v_cmp_ne_u16_e32 vcc_lo, 0, v25
	v_mov_b32_e32 v21, 0
	s_and_not1_b32 s0, s0, exec_lo
	s_and_b32 s2, vcc_lo, exec_lo
	s_wait_alu 0xfffe
	s_or_b32 s0, s0, s2
	s_or_b32 exec_lo, exec_lo, s1
	s_wait_alu 0xfffe
	s_and_saveexec_b32 s1, s0
	s_cbranch_execnz .LBB6_167
	s_branch .LBB6_168
.LBB6_689:
	s_mov_b32 s0, -1
	s_mov_b32 s2, exec_lo
	v_cmpx_eq_u16_e32 0x80, v24
; %bb.690:
	s_xor_b32 s0, exec_lo, -1
; %bb.691:
	s_wait_alu 0xfffe
	s_or_b32 exec_lo, exec_lo, s2
	s_delay_alu instid0(SALU_CYCLE_1)
	s_and_b32 s0, s0, exec_lo
	s_or_saveexec_b32 s1, s1
	v_mov_b32_e32 v23, 0x7f800001
	s_wait_alu 0xfffe
	s_xor_b32 exec_lo, exec_lo, s1
	s_cbranch_execz .LBB6_170
.LBB6_692:
	v_cmp_ne_u16_e32 vcc_lo, 0, v24
	v_mov_b32_e32 v23, 0
	s_and_not1_b32 s0, s0, exec_lo
	s_and_b32 s2, vcc_lo, exec_lo
	s_wait_alu 0xfffe
	s_or_b32 s0, s0, s2
	s_or_b32 exec_lo, exec_lo, s1
	s_wait_alu 0xfffe
	s_and_saveexec_b32 s1, s0
	s_cbranch_execnz .LBB6_171
	s_branch .LBB6_172
.LBB6_693:
	s_mov_b32 s0, -1
	s_mov_b32 s2, exec_lo
	v_cmpx_eq_u16_e32 0x80, v25
; %bb.694:
	s_xor_b32 s0, exec_lo, -1
; %bb.695:
	s_wait_alu 0xfffe
	s_or_b32 exec_lo, exec_lo, s2
	s_delay_alu instid0(SALU_CYCLE_1)
	s_and_b32 s0, s0, exec_lo
                                        ; implicit-def: $vgpr25
	s_or_saveexec_b32 s1, s1
	v_mov_b32_e32 v24, 0x7f800001
	s_wait_alu 0xfffe
	s_xor_b32 exec_lo, exec_lo, s1
	s_cbranch_execz .LBB6_174
.LBB6_696:
	v_cmp_ne_u16_e32 vcc_lo, 0, v25
	v_mov_b32_e32 v24, 0
	s_and_not1_b32 s0, s0, exec_lo
	s_and_b32 s2, vcc_lo, exec_lo
	s_wait_alu 0xfffe
	s_or_b32 s0, s0, s2
	s_or_b32 exec_lo, exec_lo, s1
	s_wait_alu 0xfffe
	s_and_saveexec_b32 s1, s0
	s_cbranch_execnz .LBB6_175
	s_branch .LBB6_176
.LBB6_697:
	s_mov_b32 s0, -1
	s_mov_b32 s2, exec_lo
	v_cmpx_eq_u16_e32 0x80, v25
; %bb.698:
	s_xor_b32 s0, exec_lo, -1
; %bb.699:
	s_wait_alu 0xfffe
	s_or_b32 exec_lo, exec_lo, s2
	s_delay_alu instid0(SALU_CYCLE_1)
	s_and_b32 s0, s0, exec_lo
                                        ; implicit-def: $vgpr25
	s_or_saveexec_b32 s1, s1
	v_mov_b32_e32 v8, 0x7f800001
	s_wait_alu 0xfffe
	s_xor_b32 exec_lo, exec_lo, s1
	s_cbranch_execz .LBB6_178
.LBB6_700:
	v_cmp_ne_u16_e32 vcc_lo, 0, v25
	v_mov_b32_e32 v8, 0
	s_and_not1_b32 s0, s0, exec_lo
	s_and_b32 s2, vcc_lo, exec_lo
	s_wait_alu 0xfffe
	s_or_b32 s0, s0, s2
	s_or_b32 exec_lo, exec_lo, s1
	s_wait_alu 0xfffe
	s_and_saveexec_b32 s1, s0
	s_cbranch_execnz .LBB6_179
	s_branch .LBB6_180
.LBB6_701:
	s_mov_b32 s0, -1
	s_mov_b32 s2, exec_lo
	v_cmpx_eq_u16_e32 0x80, v25
; %bb.702:
	s_xor_b32 s0, exec_lo, -1
; %bb.703:
	s_wait_alu 0xfffe
	s_or_b32 exec_lo, exec_lo, s2
	s_delay_alu instid0(SALU_CYCLE_1)
	s_and_b32 s0, s0, exec_lo
                                        ; implicit-def: $vgpr25
	s_or_saveexec_b32 s1, s1
	v_mov_b32_e32 v22, 0x7f800001
	s_wait_alu 0xfffe
	s_xor_b32 exec_lo, exec_lo, s1
	s_cbranch_execz .LBB6_182
.LBB6_704:
	v_cmp_ne_u16_e32 vcc_lo, 0, v25
	v_mov_b32_e32 v22, 0
	s_and_not1_b32 s0, s0, exec_lo
	s_and_b32 s2, vcc_lo, exec_lo
	s_wait_alu 0xfffe
	s_or_b32 s0, s0, s2
	s_or_b32 exec_lo, exec_lo, s1
	s_wait_alu 0xfffe
	s_and_saveexec_b32 s1, s0
	s_cbranch_execnz .LBB6_183
	s_branch .LBB6_184
.LBB6_705:
	s_mov_b32 s0, -1
	s_mov_b32 s2, exec_lo
	v_cmpx_eq_u16_e32 0x80, v19
; %bb.706:
	s_xor_b32 s0, exec_lo, -1
; %bb.707:
	s_wait_alu 0xfffe
	s_or_b32 exec_lo, exec_lo, s2
	s_delay_alu instid0(SALU_CYCLE_1)
	s_and_b32 s0, s0, exec_lo
	s_or_saveexec_b32 s1, s1
	v_mov_b32_e32 v20, 0x7f800001
	s_wait_alu 0xfffe
	s_xor_b32 exec_lo, exec_lo, s1
	s_cbranch_execz .LBB6_186
.LBB6_708:
	v_cmp_ne_u16_e32 vcc_lo, 0, v19
	v_mov_b32_e32 v20, 0
	s_and_not1_b32 s0, s0, exec_lo
	s_and_b32 s2, vcc_lo, exec_lo
	s_wait_alu 0xfffe
	s_or_b32 s0, s0, s2
	s_or_b32 exec_lo, exec_lo, s1
	s_wait_alu 0xfffe
	s_and_saveexec_b32 s1, s0
	s_cbranch_execnz .LBB6_187
	s_branch .LBB6_188
.LBB6_709:
	s_mov_b32 s0, -1
	s_mov_b32 s2, exec_lo
	v_cmpx_eq_u16_e32 0x80, v25
; %bb.710:
	s_xor_b32 s0, exec_lo, -1
; %bb.711:
	s_wait_alu 0xfffe
	s_or_b32 exec_lo, exec_lo, s2
	s_delay_alu instid0(SALU_CYCLE_1)
	s_and_b32 s0, s0, exec_lo
                                        ; implicit-def: $vgpr25
	s_or_saveexec_b32 s1, s1
	v_mov_b32_e32 v19, 0x7f800001
	s_wait_alu 0xfffe
	s_xor_b32 exec_lo, exec_lo, s1
	s_cbranch_execz .LBB6_190
.LBB6_712:
	v_cmp_ne_u16_e32 vcc_lo, 0, v25
	v_mov_b32_e32 v19, 0
	s_and_not1_b32 s0, s0, exec_lo
	s_and_b32 s2, vcc_lo, exec_lo
	s_wait_alu 0xfffe
	s_or_b32 s0, s0, s2
	s_or_b32 exec_lo, exec_lo, s1
	s_wait_alu 0xfffe
	s_and_saveexec_b32 s1, s0
	s_cbranch_execnz .LBB6_191
	s_branch .LBB6_192
.LBB6_713:
	s_mov_b32 s0, -1
	s_mov_b32 s2, exec_lo
	v_cmpx_eq_u16_e32 0x80, v25
; %bb.714:
	s_xor_b32 s0, exec_lo, -1
; %bb.715:
	s_wait_alu 0xfffe
	s_or_b32 exec_lo, exec_lo, s2
	s_delay_alu instid0(SALU_CYCLE_1)
	s_and_b32 s0, s0, exec_lo
                                        ; implicit-def: $vgpr25
	s_or_saveexec_b32 s1, s1
	v_mov_b32_e32 v9, 0x7f800001
	s_wait_alu 0xfffe
	s_xor_b32 exec_lo, exec_lo, s1
	s_cbranch_execz .LBB6_194
.LBB6_716:
	v_cmp_ne_u16_e32 vcc_lo, 0, v25
	v_mov_b32_e32 v9, 0
	s_and_not1_b32 s0, s0, exec_lo
	s_and_b32 s2, vcc_lo, exec_lo
	s_wait_alu 0xfffe
	s_or_b32 s0, s0, s2
	s_or_b32 exec_lo, exec_lo, s1
	s_wait_alu 0xfffe
	s_and_saveexec_b32 s1, s0
	s_cbranch_execnz .LBB6_195
	s_branch .LBB6_196
.LBB6_717:
	s_mov_b32 s0, -1
	s_mov_b32 s2, exec_lo
	v_cmpx_eq_u16_e32 0x80, v25
; %bb.718:
	s_xor_b32 s0, exec_lo, -1
; %bb.719:
	s_wait_alu 0xfffe
	s_or_b32 exec_lo, exec_lo, s2
	s_delay_alu instid0(SALU_CYCLE_1)
	s_and_b32 s0, s0, exec_lo
                                        ; implicit-def: $vgpr25
	s_or_saveexec_b32 s1, s1
	v_mov_b32_e32 v15, 0x7f800001
	s_wait_alu 0xfffe
	s_xor_b32 exec_lo, exec_lo, s1
	s_cbranch_execz .LBB6_198
.LBB6_720:
	v_cmp_ne_u16_e32 vcc_lo, 0, v25
	v_mov_b32_e32 v15, 0
	s_and_not1_b32 s0, s0, exec_lo
	s_and_b32 s2, vcc_lo, exec_lo
	s_wait_alu 0xfffe
	s_or_b32 s0, s0, s2
	s_or_b32 exec_lo, exec_lo, s1
	s_wait_alu 0xfffe
	s_and_saveexec_b32 s1, s0
	s_cbranch_execnz .LBB6_199
	s_branch .LBB6_200
.LBB6_721:
	s_mov_b32 s0, -1
	s_mov_b32 s2, exec_lo
	v_cmpx_eq_u16_e32 0x80, v13
; %bb.722:
	s_xor_b32 s0, exec_lo, -1
; %bb.723:
	s_wait_alu 0xfffe
	s_or_b32 exec_lo, exec_lo, s2
	s_delay_alu instid0(SALU_CYCLE_1)
	s_and_b32 s0, s0, exec_lo
	s_or_saveexec_b32 s1, s1
	v_mov_b32_e32 v14, 0x7f800001
	s_wait_alu 0xfffe
	s_xor_b32 exec_lo, exec_lo, s1
	s_cbranch_execz .LBB6_202
.LBB6_724:
	v_cmp_ne_u16_e32 vcc_lo, 0, v13
	v_mov_b32_e32 v14, 0
	s_and_not1_b32 s0, s0, exec_lo
	s_and_b32 s2, vcc_lo, exec_lo
	s_wait_alu 0xfffe
	s_or_b32 s0, s0, s2
	s_or_b32 exec_lo, exec_lo, s1
	s_wait_alu 0xfffe
	s_and_saveexec_b32 s1, s0
	s_cbranch_execnz .LBB6_203
	s_branch .LBB6_204
.LBB6_725:
	s_mov_b32 s0, -1
	s_mov_b32 s2, exec_lo
	v_cmpx_eq_u16_e32 0x80, v25
; %bb.726:
	s_xor_b32 s0, exec_lo, -1
; %bb.727:
	s_wait_alu 0xfffe
	s_or_b32 exec_lo, exec_lo, s2
	s_delay_alu instid0(SALU_CYCLE_1)
	s_and_b32 s0, s0, exec_lo
                                        ; implicit-def: $vgpr25
	s_or_saveexec_b32 s1, s1
	v_mov_b32_e32 v6, 0x7f800001
	s_wait_alu 0xfffe
	s_xor_b32 exec_lo, exec_lo, s1
	s_cbranch_execz .LBB6_214
.LBB6_728:
	v_cmp_ne_u16_e32 vcc_lo, 0, v25
	v_mov_b32_e32 v6, 0
	s_and_not1_b32 s0, s0, exec_lo
	s_and_b32 s2, vcc_lo, exec_lo
	s_wait_alu 0xfffe
	s_or_b32 s0, s0, s2
	s_or_b32 exec_lo, exec_lo, s1
	s_wait_alu 0xfffe
	s_and_saveexec_b32 s1, s0
	s_cbranch_execnz .LBB6_215
	s_branch .LBB6_216
.LBB6_729:
	s_mov_b32 s0, -1
	s_mov_b32 s2, exec_lo
	v_cmpx_eq_u16_e32 0x80, v25
; %bb.730:
	s_xor_b32 s0, exec_lo, -1
; %bb.731:
	s_wait_alu 0xfffe
	s_or_b32 exec_lo, exec_lo, s2
	s_delay_alu instid0(SALU_CYCLE_1)
	s_and_b32 s0, s0, exec_lo
                                        ; implicit-def: $vgpr25
	s_or_saveexec_b32 s1, s1
	v_mov_b32_e32 v16, 0x7f800001
	s_wait_alu 0xfffe
	s_xor_b32 exec_lo, exec_lo, s1
	s_cbranch_execz .LBB6_218
.LBB6_732:
	v_cmp_ne_u16_e32 vcc_lo, 0, v25
	v_mov_b32_e32 v16, 0
	s_and_not1_b32 s0, s0, exec_lo
	s_and_b32 s2, vcc_lo, exec_lo
	s_wait_alu 0xfffe
	s_or_b32 s0, s0, s2
	s_or_b32 exec_lo, exec_lo, s1
	s_wait_alu 0xfffe
	s_and_saveexec_b32 s1, s0
	s_cbranch_execnz .LBB6_219
	s_branch .LBB6_220
.LBB6_733:
	s_mov_b32 s0, -1
	s_mov_b32 s2, exec_lo
	v_cmpx_eq_u16_e32 0x80, v18
; %bb.734:
	s_xor_b32 s0, exec_lo, -1
; %bb.735:
	s_wait_alu 0xfffe
	s_or_b32 exec_lo, exec_lo, s2
	s_delay_alu instid0(SALU_CYCLE_1)
	s_and_b32 s0, s0, exec_lo
	s_or_saveexec_b32 s1, s1
	v_mov_b32_e32 v17, 0x7f800001
	s_wait_alu 0xfffe
	s_xor_b32 exec_lo, exec_lo, s1
	s_cbranch_execz .LBB6_222
.LBB6_736:
	v_cmp_ne_u16_e32 vcc_lo, 0, v18
	v_mov_b32_e32 v17, 0
	s_and_not1_b32 s0, s0, exec_lo
	s_and_b32 s2, vcc_lo, exec_lo
	s_wait_alu 0xfffe
	s_or_b32 s0, s0, s2
	s_or_b32 exec_lo, exec_lo, s1
	s_wait_alu 0xfffe
	s_and_saveexec_b32 s1, s0
	s_cbranch_execnz .LBB6_223
	s_branch .LBB6_224
.LBB6_737:
	s_mov_b32 s0, -1
	s_mov_b32 s2, exec_lo
	v_cmpx_eq_u16_e32 0x80, v25
; %bb.738:
	s_xor_b32 s0, exec_lo, -1
; %bb.739:
	s_wait_alu 0xfffe
	s_or_b32 exec_lo, exec_lo, s2
	s_delay_alu instid0(SALU_CYCLE_1)
	s_and_b32 s0, s0, exec_lo
                                        ; implicit-def: $vgpr25
	s_or_saveexec_b32 s1, s1
	v_mov_b32_e32 v18, 0x7f800001
	s_wait_alu 0xfffe
	s_xor_b32 exec_lo, exec_lo, s1
	s_cbranch_execz .LBB6_226
.LBB6_740:
	v_cmp_ne_u16_e32 vcc_lo, 0, v25
	v_mov_b32_e32 v18, 0
	s_and_not1_b32 s0, s0, exec_lo
	s_and_b32 s2, vcc_lo, exec_lo
	s_wait_alu 0xfffe
	s_or_b32 s0, s0, s2
	s_or_b32 exec_lo, exec_lo, s1
	s_wait_alu 0xfffe
	s_and_saveexec_b32 s1, s0
	s_cbranch_execnz .LBB6_227
	s_branch .LBB6_228
.LBB6_741:
	s_mov_b32 s0, -1
	s_mov_b32 s2, exec_lo
	v_cmpx_eq_u16_e32 0x80, v25
; %bb.742:
	s_xor_b32 s0, exec_lo, -1
; %bb.743:
	s_wait_alu 0xfffe
	s_or_b32 exec_lo, exec_lo, s2
	s_delay_alu instid0(SALU_CYCLE_1)
	s_and_b32 s0, s0, exec_lo
                                        ; implicit-def: $vgpr25
	s_or_saveexec_b32 s1, s1
	v_mov_b32_e32 v7, 0x7f800001
	s_wait_alu 0xfffe
	s_xor_b32 exec_lo, exec_lo, s1
	s_cbranch_execz .LBB6_230
.LBB6_744:
	v_cmp_ne_u16_e32 vcc_lo, 0, v25
	v_mov_b32_e32 v7, 0
	s_and_not1_b32 s0, s0, exec_lo
	s_and_b32 s2, vcc_lo, exec_lo
	s_wait_alu 0xfffe
	s_or_b32 s0, s0, s2
	s_or_b32 exec_lo, exec_lo, s1
	s_wait_alu 0xfffe
	s_and_saveexec_b32 s1, s0
	s_cbranch_execnz .LBB6_231
	s_branch .LBB6_232
.LBB6_745:
	s_mov_b32 s0, -1
	s_mov_b32 s2, exec_lo
	v_cmpx_eq_u16_e32 0x80, v25
; %bb.746:
	s_xor_b32 s0, exec_lo, -1
; %bb.747:
	s_wait_alu 0xfffe
	s_or_b32 exec_lo, exec_lo, s2
	s_delay_alu instid0(SALU_CYCLE_1)
	s_and_b32 s0, s0, exec_lo
                                        ; implicit-def: $vgpr25
	s_or_saveexec_b32 s1, s1
	v_mov_b32_e32 v21, 0x7f800001
	s_wait_alu 0xfffe
	s_xor_b32 exec_lo, exec_lo, s1
	s_cbranch_execz .LBB6_234
.LBB6_748:
	v_cmp_ne_u16_e32 vcc_lo, 0, v25
	v_mov_b32_e32 v21, 0
	s_and_not1_b32 s0, s0, exec_lo
	s_and_b32 s2, vcc_lo, exec_lo
	s_wait_alu 0xfffe
	s_or_b32 s0, s0, s2
	s_or_b32 exec_lo, exec_lo, s1
	s_wait_alu 0xfffe
	s_and_saveexec_b32 s1, s0
	s_cbranch_execnz .LBB6_235
	s_branch .LBB6_236
.LBB6_749:
	s_mov_b32 s0, -1
	s_mov_b32 s2, exec_lo
	v_cmpx_eq_u16_e32 0x80, v24
; %bb.750:
	s_xor_b32 s0, exec_lo, -1
; %bb.751:
	s_wait_alu 0xfffe
	s_or_b32 exec_lo, exec_lo, s2
	s_delay_alu instid0(SALU_CYCLE_1)
	s_and_b32 s0, s0, exec_lo
	s_or_saveexec_b32 s1, s1
	v_mov_b32_e32 v23, 0x7f800001
	s_wait_alu 0xfffe
	s_xor_b32 exec_lo, exec_lo, s1
	s_cbranch_execz .LBB6_238
.LBB6_752:
	v_cmp_ne_u16_e32 vcc_lo, 0, v24
	v_mov_b32_e32 v23, 0
	s_and_not1_b32 s0, s0, exec_lo
	s_and_b32 s2, vcc_lo, exec_lo
	s_wait_alu 0xfffe
	s_or_b32 s0, s0, s2
	s_or_b32 exec_lo, exec_lo, s1
	s_wait_alu 0xfffe
	s_and_saveexec_b32 s1, s0
	s_cbranch_execnz .LBB6_239
	s_branch .LBB6_240
.LBB6_753:
	s_mov_b32 s0, -1
	s_mov_b32 s2, exec_lo
	v_cmpx_eq_u16_e32 0x80, v25
; %bb.754:
	s_xor_b32 s0, exec_lo, -1
; %bb.755:
	s_wait_alu 0xfffe
	s_or_b32 exec_lo, exec_lo, s2
	s_delay_alu instid0(SALU_CYCLE_1)
	s_and_b32 s0, s0, exec_lo
                                        ; implicit-def: $vgpr25
	s_or_saveexec_b32 s1, s1
	v_mov_b32_e32 v24, 0x7f800001
	s_wait_alu 0xfffe
	s_xor_b32 exec_lo, exec_lo, s1
	s_cbranch_execz .LBB6_242
.LBB6_756:
	v_cmp_ne_u16_e32 vcc_lo, 0, v25
	v_mov_b32_e32 v24, 0
	s_and_not1_b32 s0, s0, exec_lo
	s_and_b32 s2, vcc_lo, exec_lo
	s_wait_alu 0xfffe
	s_or_b32 s0, s0, s2
	s_or_b32 exec_lo, exec_lo, s1
	s_wait_alu 0xfffe
	s_and_saveexec_b32 s1, s0
	s_cbranch_execnz .LBB6_243
	s_branch .LBB6_244
.LBB6_757:
	s_mov_b32 s0, -1
	s_mov_b32 s2, exec_lo
	v_cmpx_eq_u16_e32 0x80, v25
; %bb.758:
	s_xor_b32 s0, exec_lo, -1
; %bb.759:
	s_wait_alu 0xfffe
	s_or_b32 exec_lo, exec_lo, s2
	s_delay_alu instid0(SALU_CYCLE_1)
	s_and_b32 s0, s0, exec_lo
                                        ; implicit-def: $vgpr25
	s_or_saveexec_b32 s1, s1
	v_mov_b32_e32 v8, 0x7f800001
	s_wait_alu 0xfffe
	s_xor_b32 exec_lo, exec_lo, s1
	s_cbranch_execz .LBB6_246
.LBB6_760:
	v_cmp_ne_u16_e32 vcc_lo, 0, v25
	v_mov_b32_e32 v8, 0
	s_and_not1_b32 s0, s0, exec_lo
	s_and_b32 s2, vcc_lo, exec_lo
	s_wait_alu 0xfffe
	s_or_b32 s0, s0, s2
	s_or_b32 exec_lo, exec_lo, s1
	s_wait_alu 0xfffe
	s_and_saveexec_b32 s1, s0
	s_cbranch_execnz .LBB6_247
	s_branch .LBB6_248
.LBB6_761:
	s_mov_b32 s0, -1
	s_mov_b32 s2, exec_lo
	v_cmpx_eq_u16_e32 0x80, v25
; %bb.762:
	s_xor_b32 s0, exec_lo, -1
; %bb.763:
	s_wait_alu 0xfffe
	s_or_b32 exec_lo, exec_lo, s2
	s_delay_alu instid0(SALU_CYCLE_1)
	s_and_b32 s0, s0, exec_lo
                                        ; implicit-def: $vgpr25
	s_or_saveexec_b32 s1, s1
	v_mov_b32_e32 v22, 0x7f800001
	s_wait_alu 0xfffe
	s_xor_b32 exec_lo, exec_lo, s1
	s_cbranch_execz .LBB6_250
.LBB6_764:
	v_cmp_ne_u16_e32 vcc_lo, 0, v25
	v_mov_b32_e32 v22, 0
	s_and_not1_b32 s0, s0, exec_lo
	s_and_b32 s2, vcc_lo, exec_lo
	s_wait_alu 0xfffe
	s_or_b32 s0, s0, s2
	s_or_b32 exec_lo, exec_lo, s1
	s_wait_alu 0xfffe
	s_and_saveexec_b32 s1, s0
	s_cbranch_execnz .LBB6_251
	s_branch .LBB6_252
.LBB6_765:
	s_mov_b32 s0, -1
	s_mov_b32 s2, exec_lo
	v_cmpx_eq_u16_e32 0x80, v19
; %bb.766:
	s_xor_b32 s0, exec_lo, -1
; %bb.767:
	s_wait_alu 0xfffe
	s_or_b32 exec_lo, exec_lo, s2
	s_delay_alu instid0(SALU_CYCLE_1)
	s_and_b32 s0, s0, exec_lo
	s_or_saveexec_b32 s1, s1
	v_mov_b32_e32 v20, 0x7f800001
	s_wait_alu 0xfffe
	s_xor_b32 exec_lo, exec_lo, s1
	s_cbranch_execz .LBB6_254
.LBB6_768:
	v_cmp_ne_u16_e32 vcc_lo, 0, v19
	v_mov_b32_e32 v20, 0
	s_and_not1_b32 s0, s0, exec_lo
	s_and_b32 s2, vcc_lo, exec_lo
	s_wait_alu 0xfffe
	s_or_b32 s0, s0, s2
	s_or_b32 exec_lo, exec_lo, s1
	s_wait_alu 0xfffe
	s_and_saveexec_b32 s1, s0
	s_cbranch_execnz .LBB6_255
	s_branch .LBB6_256
.LBB6_769:
	s_mov_b32 s0, -1
	s_mov_b32 s2, exec_lo
	v_cmpx_eq_u16_e32 0x80, v25
; %bb.770:
	s_xor_b32 s0, exec_lo, -1
; %bb.771:
	s_wait_alu 0xfffe
	s_or_b32 exec_lo, exec_lo, s2
	s_delay_alu instid0(SALU_CYCLE_1)
	s_and_b32 s0, s0, exec_lo
                                        ; implicit-def: $vgpr25
	s_or_saveexec_b32 s1, s1
	v_mov_b32_e32 v19, 0x7f800001
	s_wait_alu 0xfffe
	s_xor_b32 exec_lo, exec_lo, s1
	s_cbranch_execz .LBB6_258
.LBB6_772:
	v_cmp_ne_u16_e32 vcc_lo, 0, v25
	v_mov_b32_e32 v19, 0
	s_and_not1_b32 s0, s0, exec_lo
	s_and_b32 s2, vcc_lo, exec_lo
	s_wait_alu 0xfffe
	s_or_b32 s0, s0, s2
	s_or_b32 exec_lo, exec_lo, s1
	s_wait_alu 0xfffe
	s_and_saveexec_b32 s1, s0
	s_cbranch_execnz .LBB6_259
	s_branch .LBB6_260
.LBB6_773:
	s_mov_b32 s0, -1
	s_mov_b32 s2, exec_lo
	v_cmpx_eq_u16_e32 0x80, v25
; %bb.774:
	s_xor_b32 s0, exec_lo, -1
; %bb.775:
	s_wait_alu 0xfffe
	s_or_b32 exec_lo, exec_lo, s2
	s_delay_alu instid0(SALU_CYCLE_1)
	s_and_b32 s0, s0, exec_lo
                                        ; implicit-def: $vgpr25
	s_or_saveexec_b32 s1, s1
	v_mov_b32_e32 v9, 0x7f800001
	s_wait_alu 0xfffe
	s_xor_b32 exec_lo, exec_lo, s1
	s_cbranch_execz .LBB6_262
.LBB6_776:
	v_cmp_ne_u16_e32 vcc_lo, 0, v25
	v_mov_b32_e32 v9, 0
	s_and_not1_b32 s0, s0, exec_lo
	s_and_b32 s2, vcc_lo, exec_lo
	s_wait_alu 0xfffe
	s_or_b32 s0, s0, s2
	s_or_b32 exec_lo, exec_lo, s1
	s_wait_alu 0xfffe
	s_and_saveexec_b32 s1, s0
	s_cbranch_execnz .LBB6_263
	s_branch .LBB6_264
.LBB6_777:
	s_mov_b32 s0, -1
	s_mov_b32 s2, exec_lo
	v_cmpx_eq_u16_e32 0x80, v25
; %bb.778:
	s_xor_b32 s0, exec_lo, -1
; %bb.779:
	s_wait_alu 0xfffe
	s_or_b32 exec_lo, exec_lo, s2
	s_delay_alu instid0(SALU_CYCLE_1)
	s_and_b32 s0, s0, exec_lo
                                        ; implicit-def: $vgpr25
	s_or_saveexec_b32 s1, s1
	v_mov_b32_e32 v15, 0x7f800001
	s_wait_alu 0xfffe
	s_xor_b32 exec_lo, exec_lo, s1
	s_cbranch_execz .LBB6_266
.LBB6_780:
	v_cmp_ne_u16_e32 vcc_lo, 0, v25
	v_mov_b32_e32 v15, 0
	s_and_not1_b32 s0, s0, exec_lo
	s_and_b32 s2, vcc_lo, exec_lo
	s_wait_alu 0xfffe
	s_or_b32 s0, s0, s2
	s_or_b32 exec_lo, exec_lo, s1
	s_wait_alu 0xfffe
	s_and_saveexec_b32 s1, s0
	s_cbranch_execnz .LBB6_267
	s_branch .LBB6_268
.LBB6_781:
	s_mov_b32 s0, -1
	s_mov_b32 s2, exec_lo
	v_cmpx_eq_u16_e32 0x80, v13
; %bb.782:
	s_xor_b32 s0, exec_lo, -1
; %bb.783:
	s_wait_alu 0xfffe
	s_or_b32 exec_lo, exec_lo, s2
	s_delay_alu instid0(SALU_CYCLE_1)
	s_and_b32 s0, s0, exec_lo
	s_or_saveexec_b32 s1, s1
	v_mov_b32_e32 v14, 0x7f800001
	s_wait_alu 0xfffe
	s_xor_b32 exec_lo, exec_lo, s1
	s_cbranch_execz .LBB6_270
.LBB6_784:
	v_cmp_ne_u16_e32 vcc_lo, 0, v13
	v_mov_b32_e32 v14, 0
	s_and_not1_b32 s0, s0, exec_lo
	s_and_b32 s2, vcc_lo, exec_lo
	s_wait_alu 0xfffe
	s_or_b32 s0, s0, s2
	s_or_b32 exec_lo, exec_lo, s1
	s_wait_alu 0xfffe
	s_and_saveexec_b32 s1, s0
	s_cbranch_execnz .LBB6_271
	s_branch .LBB6_272
.LBB6_785:
	s_mov_b32 s0, -1
	s_mov_b32 s2, exec_lo
	v_cmpx_eq_u16_e32 0x80, v25
; %bb.786:
	s_xor_b32 s0, exec_lo, -1
; %bb.787:
	s_wait_alu 0xfffe
	s_or_b32 exec_lo, exec_lo, s2
	s_delay_alu instid0(SALU_CYCLE_1)
	s_and_b32 s0, s0, exec_lo
                                        ; implicit-def: $vgpr25
	s_or_saveexec_b32 s1, s1
	v_mov_b32_e32 v6, 0x7f800001
	s_wait_alu 0xfffe
	s_xor_b32 exec_lo, exec_lo, s1
	s_cbranch_execz .LBB6_282
.LBB6_788:
	v_cmp_ne_u16_e32 vcc_lo, 0, v25
	v_mov_b32_e32 v6, 0
	s_and_not1_b32 s0, s0, exec_lo
	s_and_b32 s2, vcc_lo, exec_lo
	s_wait_alu 0xfffe
	s_or_b32 s0, s0, s2
	s_or_b32 exec_lo, exec_lo, s1
	s_wait_alu 0xfffe
	s_and_saveexec_b32 s1, s0
	s_cbranch_execnz .LBB6_283
	s_branch .LBB6_284
.LBB6_789:
	s_mov_b32 s0, -1
	s_mov_b32 s2, exec_lo
	v_cmpx_eq_u16_e32 0x80, v25
; %bb.790:
	s_xor_b32 s0, exec_lo, -1
; %bb.791:
	s_wait_alu 0xfffe
	s_or_b32 exec_lo, exec_lo, s2
	s_delay_alu instid0(SALU_CYCLE_1)
	s_and_b32 s0, s0, exec_lo
                                        ; implicit-def: $vgpr25
	s_or_saveexec_b32 s1, s1
	v_mov_b32_e32 v16, 0x7f800001
	s_wait_alu 0xfffe
	s_xor_b32 exec_lo, exec_lo, s1
	s_cbranch_execz .LBB6_286
.LBB6_792:
	v_cmp_ne_u16_e32 vcc_lo, 0, v25
	v_mov_b32_e32 v16, 0
	s_and_not1_b32 s0, s0, exec_lo
	s_and_b32 s2, vcc_lo, exec_lo
	s_wait_alu 0xfffe
	s_or_b32 s0, s0, s2
	s_or_b32 exec_lo, exec_lo, s1
	s_wait_alu 0xfffe
	s_and_saveexec_b32 s1, s0
	s_cbranch_execnz .LBB6_287
	s_branch .LBB6_288
.LBB6_793:
	s_mov_b32 s0, -1
	s_mov_b32 s2, exec_lo
	v_cmpx_eq_u16_e32 0x80, v18
; %bb.794:
	s_xor_b32 s0, exec_lo, -1
; %bb.795:
	s_wait_alu 0xfffe
	s_or_b32 exec_lo, exec_lo, s2
	s_delay_alu instid0(SALU_CYCLE_1)
	s_and_b32 s0, s0, exec_lo
	s_or_saveexec_b32 s1, s1
	v_mov_b32_e32 v17, 0x7f800001
	s_wait_alu 0xfffe
	s_xor_b32 exec_lo, exec_lo, s1
	s_cbranch_execz .LBB6_290
.LBB6_796:
	v_cmp_ne_u16_e32 vcc_lo, 0, v18
	v_mov_b32_e32 v17, 0
	s_and_not1_b32 s0, s0, exec_lo
	s_and_b32 s2, vcc_lo, exec_lo
	s_wait_alu 0xfffe
	s_or_b32 s0, s0, s2
	s_or_b32 exec_lo, exec_lo, s1
	s_wait_alu 0xfffe
	s_and_saveexec_b32 s1, s0
	s_cbranch_execnz .LBB6_291
	s_branch .LBB6_292
.LBB6_797:
	s_mov_b32 s0, -1
	s_mov_b32 s2, exec_lo
	v_cmpx_eq_u16_e32 0x80, v25
; %bb.798:
	s_xor_b32 s0, exec_lo, -1
; %bb.799:
	s_wait_alu 0xfffe
	s_or_b32 exec_lo, exec_lo, s2
	s_delay_alu instid0(SALU_CYCLE_1)
	s_and_b32 s0, s0, exec_lo
                                        ; implicit-def: $vgpr25
	s_or_saveexec_b32 s1, s1
	v_mov_b32_e32 v18, 0x7f800001
	s_wait_alu 0xfffe
	s_xor_b32 exec_lo, exec_lo, s1
	s_cbranch_execz .LBB6_294
.LBB6_800:
	v_cmp_ne_u16_e32 vcc_lo, 0, v25
	v_mov_b32_e32 v18, 0
	s_and_not1_b32 s0, s0, exec_lo
	s_and_b32 s2, vcc_lo, exec_lo
	s_wait_alu 0xfffe
	s_or_b32 s0, s0, s2
	s_or_b32 exec_lo, exec_lo, s1
	s_wait_alu 0xfffe
	s_and_saveexec_b32 s1, s0
	s_cbranch_execnz .LBB6_295
	s_branch .LBB6_296
.LBB6_801:
	s_mov_b32 s0, -1
	s_mov_b32 s2, exec_lo
	v_cmpx_eq_u16_e32 0x80, v25
; %bb.802:
	s_xor_b32 s0, exec_lo, -1
; %bb.803:
	s_wait_alu 0xfffe
	s_or_b32 exec_lo, exec_lo, s2
	s_delay_alu instid0(SALU_CYCLE_1)
	s_and_b32 s0, s0, exec_lo
                                        ; implicit-def: $vgpr25
	s_or_saveexec_b32 s1, s1
	v_mov_b32_e32 v7, 0x7f800001
	s_wait_alu 0xfffe
	s_xor_b32 exec_lo, exec_lo, s1
	s_cbranch_execz .LBB6_298
.LBB6_804:
	v_cmp_ne_u16_e32 vcc_lo, 0, v25
	v_mov_b32_e32 v7, 0
	s_and_not1_b32 s0, s0, exec_lo
	s_and_b32 s2, vcc_lo, exec_lo
	s_wait_alu 0xfffe
	s_or_b32 s0, s0, s2
	s_or_b32 exec_lo, exec_lo, s1
	s_wait_alu 0xfffe
	s_and_saveexec_b32 s1, s0
	s_cbranch_execnz .LBB6_299
	s_branch .LBB6_300
.LBB6_805:
	s_mov_b32 s0, -1
	s_mov_b32 s2, exec_lo
	v_cmpx_eq_u16_e32 0x80, v25
; %bb.806:
	s_xor_b32 s0, exec_lo, -1
; %bb.807:
	s_wait_alu 0xfffe
	s_or_b32 exec_lo, exec_lo, s2
	s_delay_alu instid0(SALU_CYCLE_1)
	s_and_b32 s0, s0, exec_lo
                                        ; implicit-def: $vgpr25
	s_or_saveexec_b32 s1, s1
	v_mov_b32_e32 v21, 0x7f800001
	s_wait_alu 0xfffe
	s_xor_b32 exec_lo, exec_lo, s1
	s_cbranch_execz .LBB6_302
.LBB6_808:
	v_cmp_ne_u16_e32 vcc_lo, 0, v25
	v_mov_b32_e32 v21, 0
	s_and_not1_b32 s0, s0, exec_lo
	s_and_b32 s2, vcc_lo, exec_lo
	s_wait_alu 0xfffe
	s_or_b32 s0, s0, s2
	s_or_b32 exec_lo, exec_lo, s1
	s_wait_alu 0xfffe
	s_and_saveexec_b32 s1, s0
	s_cbranch_execnz .LBB6_303
	s_branch .LBB6_304
.LBB6_809:
	s_mov_b32 s0, -1
	s_mov_b32 s2, exec_lo
	v_cmpx_eq_u16_e32 0x80, v24
; %bb.810:
	s_xor_b32 s0, exec_lo, -1
; %bb.811:
	s_wait_alu 0xfffe
	s_or_b32 exec_lo, exec_lo, s2
	s_delay_alu instid0(SALU_CYCLE_1)
	s_and_b32 s0, s0, exec_lo
	s_or_saveexec_b32 s1, s1
	v_mov_b32_e32 v23, 0x7f800001
	s_wait_alu 0xfffe
	s_xor_b32 exec_lo, exec_lo, s1
	s_cbranch_execz .LBB6_306
.LBB6_812:
	v_cmp_ne_u16_e32 vcc_lo, 0, v24
	v_mov_b32_e32 v23, 0
	s_and_not1_b32 s0, s0, exec_lo
	s_and_b32 s2, vcc_lo, exec_lo
	s_wait_alu 0xfffe
	s_or_b32 s0, s0, s2
	s_or_b32 exec_lo, exec_lo, s1
	s_wait_alu 0xfffe
	s_and_saveexec_b32 s1, s0
	s_cbranch_execnz .LBB6_307
	s_branch .LBB6_308
.LBB6_813:
	s_mov_b32 s0, -1
	s_mov_b32 s2, exec_lo
	v_cmpx_eq_u16_e32 0x80, v25
; %bb.814:
	s_xor_b32 s0, exec_lo, -1
; %bb.815:
	s_wait_alu 0xfffe
	s_or_b32 exec_lo, exec_lo, s2
	s_delay_alu instid0(SALU_CYCLE_1)
	s_and_b32 s0, s0, exec_lo
                                        ; implicit-def: $vgpr25
	s_or_saveexec_b32 s1, s1
	v_mov_b32_e32 v24, 0x7f800001
	s_wait_alu 0xfffe
	s_xor_b32 exec_lo, exec_lo, s1
	s_cbranch_execz .LBB6_310
.LBB6_816:
	v_cmp_ne_u16_e32 vcc_lo, 0, v25
	v_mov_b32_e32 v24, 0
	s_and_not1_b32 s0, s0, exec_lo
	s_and_b32 s2, vcc_lo, exec_lo
	s_wait_alu 0xfffe
	s_or_b32 s0, s0, s2
	s_or_b32 exec_lo, exec_lo, s1
	s_wait_alu 0xfffe
	s_and_saveexec_b32 s1, s0
	s_cbranch_execnz .LBB6_311
	s_branch .LBB6_312
.LBB6_817:
	s_mov_b32 s0, -1
	s_mov_b32 s2, exec_lo
	v_cmpx_eq_u16_e32 0x80, v25
; %bb.818:
	s_xor_b32 s0, exec_lo, -1
; %bb.819:
	s_wait_alu 0xfffe
	s_or_b32 exec_lo, exec_lo, s2
	s_delay_alu instid0(SALU_CYCLE_1)
	s_and_b32 s0, s0, exec_lo
                                        ; implicit-def: $vgpr25
	s_or_saveexec_b32 s1, s1
	v_mov_b32_e32 v8, 0x7f800001
	s_wait_alu 0xfffe
	s_xor_b32 exec_lo, exec_lo, s1
	s_cbranch_execz .LBB6_314
.LBB6_820:
	v_cmp_ne_u16_e32 vcc_lo, 0, v25
	v_mov_b32_e32 v8, 0
	s_and_not1_b32 s0, s0, exec_lo
	s_and_b32 s2, vcc_lo, exec_lo
	s_wait_alu 0xfffe
	s_or_b32 s0, s0, s2
	s_or_b32 exec_lo, exec_lo, s1
	s_wait_alu 0xfffe
	s_and_saveexec_b32 s1, s0
	s_cbranch_execnz .LBB6_315
	s_branch .LBB6_316
.LBB6_821:
	s_mov_b32 s0, -1
	s_mov_b32 s2, exec_lo
	v_cmpx_eq_u16_e32 0x80, v25
; %bb.822:
	s_xor_b32 s0, exec_lo, -1
; %bb.823:
	s_wait_alu 0xfffe
	s_or_b32 exec_lo, exec_lo, s2
	s_delay_alu instid0(SALU_CYCLE_1)
	s_and_b32 s0, s0, exec_lo
                                        ; implicit-def: $vgpr25
	s_or_saveexec_b32 s1, s1
	v_mov_b32_e32 v22, 0x7f800001
	s_wait_alu 0xfffe
	s_xor_b32 exec_lo, exec_lo, s1
	s_cbranch_execz .LBB6_318
.LBB6_824:
	v_cmp_ne_u16_e32 vcc_lo, 0, v25
	v_mov_b32_e32 v22, 0
	s_and_not1_b32 s0, s0, exec_lo
	s_and_b32 s2, vcc_lo, exec_lo
	s_wait_alu 0xfffe
	s_or_b32 s0, s0, s2
	s_or_b32 exec_lo, exec_lo, s1
	s_wait_alu 0xfffe
	s_and_saveexec_b32 s1, s0
	s_cbranch_execnz .LBB6_319
	s_branch .LBB6_320
.LBB6_825:
	s_mov_b32 s0, -1
	s_mov_b32 s2, exec_lo
	v_cmpx_eq_u16_e32 0x80, v19
; %bb.826:
	s_xor_b32 s0, exec_lo, -1
; %bb.827:
	s_wait_alu 0xfffe
	s_or_b32 exec_lo, exec_lo, s2
	s_delay_alu instid0(SALU_CYCLE_1)
	s_and_b32 s0, s0, exec_lo
	s_or_saveexec_b32 s1, s1
	v_mov_b32_e32 v20, 0x7f800001
	s_wait_alu 0xfffe
	s_xor_b32 exec_lo, exec_lo, s1
	s_cbranch_execz .LBB6_322
.LBB6_828:
	v_cmp_ne_u16_e32 vcc_lo, 0, v19
	v_mov_b32_e32 v20, 0
	s_and_not1_b32 s0, s0, exec_lo
	s_and_b32 s2, vcc_lo, exec_lo
	s_wait_alu 0xfffe
	s_or_b32 s0, s0, s2
	s_or_b32 exec_lo, exec_lo, s1
	s_wait_alu 0xfffe
	s_and_saveexec_b32 s1, s0
	s_cbranch_execnz .LBB6_323
	s_branch .LBB6_324
.LBB6_829:
	s_mov_b32 s0, -1
	s_mov_b32 s2, exec_lo
	v_cmpx_eq_u16_e32 0x80, v25
; %bb.830:
	s_xor_b32 s0, exec_lo, -1
; %bb.831:
	s_wait_alu 0xfffe
	s_or_b32 exec_lo, exec_lo, s2
	s_delay_alu instid0(SALU_CYCLE_1)
	s_and_b32 s0, s0, exec_lo
                                        ; implicit-def: $vgpr25
	s_or_saveexec_b32 s1, s1
	v_mov_b32_e32 v19, 0x7f800001
	s_wait_alu 0xfffe
	s_xor_b32 exec_lo, exec_lo, s1
	s_cbranch_execz .LBB6_326
.LBB6_832:
	v_cmp_ne_u16_e32 vcc_lo, 0, v25
	v_mov_b32_e32 v19, 0
	s_and_not1_b32 s0, s0, exec_lo
	s_and_b32 s2, vcc_lo, exec_lo
	s_wait_alu 0xfffe
	s_or_b32 s0, s0, s2
	s_or_b32 exec_lo, exec_lo, s1
	s_wait_alu 0xfffe
	s_and_saveexec_b32 s1, s0
	s_cbranch_execnz .LBB6_327
	s_branch .LBB6_328
.LBB6_833:
	s_mov_b32 s0, -1
	s_mov_b32 s2, exec_lo
	v_cmpx_eq_u16_e32 0x80, v25
; %bb.834:
	s_xor_b32 s0, exec_lo, -1
; %bb.835:
	s_wait_alu 0xfffe
	s_or_b32 exec_lo, exec_lo, s2
	s_delay_alu instid0(SALU_CYCLE_1)
	s_and_b32 s0, s0, exec_lo
                                        ; implicit-def: $vgpr25
	s_or_saveexec_b32 s1, s1
	v_mov_b32_e32 v9, 0x7f800001
	s_wait_alu 0xfffe
	s_xor_b32 exec_lo, exec_lo, s1
	s_cbranch_execz .LBB6_330
.LBB6_836:
	v_cmp_ne_u16_e32 vcc_lo, 0, v25
	v_mov_b32_e32 v9, 0
	s_and_not1_b32 s0, s0, exec_lo
	s_and_b32 s2, vcc_lo, exec_lo
	s_wait_alu 0xfffe
	s_or_b32 s0, s0, s2
	s_or_b32 exec_lo, exec_lo, s1
	s_wait_alu 0xfffe
	s_and_saveexec_b32 s1, s0
	s_cbranch_execnz .LBB6_331
	s_branch .LBB6_332
.LBB6_837:
	s_mov_b32 s0, -1
	s_mov_b32 s2, exec_lo
	v_cmpx_eq_u16_e32 0x80, v25
; %bb.838:
	s_xor_b32 s0, exec_lo, -1
; %bb.839:
	s_wait_alu 0xfffe
	s_or_b32 exec_lo, exec_lo, s2
	s_delay_alu instid0(SALU_CYCLE_1)
	s_and_b32 s0, s0, exec_lo
                                        ; implicit-def: $vgpr25
	s_or_saveexec_b32 s1, s1
	v_mov_b32_e32 v15, 0x7f800001
	s_wait_alu 0xfffe
	s_xor_b32 exec_lo, exec_lo, s1
	s_cbranch_execz .LBB6_334
.LBB6_840:
	v_cmp_ne_u16_e32 vcc_lo, 0, v25
	v_mov_b32_e32 v15, 0
	s_and_not1_b32 s0, s0, exec_lo
	s_and_b32 s2, vcc_lo, exec_lo
	s_wait_alu 0xfffe
	s_or_b32 s0, s0, s2
	s_or_b32 exec_lo, exec_lo, s1
	s_wait_alu 0xfffe
	s_and_saveexec_b32 s1, s0
	s_cbranch_execnz .LBB6_335
	s_branch .LBB6_336
.LBB6_841:
	s_mov_b32 s0, -1
	s_mov_b32 s2, exec_lo
	v_cmpx_eq_u16_e32 0x80, v13
; %bb.842:
	s_xor_b32 s0, exec_lo, -1
; %bb.843:
	s_wait_alu 0xfffe
	s_or_b32 exec_lo, exec_lo, s2
	s_delay_alu instid0(SALU_CYCLE_1)
	s_and_b32 s0, s0, exec_lo
	s_or_saveexec_b32 s1, s1
	v_mov_b32_e32 v14, 0x7f800001
	s_wait_alu 0xfffe
	s_xor_b32 exec_lo, exec_lo, s1
	s_cbranch_execz .LBB6_338
.LBB6_844:
	v_cmp_ne_u16_e32 vcc_lo, 0, v13
	v_mov_b32_e32 v14, 0
	s_and_not1_b32 s0, s0, exec_lo
	s_and_b32 s2, vcc_lo, exec_lo
	s_wait_alu 0xfffe
	s_or_b32 s0, s0, s2
	s_or_b32 exec_lo, exec_lo, s1
	s_wait_alu 0xfffe
	s_and_saveexec_b32 s1, s0
	s_cbranch_execnz .LBB6_339
	s_branch .LBB6_340
.LBB6_845:
	s_mov_b32 s0, -1
	s_mov_b32 s2, exec_lo
	v_cmpx_eq_u16_e32 0x80, v25
; %bb.846:
	s_xor_b32 s0, exec_lo, -1
; %bb.847:
	s_wait_alu 0xfffe
	s_or_b32 exec_lo, exec_lo, s2
	s_delay_alu instid0(SALU_CYCLE_1)
	s_and_b32 s0, s0, exec_lo
                                        ; implicit-def: $vgpr25
	s_or_saveexec_b32 s1, s1
	v_mov_b32_e32 v6, 0x7f800001
	s_wait_alu 0xfffe
	s_xor_b32 exec_lo, exec_lo, s1
	s_cbranch_execz .LBB6_350
.LBB6_848:
	v_cmp_ne_u16_e32 vcc_lo, 0, v25
	v_mov_b32_e32 v6, 0
	s_and_not1_b32 s0, s0, exec_lo
	s_and_b32 s2, vcc_lo, exec_lo
	s_wait_alu 0xfffe
	s_or_b32 s0, s0, s2
	s_or_b32 exec_lo, exec_lo, s1
	s_wait_alu 0xfffe
	s_and_saveexec_b32 s1, s0
	s_cbranch_execnz .LBB6_351
	s_branch .LBB6_352
.LBB6_849:
	s_mov_b32 s0, -1
	s_mov_b32 s2, exec_lo
	v_cmpx_eq_u16_e32 0x80, v25
; %bb.850:
	s_xor_b32 s0, exec_lo, -1
; %bb.851:
	s_wait_alu 0xfffe
	s_or_b32 exec_lo, exec_lo, s2
	s_delay_alu instid0(SALU_CYCLE_1)
	s_and_b32 s0, s0, exec_lo
                                        ; implicit-def: $vgpr25
	s_or_saveexec_b32 s1, s1
	v_mov_b32_e32 v16, 0x7f800001
	s_wait_alu 0xfffe
	s_xor_b32 exec_lo, exec_lo, s1
	s_cbranch_execz .LBB6_354
.LBB6_852:
	v_cmp_ne_u16_e32 vcc_lo, 0, v25
	v_mov_b32_e32 v16, 0
	s_and_not1_b32 s0, s0, exec_lo
	s_and_b32 s2, vcc_lo, exec_lo
	s_wait_alu 0xfffe
	s_or_b32 s0, s0, s2
	s_or_b32 exec_lo, exec_lo, s1
	s_wait_alu 0xfffe
	s_and_saveexec_b32 s1, s0
	s_cbranch_execnz .LBB6_355
	s_branch .LBB6_356
.LBB6_853:
	s_mov_b32 s0, -1
	s_mov_b32 s2, exec_lo
	v_cmpx_eq_u16_e32 0x80, v18
; %bb.854:
	s_xor_b32 s0, exec_lo, -1
; %bb.855:
	s_wait_alu 0xfffe
	s_or_b32 exec_lo, exec_lo, s2
	s_delay_alu instid0(SALU_CYCLE_1)
	s_and_b32 s0, s0, exec_lo
	s_or_saveexec_b32 s1, s1
	v_mov_b32_e32 v17, 0x7f800001
	s_wait_alu 0xfffe
	s_xor_b32 exec_lo, exec_lo, s1
	s_cbranch_execz .LBB6_358
.LBB6_856:
	v_cmp_ne_u16_e32 vcc_lo, 0, v18
	v_mov_b32_e32 v17, 0
	s_and_not1_b32 s0, s0, exec_lo
	s_and_b32 s2, vcc_lo, exec_lo
	s_wait_alu 0xfffe
	s_or_b32 s0, s0, s2
	s_or_b32 exec_lo, exec_lo, s1
	s_wait_alu 0xfffe
	s_and_saveexec_b32 s1, s0
	s_cbranch_execnz .LBB6_359
	s_branch .LBB6_360
.LBB6_857:
	s_mov_b32 s0, -1
	s_mov_b32 s2, exec_lo
	v_cmpx_eq_u16_e32 0x80, v25
; %bb.858:
	s_xor_b32 s0, exec_lo, -1
; %bb.859:
	s_wait_alu 0xfffe
	s_or_b32 exec_lo, exec_lo, s2
	s_delay_alu instid0(SALU_CYCLE_1)
	s_and_b32 s0, s0, exec_lo
                                        ; implicit-def: $vgpr25
	s_or_saveexec_b32 s1, s1
	v_mov_b32_e32 v18, 0x7f800001
	s_wait_alu 0xfffe
	s_xor_b32 exec_lo, exec_lo, s1
	s_cbranch_execz .LBB6_362
.LBB6_860:
	v_cmp_ne_u16_e32 vcc_lo, 0, v25
	v_mov_b32_e32 v18, 0
	s_and_not1_b32 s0, s0, exec_lo
	s_and_b32 s2, vcc_lo, exec_lo
	s_wait_alu 0xfffe
	s_or_b32 s0, s0, s2
	s_or_b32 exec_lo, exec_lo, s1
	s_wait_alu 0xfffe
	s_and_saveexec_b32 s1, s0
	s_cbranch_execnz .LBB6_363
	s_branch .LBB6_364
.LBB6_861:
	s_mov_b32 s0, -1
	s_mov_b32 s2, exec_lo
	v_cmpx_eq_u16_e32 0x80, v25
; %bb.862:
	s_xor_b32 s0, exec_lo, -1
; %bb.863:
	s_wait_alu 0xfffe
	s_or_b32 exec_lo, exec_lo, s2
	s_delay_alu instid0(SALU_CYCLE_1)
	s_and_b32 s0, s0, exec_lo
                                        ; implicit-def: $vgpr25
	s_or_saveexec_b32 s1, s1
	v_mov_b32_e32 v7, 0x7f800001
	s_wait_alu 0xfffe
	s_xor_b32 exec_lo, exec_lo, s1
	s_cbranch_execz .LBB6_366
.LBB6_864:
	v_cmp_ne_u16_e32 vcc_lo, 0, v25
	v_mov_b32_e32 v7, 0
	s_and_not1_b32 s0, s0, exec_lo
	s_and_b32 s2, vcc_lo, exec_lo
	s_wait_alu 0xfffe
	s_or_b32 s0, s0, s2
	s_or_b32 exec_lo, exec_lo, s1
	s_wait_alu 0xfffe
	s_and_saveexec_b32 s1, s0
	s_cbranch_execnz .LBB6_367
	s_branch .LBB6_368
.LBB6_865:
	s_mov_b32 s0, -1
	s_mov_b32 s2, exec_lo
	v_cmpx_eq_u16_e32 0x80, v25
; %bb.866:
	s_xor_b32 s0, exec_lo, -1
; %bb.867:
	s_wait_alu 0xfffe
	s_or_b32 exec_lo, exec_lo, s2
	s_delay_alu instid0(SALU_CYCLE_1)
	s_and_b32 s0, s0, exec_lo
                                        ; implicit-def: $vgpr25
	s_or_saveexec_b32 s1, s1
	v_mov_b32_e32 v21, 0x7f800001
	s_wait_alu 0xfffe
	s_xor_b32 exec_lo, exec_lo, s1
	s_cbranch_execz .LBB6_370
.LBB6_868:
	v_cmp_ne_u16_e32 vcc_lo, 0, v25
	v_mov_b32_e32 v21, 0
	s_and_not1_b32 s0, s0, exec_lo
	s_and_b32 s2, vcc_lo, exec_lo
	s_wait_alu 0xfffe
	s_or_b32 s0, s0, s2
	s_or_b32 exec_lo, exec_lo, s1
	s_wait_alu 0xfffe
	s_and_saveexec_b32 s1, s0
	s_cbranch_execnz .LBB6_371
	s_branch .LBB6_372
.LBB6_869:
	s_mov_b32 s0, -1
	s_mov_b32 s2, exec_lo
	v_cmpx_eq_u16_e32 0x80, v24
; %bb.870:
	s_xor_b32 s0, exec_lo, -1
; %bb.871:
	s_wait_alu 0xfffe
	s_or_b32 exec_lo, exec_lo, s2
	s_delay_alu instid0(SALU_CYCLE_1)
	s_and_b32 s0, s0, exec_lo
	s_or_saveexec_b32 s1, s1
	v_mov_b32_e32 v23, 0x7f800001
	s_wait_alu 0xfffe
	s_xor_b32 exec_lo, exec_lo, s1
	s_cbranch_execz .LBB6_374
.LBB6_872:
	v_cmp_ne_u16_e32 vcc_lo, 0, v24
	v_mov_b32_e32 v23, 0
	s_and_not1_b32 s0, s0, exec_lo
	s_and_b32 s2, vcc_lo, exec_lo
	s_wait_alu 0xfffe
	s_or_b32 s0, s0, s2
	s_or_b32 exec_lo, exec_lo, s1
	s_wait_alu 0xfffe
	s_and_saveexec_b32 s1, s0
	s_cbranch_execnz .LBB6_375
	s_branch .LBB6_376
.LBB6_873:
	s_mov_b32 s0, -1
	s_mov_b32 s2, exec_lo
	v_cmpx_eq_u16_e32 0x80, v25
; %bb.874:
	s_xor_b32 s0, exec_lo, -1
; %bb.875:
	s_wait_alu 0xfffe
	s_or_b32 exec_lo, exec_lo, s2
	s_delay_alu instid0(SALU_CYCLE_1)
	s_and_b32 s0, s0, exec_lo
                                        ; implicit-def: $vgpr25
	s_or_saveexec_b32 s1, s1
	v_mov_b32_e32 v24, 0x7f800001
	s_wait_alu 0xfffe
	s_xor_b32 exec_lo, exec_lo, s1
	s_cbranch_execz .LBB6_378
.LBB6_876:
	v_cmp_ne_u16_e32 vcc_lo, 0, v25
	v_mov_b32_e32 v24, 0
	s_and_not1_b32 s0, s0, exec_lo
	s_and_b32 s2, vcc_lo, exec_lo
	s_wait_alu 0xfffe
	s_or_b32 s0, s0, s2
	s_or_b32 exec_lo, exec_lo, s1
	s_wait_alu 0xfffe
	s_and_saveexec_b32 s1, s0
	s_cbranch_execnz .LBB6_379
	s_branch .LBB6_380
.LBB6_877:
	s_mov_b32 s0, -1
	s_mov_b32 s2, exec_lo
	v_cmpx_eq_u16_e32 0x80, v25
; %bb.878:
	s_xor_b32 s0, exec_lo, -1
; %bb.879:
	s_wait_alu 0xfffe
	s_or_b32 exec_lo, exec_lo, s2
	s_delay_alu instid0(SALU_CYCLE_1)
	s_and_b32 s0, s0, exec_lo
                                        ; implicit-def: $vgpr25
	s_or_saveexec_b32 s1, s1
	v_mov_b32_e32 v8, 0x7f800001
	s_wait_alu 0xfffe
	s_xor_b32 exec_lo, exec_lo, s1
	s_cbranch_execz .LBB6_382
.LBB6_880:
	v_cmp_ne_u16_e32 vcc_lo, 0, v25
	v_mov_b32_e32 v8, 0
	s_and_not1_b32 s0, s0, exec_lo
	s_and_b32 s2, vcc_lo, exec_lo
	s_wait_alu 0xfffe
	s_or_b32 s0, s0, s2
	s_or_b32 exec_lo, exec_lo, s1
	s_wait_alu 0xfffe
	s_and_saveexec_b32 s1, s0
	s_cbranch_execnz .LBB6_383
	s_branch .LBB6_384
.LBB6_881:
	s_mov_b32 s0, -1
	s_mov_b32 s2, exec_lo
	v_cmpx_eq_u16_e32 0x80, v25
; %bb.882:
	s_xor_b32 s0, exec_lo, -1
; %bb.883:
	s_wait_alu 0xfffe
	s_or_b32 exec_lo, exec_lo, s2
	s_delay_alu instid0(SALU_CYCLE_1)
	s_and_b32 s0, s0, exec_lo
                                        ; implicit-def: $vgpr25
	s_or_saveexec_b32 s1, s1
	v_mov_b32_e32 v22, 0x7f800001
	s_wait_alu 0xfffe
	s_xor_b32 exec_lo, exec_lo, s1
	s_cbranch_execz .LBB6_386
.LBB6_884:
	v_cmp_ne_u16_e32 vcc_lo, 0, v25
	v_mov_b32_e32 v22, 0
	s_and_not1_b32 s0, s0, exec_lo
	s_and_b32 s2, vcc_lo, exec_lo
	s_wait_alu 0xfffe
	s_or_b32 s0, s0, s2
	s_or_b32 exec_lo, exec_lo, s1
	s_wait_alu 0xfffe
	s_and_saveexec_b32 s1, s0
	s_cbranch_execnz .LBB6_387
	s_branch .LBB6_388
.LBB6_885:
	s_mov_b32 s0, -1
	s_mov_b32 s2, exec_lo
	v_cmpx_eq_u16_e32 0x80, v19
; %bb.886:
	s_xor_b32 s0, exec_lo, -1
; %bb.887:
	s_wait_alu 0xfffe
	s_or_b32 exec_lo, exec_lo, s2
	s_delay_alu instid0(SALU_CYCLE_1)
	s_and_b32 s0, s0, exec_lo
	s_or_saveexec_b32 s1, s1
	v_mov_b32_e32 v20, 0x7f800001
	s_wait_alu 0xfffe
	s_xor_b32 exec_lo, exec_lo, s1
	s_cbranch_execz .LBB6_390
.LBB6_888:
	v_cmp_ne_u16_e32 vcc_lo, 0, v19
	v_mov_b32_e32 v20, 0
	s_and_not1_b32 s0, s0, exec_lo
	s_and_b32 s2, vcc_lo, exec_lo
	s_wait_alu 0xfffe
	s_or_b32 s0, s0, s2
	s_or_b32 exec_lo, exec_lo, s1
	s_wait_alu 0xfffe
	s_and_saveexec_b32 s1, s0
	s_cbranch_execnz .LBB6_391
	s_branch .LBB6_392
.LBB6_889:
	s_mov_b32 s0, -1
	s_mov_b32 s2, exec_lo
	v_cmpx_eq_u16_e32 0x80, v25
; %bb.890:
	s_xor_b32 s0, exec_lo, -1
; %bb.891:
	s_wait_alu 0xfffe
	s_or_b32 exec_lo, exec_lo, s2
	s_delay_alu instid0(SALU_CYCLE_1)
	s_and_b32 s0, s0, exec_lo
                                        ; implicit-def: $vgpr25
	s_or_saveexec_b32 s1, s1
	v_mov_b32_e32 v19, 0x7f800001
	s_wait_alu 0xfffe
	s_xor_b32 exec_lo, exec_lo, s1
	s_cbranch_execz .LBB6_394
.LBB6_892:
	v_cmp_ne_u16_e32 vcc_lo, 0, v25
	v_mov_b32_e32 v19, 0
	s_and_not1_b32 s0, s0, exec_lo
	s_and_b32 s2, vcc_lo, exec_lo
	s_wait_alu 0xfffe
	s_or_b32 s0, s0, s2
	s_or_b32 exec_lo, exec_lo, s1
	s_wait_alu 0xfffe
	s_and_saveexec_b32 s1, s0
	s_cbranch_execnz .LBB6_395
	s_branch .LBB6_396
.LBB6_893:
	s_mov_b32 s0, -1
	s_mov_b32 s2, exec_lo
	v_cmpx_eq_u16_e32 0x80, v25
; %bb.894:
	s_xor_b32 s0, exec_lo, -1
; %bb.895:
	s_wait_alu 0xfffe
	s_or_b32 exec_lo, exec_lo, s2
	s_delay_alu instid0(SALU_CYCLE_1)
	s_and_b32 s0, s0, exec_lo
                                        ; implicit-def: $vgpr25
	s_or_saveexec_b32 s1, s1
	v_mov_b32_e32 v9, 0x7f800001
	s_wait_alu 0xfffe
	s_xor_b32 exec_lo, exec_lo, s1
	s_cbranch_execz .LBB6_398
.LBB6_896:
	v_cmp_ne_u16_e32 vcc_lo, 0, v25
	v_mov_b32_e32 v9, 0
	s_and_not1_b32 s0, s0, exec_lo
	s_and_b32 s2, vcc_lo, exec_lo
	s_wait_alu 0xfffe
	s_or_b32 s0, s0, s2
	s_or_b32 exec_lo, exec_lo, s1
	s_wait_alu 0xfffe
	s_and_saveexec_b32 s1, s0
	s_cbranch_execnz .LBB6_399
	s_branch .LBB6_400
.LBB6_897:
	s_mov_b32 s0, -1
	s_mov_b32 s2, exec_lo
	v_cmpx_eq_u16_e32 0x80, v25
; %bb.898:
	s_xor_b32 s0, exec_lo, -1
; %bb.899:
	s_wait_alu 0xfffe
	s_or_b32 exec_lo, exec_lo, s2
	s_delay_alu instid0(SALU_CYCLE_1)
	s_and_b32 s0, s0, exec_lo
                                        ; implicit-def: $vgpr25
	s_or_saveexec_b32 s1, s1
	v_mov_b32_e32 v15, 0x7f800001
	s_wait_alu 0xfffe
	s_xor_b32 exec_lo, exec_lo, s1
	s_cbranch_execz .LBB6_402
.LBB6_900:
	v_cmp_ne_u16_e32 vcc_lo, 0, v25
	v_mov_b32_e32 v15, 0
	s_and_not1_b32 s0, s0, exec_lo
	s_and_b32 s2, vcc_lo, exec_lo
	s_wait_alu 0xfffe
	s_or_b32 s0, s0, s2
	s_or_b32 exec_lo, exec_lo, s1
	s_wait_alu 0xfffe
	s_and_saveexec_b32 s1, s0
	s_cbranch_execnz .LBB6_403
	s_branch .LBB6_404
.LBB6_901:
	s_mov_b32 s0, -1
	s_mov_b32 s2, exec_lo
	v_cmpx_eq_u16_e32 0x80, v13
; %bb.902:
	s_xor_b32 s0, exec_lo, -1
; %bb.903:
	s_wait_alu 0xfffe
	s_or_b32 exec_lo, exec_lo, s2
	s_delay_alu instid0(SALU_CYCLE_1)
	s_and_b32 s0, s0, exec_lo
	s_or_saveexec_b32 s1, s1
	v_mov_b32_e32 v14, 0x7f800001
	s_wait_alu 0xfffe
	s_xor_b32 exec_lo, exec_lo, s1
	s_cbranch_execz .LBB6_406
.LBB6_904:
	v_cmp_ne_u16_e32 vcc_lo, 0, v13
	v_mov_b32_e32 v14, 0
	s_and_not1_b32 s0, s0, exec_lo
	s_and_b32 s2, vcc_lo, exec_lo
	s_wait_alu 0xfffe
	s_or_b32 s0, s0, s2
	s_or_b32 exec_lo, exec_lo, s1
	s_wait_alu 0xfffe
	s_and_saveexec_b32 s1, s0
	s_cbranch_execnz .LBB6_407
	s_branch .LBB6_408
.LBB6_905:
	s_mov_b32 s0, -1
	s_mov_b32 s2, exec_lo
	v_cmpx_eq_u16_e32 0x80, v23
; %bb.906:
	s_xor_b32 s0, exec_lo, -1
; %bb.907:
	s_wait_alu 0xfffe
	s_or_b32 exec_lo, exec_lo, s2
	s_delay_alu instid0(SALU_CYCLE_1)
	s_and_b32 s0, s0, exec_lo
                                        ; implicit-def: $vgpr23
	s_or_saveexec_b32 s1, s1
	v_mov_b32_e32 v6, 0x7f800001
	s_wait_alu 0xfffe
	s_xor_b32 exec_lo, exec_lo, s1
	s_cbranch_execz .LBB6_418
.LBB6_908:
	v_cmp_ne_u16_e32 vcc_lo, 0, v23
	v_mov_b32_e32 v6, 0
	s_and_not1_b32 s0, s0, exec_lo
	s_and_b32 s2, vcc_lo, exec_lo
	s_wait_alu 0xfffe
	s_or_b32 s0, s0, s2
	s_or_b32 exec_lo, exec_lo, s1
	s_wait_alu 0xfffe
	s_and_saveexec_b32 s1, s0
	s_cbranch_execnz .LBB6_419
	s_branch .LBB6_420
.LBB6_909:
	s_mov_b32 s0, -1
	s_mov_b32 s2, exec_lo
	v_cmpx_eq_u16_e32 0x80, v23
; %bb.910:
	s_xor_b32 s0, exec_lo, -1
; %bb.911:
	s_wait_alu 0xfffe
	s_or_b32 exec_lo, exec_lo, s2
	s_delay_alu instid0(SALU_CYCLE_1)
	s_and_b32 s0, s0, exec_lo
                                        ; implicit-def: $vgpr23
	s_or_saveexec_b32 s1, s1
	v_mov_b32_e32 v14, 0x7f800001
	s_wait_alu 0xfffe
	s_xor_b32 exec_lo, exec_lo, s1
	s_cbranch_execz .LBB6_422
.LBB6_912:
	v_cmp_ne_u16_e32 vcc_lo, 0, v23
	v_mov_b32_e32 v14, 0
	s_and_not1_b32 s0, s0, exec_lo
	s_and_b32 s2, vcc_lo, exec_lo
	s_wait_alu 0xfffe
	s_or_b32 s0, s0, s2
	s_or_b32 exec_lo, exec_lo, s1
	s_wait_alu 0xfffe
	s_and_saveexec_b32 s1, s0
	s_cbranch_execnz .LBB6_423
	s_branch .LBB6_424
.LBB6_913:
	s_mov_b32 s0, -1
	s_mov_b32 s2, exec_lo
	v_cmpx_eq_u16_e32 0x80, v16
; %bb.914:
	s_xor_b32 s0, exec_lo, -1
; %bb.915:
	s_wait_alu 0xfffe
	s_or_b32 exec_lo, exec_lo, s2
	s_delay_alu instid0(SALU_CYCLE_1)
	s_and_b32 s0, s0, exec_lo
	s_or_saveexec_b32 s1, s1
	v_mov_b32_e32 v15, 0x7f800001
	s_wait_alu 0xfffe
	s_xor_b32 exec_lo, exec_lo, s1
	s_cbranch_execz .LBB6_426
.LBB6_916:
	v_cmp_ne_u16_e32 vcc_lo, 0, v16
	v_mov_b32_e32 v15, 0
	s_and_not1_b32 s0, s0, exec_lo
	s_and_b32 s2, vcc_lo, exec_lo
	s_wait_alu 0xfffe
	s_or_b32 s0, s0, s2
	s_or_b32 exec_lo, exec_lo, s1
	s_wait_alu 0xfffe
	s_and_saveexec_b32 s1, s0
	s_cbranch_execnz .LBB6_427
	s_branch .LBB6_428
.LBB6_917:
	s_mov_b32 s0, -1
	s_mov_b32 s2, exec_lo
	v_cmpx_eq_u16_e32 0x80, v23
; %bb.918:
	s_xor_b32 s0, exec_lo, -1
; %bb.919:
	s_wait_alu 0xfffe
	s_or_b32 exec_lo, exec_lo, s2
	s_delay_alu instid0(SALU_CYCLE_1)
	s_and_b32 s0, s0, exec_lo
                                        ; implicit-def: $vgpr23
	s_or_saveexec_b32 s1, s1
	v_mov_b32_e32 v16, 0x7f800001
	s_wait_alu 0xfffe
	s_xor_b32 exec_lo, exec_lo, s1
	s_cbranch_execz .LBB6_430
.LBB6_920:
	v_cmp_ne_u16_e32 vcc_lo, 0, v23
	v_mov_b32_e32 v16, 0
	s_and_not1_b32 s0, s0, exec_lo
	s_and_b32 s2, vcc_lo, exec_lo
	s_wait_alu 0xfffe
	s_or_b32 s0, s0, s2
	s_or_b32 exec_lo, exec_lo, s1
	s_wait_alu 0xfffe
	s_and_saveexec_b32 s1, s0
	s_cbranch_execnz .LBB6_431
	s_branch .LBB6_432
.LBB6_921:
	s_mov_b32 s0, -1
	s_mov_b32 s2, exec_lo
	v_cmpx_eq_u16_e32 0x80, v23
; %bb.922:
	s_xor_b32 s0, exec_lo, -1
; %bb.923:
	s_wait_alu 0xfffe
	s_or_b32 exec_lo, exec_lo, s2
	s_delay_alu instid0(SALU_CYCLE_1)
	s_and_b32 s0, s0, exec_lo
                                        ; implicit-def: $vgpr23
	s_or_saveexec_b32 s1, s1
	v_mov_b32_e32 v7, 0x7f800001
	s_wait_alu 0xfffe
	s_xor_b32 exec_lo, exec_lo, s1
	s_cbranch_execz .LBB6_434
.LBB6_924:
	v_cmp_ne_u16_e32 vcc_lo, 0, v23
	v_mov_b32_e32 v7, 0
	s_and_not1_b32 s0, s0, exec_lo
	s_and_b32 s2, vcc_lo, exec_lo
	s_wait_alu 0xfffe
	s_or_b32 s0, s0, s2
	s_or_b32 exec_lo, exec_lo, s1
	s_wait_alu 0xfffe
	s_and_saveexec_b32 s1, s0
	s_cbranch_execnz .LBB6_435
	s_branch .LBB6_436
.LBB6_925:
	s_mov_b32 s0, -1
	s_mov_b32 s2, exec_lo
	v_cmpx_eq_u16_e32 0x80, v23
; %bb.926:
	s_xor_b32 s0, exec_lo, -1
; %bb.927:
	s_wait_alu 0xfffe
	s_or_b32 exec_lo, exec_lo, s2
	s_delay_alu instid0(SALU_CYCLE_1)
	s_and_b32 s0, s0, exec_lo
                                        ; implicit-def: $vgpr23
	s_or_saveexec_b32 s1, s1
	v_mov_b32_e32 v19, 0x7f800001
	s_wait_alu 0xfffe
	s_xor_b32 exec_lo, exec_lo, s1
	s_cbranch_execz .LBB6_438
.LBB6_928:
	v_cmp_ne_u16_e32 vcc_lo, 0, v23
	v_mov_b32_e32 v19, 0
	s_and_not1_b32 s0, s0, exec_lo
	s_and_b32 s2, vcc_lo, exec_lo
	s_wait_alu 0xfffe
	s_or_b32 s0, s0, s2
	s_or_b32 exec_lo, exec_lo, s1
	s_wait_alu 0xfffe
	s_and_saveexec_b32 s1, s0
	s_cbranch_execnz .LBB6_439
	s_branch .LBB6_440
.LBB6_929:
	s_mov_b32 s0, -1
	s_mov_b32 s2, exec_lo
	v_cmpx_eq_u16_e32 0x80, v22
; %bb.930:
	s_xor_b32 s0, exec_lo, -1
; %bb.931:
	s_wait_alu 0xfffe
	s_or_b32 exec_lo, exec_lo, s2
	s_delay_alu instid0(SALU_CYCLE_1)
	s_and_b32 s0, s0, exec_lo
	s_or_saveexec_b32 s1, s1
	v_mov_b32_e32 v21, 0x7f800001
	s_wait_alu 0xfffe
	s_xor_b32 exec_lo, exec_lo, s1
	s_cbranch_execz .LBB6_442
.LBB6_932:
	v_cmp_ne_u16_e32 vcc_lo, 0, v22
	v_mov_b32_e32 v21, 0
	s_and_not1_b32 s0, s0, exec_lo
	s_and_b32 s2, vcc_lo, exec_lo
	s_wait_alu 0xfffe
	s_or_b32 s0, s0, s2
	s_or_b32 exec_lo, exec_lo, s1
	s_wait_alu 0xfffe
	s_and_saveexec_b32 s1, s0
	s_cbranch_execnz .LBB6_443
	s_branch .LBB6_444
.LBB6_933:
	s_mov_b32 s0, -1
	s_mov_b32 s2, exec_lo
	v_cmpx_eq_u16_e32 0x80, v23
; %bb.934:
	s_xor_b32 s0, exec_lo, -1
; %bb.935:
	s_wait_alu 0xfffe
	s_or_b32 exec_lo, exec_lo, s2
	s_delay_alu instid0(SALU_CYCLE_1)
	s_and_b32 s0, s0, exec_lo
                                        ; implicit-def: $vgpr23
	s_or_saveexec_b32 s1, s1
	v_mov_b32_e32 v22, 0x7f800001
	s_wait_alu 0xfffe
	s_xor_b32 exec_lo, exec_lo, s1
	s_cbranch_execz .LBB6_446
.LBB6_936:
	v_cmp_ne_u16_e32 vcc_lo, 0, v23
	v_mov_b32_e32 v22, 0
	s_and_not1_b32 s0, s0, exec_lo
	s_and_b32 s2, vcc_lo, exec_lo
	s_wait_alu 0xfffe
	s_or_b32 s0, s0, s2
	s_or_b32 exec_lo, exec_lo, s1
	s_wait_alu 0xfffe
	s_and_saveexec_b32 s1, s0
	s_cbranch_execnz .LBB6_447
	s_branch .LBB6_448
.LBB6_937:
	s_mov_b32 s0, -1
	s_mov_b32 s2, exec_lo
	v_cmpx_eq_u16_e32 0x80, v23
; %bb.938:
	s_xor_b32 s0, exec_lo, -1
; %bb.939:
	s_wait_alu 0xfffe
	s_or_b32 exec_lo, exec_lo, s2
	s_delay_alu instid0(SALU_CYCLE_1)
	s_and_b32 s0, s0, exec_lo
                                        ; implicit-def: $vgpr23
	s_or_saveexec_b32 s1, s1
	v_mov_b32_e32 v8, 0x7f800001
	s_wait_alu 0xfffe
	s_xor_b32 exec_lo, exec_lo, s1
	s_cbranch_execz .LBB6_450
.LBB6_940:
	v_cmp_ne_u16_e32 vcc_lo, 0, v23
	v_mov_b32_e32 v8, 0
	s_and_not1_b32 s0, s0, exec_lo
	s_and_b32 s2, vcc_lo, exec_lo
	s_wait_alu 0xfffe
	s_or_b32 s0, s0, s2
	s_or_b32 exec_lo, exec_lo, s1
	s_wait_alu 0xfffe
	s_and_saveexec_b32 s1, s0
	s_cbranch_execnz .LBB6_451
	s_branch .LBB6_452
.LBB6_941:
	s_mov_b32 s0, -1
	s_mov_b32 s2, exec_lo
	v_cmpx_eq_u16_e32 0x80, v23
; %bb.942:
	s_xor_b32 s0, exec_lo, -1
; %bb.943:
	s_wait_alu 0xfffe
	s_or_b32 exec_lo, exec_lo, s2
	s_delay_alu instid0(SALU_CYCLE_1)
	s_and_b32 s0, s0, exec_lo
                                        ; implicit-def: $vgpr23
	s_or_saveexec_b32 s1, s1
	v_mov_b32_e32 v20, 0x7f800001
	s_wait_alu 0xfffe
	s_xor_b32 exec_lo, exec_lo, s1
	s_cbranch_execz .LBB6_454
.LBB6_944:
	v_cmp_ne_u16_e32 vcc_lo, 0, v23
	v_mov_b32_e32 v20, 0
	s_and_not1_b32 s0, s0, exec_lo
	s_and_b32 s2, vcc_lo, exec_lo
	s_wait_alu 0xfffe
	s_or_b32 s0, s0, s2
	s_or_b32 exec_lo, exec_lo, s1
	s_wait_alu 0xfffe
	s_and_saveexec_b32 s1, s0
	s_cbranch_execnz .LBB6_455
	s_branch .LBB6_456
.LBB6_945:
	s_mov_b32 s0, -1
	s_mov_b32 s2, exec_lo
	v_cmpx_eq_u16_e32 0x80, v17
; %bb.946:
	s_xor_b32 s0, exec_lo, -1
; %bb.947:
	s_wait_alu 0xfffe
	s_or_b32 exec_lo, exec_lo, s2
	s_delay_alu instid0(SALU_CYCLE_1)
	s_and_b32 s0, s0, exec_lo
	s_or_saveexec_b32 s1, s1
	v_mov_b32_e32 v18, 0x7f800001
	s_wait_alu 0xfffe
	s_xor_b32 exec_lo, exec_lo, s1
	s_cbranch_execz .LBB6_458
.LBB6_948:
	v_cmp_ne_u16_e32 vcc_lo, 0, v17
	v_mov_b32_e32 v18, 0
	s_and_not1_b32 s0, s0, exec_lo
	s_and_b32 s2, vcc_lo, exec_lo
	s_wait_alu 0xfffe
	s_or_b32 s0, s0, s2
	s_or_b32 exec_lo, exec_lo, s1
	s_wait_alu 0xfffe
	s_and_saveexec_b32 s1, s0
	s_cbranch_execnz .LBB6_459
	s_branch .LBB6_460
.LBB6_949:
	s_mov_b32 s0, -1
	s_mov_b32 s2, exec_lo
	v_cmpx_eq_u16_e32 0x80, v23
; %bb.950:
	s_xor_b32 s0, exec_lo, -1
; %bb.951:
	s_wait_alu 0xfffe
	s_or_b32 exec_lo, exec_lo, s2
	s_delay_alu instid0(SALU_CYCLE_1)
	s_and_b32 s0, s0, exec_lo
                                        ; implicit-def: $vgpr23
	s_or_saveexec_b32 s1, s1
	v_mov_b32_e32 v17, 0x7f800001
	s_wait_alu 0xfffe
	s_xor_b32 exec_lo, exec_lo, s1
	s_cbranch_execz .LBB6_462
.LBB6_952:
	v_cmp_ne_u16_e32 vcc_lo, 0, v23
	v_mov_b32_e32 v17, 0
	s_and_not1_b32 s0, s0, exec_lo
	s_and_b32 s2, vcc_lo, exec_lo
	s_wait_alu 0xfffe
	s_or_b32 s0, s0, s2
	s_or_b32 exec_lo, exec_lo, s1
	s_wait_alu 0xfffe
	s_and_saveexec_b32 s1, s0
	s_cbranch_execnz .LBB6_463
	s_branch .LBB6_464
.LBB6_953:
	s_mov_b32 s0, -1
	s_mov_b32 s2, exec_lo
	v_cmpx_eq_u16_e32 0x80, v23
; %bb.954:
	s_xor_b32 s0, exec_lo, -1
; %bb.955:
	s_wait_alu 0xfffe
	s_or_b32 exec_lo, exec_lo, s2
	s_delay_alu instid0(SALU_CYCLE_1)
	s_and_b32 s0, s0, exec_lo
                                        ; implicit-def: $vgpr23
	s_or_saveexec_b32 s1, s1
	v_mov_b32_e32 v9, 0x7f800001
	s_wait_alu 0xfffe
	s_xor_b32 exec_lo, exec_lo, s1
	s_cbranch_execz .LBB6_466
.LBB6_956:
	v_cmp_ne_u16_e32 vcc_lo, 0, v23
	v_mov_b32_e32 v9, 0
	s_and_not1_b32 s0, s0, exec_lo
	s_and_b32 s2, vcc_lo, exec_lo
	s_wait_alu 0xfffe
	s_or_b32 s0, s0, s2
	s_or_b32 exec_lo, exec_lo, s1
	s_wait_alu 0xfffe
	s_and_saveexec_b32 s1, s0
	s_cbranch_execnz .LBB6_467
	s_branch .LBB6_468
.LBB6_957:
	s_mov_b32 s0, -1
	s_mov_b32 s2, exec_lo
	v_cmpx_eq_u16_e32 0x80, v23
; %bb.958:
	s_xor_b32 s0, exec_lo, -1
; %bb.959:
	s_wait_alu 0xfffe
	s_or_b32 exec_lo, exec_lo, s2
	s_delay_alu instid0(SALU_CYCLE_1)
	s_and_b32 s0, s0, exec_lo
                                        ; implicit-def: $vgpr23
	s_or_saveexec_b32 s1, s1
	v_mov_b32_e32 v13, 0x7f800001
	s_wait_alu 0xfffe
	s_xor_b32 exec_lo, exec_lo, s1
	s_cbranch_execz .LBB6_470
.LBB6_960:
	v_cmp_ne_u16_e32 vcc_lo, 0, v23
	v_mov_b32_e32 v13, 0
	s_and_not1_b32 s0, s0, exec_lo
	s_and_b32 s2, vcc_lo, exec_lo
	s_wait_alu 0xfffe
	s_or_b32 s0, s0, s2
	s_or_b32 exec_lo, exec_lo, s1
	s_wait_alu 0xfffe
	s_and_saveexec_b32 s1, s0
	s_cbranch_execnz .LBB6_471
	s_branch .LBB6_472
.LBB6_961:
	s_mov_b32 s0, -1
	s_mov_b32 s2, exec_lo
	v_cmpx_eq_u16_e32 0x80, v11
; %bb.962:
	s_xor_b32 s0, exec_lo, -1
; %bb.963:
	s_wait_alu 0xfffe
	s_or_b32 exec_lo, exec_lo, s2
	s_delay_alu instid0(SALU_CYCLE_1)
	s_and_b32 s0, s0, exec_lo
	s_or_saveexec_b32 s1, s1
	v_mov_b32_e32 v12, 0x7f800001
	s_wait_alu 0xfffe
	s_xor_b32 exec_lo, exec_lo, s1
	s_cbranch_execz .LBB6_474
.LBB6_964:
	v_cmp_ne_u16_e32 vcc_lo, 0, v11
	v_mov_b32_e32 v12, 0
	s_and_not1_b32 s0, s0, exec_lo
	s_and_b32 s2, vcc_lo, exec_lo
	s_wait_alu 0xfffe
	s_or_b32 s0, s0, s2
	s_or_b32 exec_lo, exec_lo, s1
	s_wait_alu 0xfffe
	s_and_saveexec_b32 s1, s0
	s_cbranch_execnz .LBB6_475
	s_branch .LBB6_476
.LBB6_965:
	s_mov_b32 s0, -1
	s_mov_b32 s2, exec_lo
	v_cmpx_eq_u16_e32 0x80, v19
; %bb.966:
	s_xor_b32 s0, exec_lo, -1
; %bb.967:
	s_wait_alu 0xfffe
	s_or_b32 exec_lo, exec_lo, s2
	s_delay_alu instid0(SALU_CYCLE_1)
	s_and_b32 s0, s0, exec_lo
                                        ; implicit-def: $vgpr19
	s_or_saveexec_b32 s1, s1
	v_mov_b32_e32 v0, 0x7f800001
	s_wait_alu 0xfffe
	s_xor_b32 exec_lo, exec_lo, s1
	s_cbranch_execz .LBB6_486
.LBB6_968:
	v_cmp_ne_u16_e32 vcc_lo, 0, v19
	v_mov_b32_e32 v0, 0
	s_and_not1_b32 s0, s0, exec_lo
	s_and_b32 s2, vcc_lo, exec_lo
	s_wait_alu 0xfffe
	s_or_b32 s0, s0, s2
	s_or_b32 exec_lo, exec_lo, s1
	s_wait_alu 0xfffe
	s_and_saveexec_b32 s1, s0
	s_cbranch_execnz .LBB6_487
	s_branch .LBB6_488
.LBB6_969:
	s_mov_b32 s0, -1
	s_mov_b32 s2, exec_lo
	v_cmpx_eq_u16_e32 0x80, v19
; %bb.970:
	s_xor_b32 s0, exec_lo, -1
; %bb.971:
	s_wait_alu 0xfffe
	s_or_b32 exec_lo, exec_lo, s2
	s_delay_alu instid0(SALU_CYCLE_1)
	s_and_b32 s0, s0, exec_lo
                                        ; implicit-def: $vgpr19
	s_or_saveexec_b32 s1, s1
	v_mov_b32_e32 v10, 0x7f800001
	s_wait_alu 0xfffe
	s_xor_b32 exec_lo, exec_lo, s1
	s_cbranch_execz .LBB6_490
.LBB6_972:
	v_cmp_ne_u16_e32 vcc_lo, 0, v19
	v_mov_b32_e32 v10, 0
	s_and_not1_b32 s0, s0, exec_lo
	s_and_b32 s2, vcc_lo, exec_lo
	s_wait_alu 0xfffe
	s_or_b32 s0, s0, s2
	s_or_b32 exec_lo, exec_lo, s1
	s_wait_alu 0xfffe
	s_and_saveexec_b32 s1, s0
	s_cbranch_execnz .LBB6_491
	s_branch .LBB6_492
.LBB6_973:
	s_mov_b32 s0, -1
	s_mov_b32 s2, exec_lo
	v_cmpx_eq_u16_e32 0x80, v12
; %bb.974:
	s_xor_b32 s0, exec_lo, -1
; %bb.975:
	s_wait_alu 0xfffe
	s_or_b32 exec_lo, exec_lo, s2
	s_delay_alu instid0(SALU_CYCLE_1)
	s_and_b32 s0, s0, exec_lo
	s_or_saveexec_b32 s1, s1
	v_mov_b32_e32 v11, 0x7f800001
	s_wait_alu 0xfffe
	s_xor_b32 exec_lo, exec_lo, s1
	s_cbranch_execz .LBB6_494
.LBB6_976:
	v_cmp_ne_u16_e32 vcc_lo, 0, v12
	v_mov_b32_e32 v11, 0
	s_and_not1_b32 s0, s0, exec_lo
	s_and_b32 s2, vcc_lo, exec_lo
	s_wait_alu 0xfffe
	s_or_b32 s0, s0, s2
	s_or_b32 exec_lo, exec_lo, s1
	s_wait_alu 0xfffe
	s_and_saveexec_b32 s1, s0
	s_cbranch_execnz .LBB6_495
	s_branch .LBB6_496
.LBB6_977:
	s_mov_b32 s0, -1
	s_mov_b32 s2, exec_lo
	v_cmpx_eq_u16_e32 0x80, v19
; %bb.978:
	s_xor_b32 s0, exec_lo, -1
; %bb.979:
	s_wait_alu 0xfffe
	s_or_b32 exec_lo, exec_lo, s2
	s_delay_alu instid0(SALU_CYCLE_1)
	s_and_b32 s0, s0, exec_lo
                                        ; implicit-def: $vgpr19
	s_or_saveexec_b32 s1, s1
	v_mov_b32_e32 v12, 0x7f800001
	s_wait_alu 0xfffe
	s_xor_b32 exec_lo, exec_lo, s1
	s_cbranch_execz .LBB6_498
.LBB6_980:
	v_cmp_ne_u16_e32 vcc_lo, 0, v19
	v_mov_b32_e32 v12, 0
	s_and_not1_b32 s0, s0, exec_lo
	s_and_b32 s2, vcc_lo, exec_lo
	s_wait_alu 0xfffe
	s_or_b32 s0, s0, s2
	s_or_b32 exec_lo, exec_lo, s1
	s_wait_alu 0xfffe
	s_and_saveexec_b32 s1, s0
	s_cbranch_execnz .LBB6_499
	s_branch .LBB6_500
.LBB6_981:
	s_mov_b32 s0, -1
	s_mov_b32 s2, exec_lo
	v_cmpx_eq_u16_e32 0x80, v19
; %bb.982:
	s_xor_b32 s0, exec_lo, -1
; %bb.983:
	s_wait_alu 0xfffe
	s_or_b32 exec_lo, exec_lo, s2
	s_delay_alu instid0(SALU_CYCLE_1)
	s_and_b32 s0, s0, exec_lo
                                        ; implicit-def: $vgpr19
	s_or_saveexec_b32 s1, s1
	v_mov_b32_e32 v1, 0x7f800001
	s_wait_alu 0xfffe
	s_xor_b32 exec_lo, exec_lo, s1
	s_cbranch_execz .LBB6_502
.LBB6_984:
	v_cmp_ne_u16_e32 vcc_lo, 0, v19
	v_mov_b32_e32 v1, 0
	s_and_not1_b32 s0, s0, exec_lo
	s_and_b32 s2, vcc_lo, exec_lo
	s_wait_alu 0xfffe
	s_or_b32 s0, s0, s2
	s_or_b32 exec_lo, exec_lo, s1
	s_wait_alu 0xfffe
	s_and_saveexec_b32 s1, s0
	s_cbranch_execnz .LBB6_503
	s_branch .LBB6_504
.LBB6_985:
	s_mov_b32 s0, -1
	s_mov_b32 s2, exec_lo
	v_cmpx_eq_u16_e32 0x80, v19
; %bb.986:
	s_xor_b32 s0, exec_lo, -1
; %bb.987:
	s_wait_alu 0xfffe
	s_or_b32 exec_lo, exec_lo, s2
	s_delay_alu instid0(SALU_CYCLE_1)
	s_and_b32 s0, s0, exec_lo
                                        ; implicit-def: $vgpr19
	s_or_saveexec_b32 s1, s1
	v_mov_b32_e32 v15, 0x7f800001
	s_wait_alu 0xfffe
	s_xor_b32 exec_lo, exec_lo, s1
	s_cbranch_execz .LBB6_506
.LBB6_988:
	v_cmp_ne_u16_e32 vcc_lo, 0, v19
	v_mov_b32_e32 v15, 0
	s_and_not1_b32 s0, s0, exec_lo
	s_and_b32 s2, vcc_lo, exec_lo
	s_wait_alu 0xfffe
	s_or_b32 s0, s0, s2
	s_or_b32 exec_lo, exec_lo, s1
	s_wait_alu 0xfffe
	s_and_saveexec_b32 s1, s0
	s_cbranch_execnz .LBB6_507
	s_branch .LBB6_508
.LBB6_989:
	s_mov_b32 s0, -1
	s_mov_b32 s2, exec_lo
	v_cmpx_eq_u16_e32 0x80, v18
; %bb.990:
	s_xor_b32 s0, exec_lo, -1
; %bb.991:
	s_wait_alu 0xfffe
	s_or_b32 exec_lo, exec_lo, s2
	s_delay_alu instid0(SALU_CYCLE_1)
	s_and_b32 s0, s0, exec_lo
	s_or_saveexec_b32 s1, s1
	v_mov_b32_e32 v17, 0x7f800001
	s_wait_alu 0xfffe
	s_xor_b32 exec_lo, exec_lo, s1
	s_cbranch_execz .LBB6_510
.LBB6_992:
	v_cmp_ne_u16_e32 vcc_lo, 0, v18
	v_mov_b32_e32 v17, 0
	s_and_not1_b32 s0, s0, exec_lo
	s_and_b32 s2, vcc_lo, exec_lo
	s_wait_alu 0xfffe
	s_or_b32 s0, s0, s2
	s_or_b32 exec_lo, exec_lo, s1
	s_wait_alu 0xfffe
	s_and_saveexec_b32 s1, s0
	s_cbranch_execnz .LBB6_511
	s_branch .LBB6_512
.LBB6_993:
	s_mov_b32 s0, -1
	s_mov_b32 s2, exec_lo
	v_cmpx_eq_u16_e32 0x80, v19
; %bb.994:
	s_xor_b32 s0, exec_lo, -1
; %bb.995:
	s_wait_alu 0xfffe
	s_or_b32 exec_lo, exec_lo, s2
	s_delay_alu instid0(SALU_CYCLE_1)
	s_and_b32 s0, s0, exec_lo
                                        ; implicit-def: $vgpr19
	s_or_saveexec_b32 s1, s1
	v_mov_b32_e32 v18, 0x7f800001
	s_wait_alu 0xfffe
	s_xor_b32 exec_lo, exec_lo, s1
	s_cbranch_execz .LBB6_514
.LBB6_996:
	v_cmp_ne_u16_e32 vcc_lo, 0, v19
	v_mov_b32_e32 v18, 0
	s_and_not1_b32 s0, s0, exec_lo
	s_and_b32 s2, vcc_lo, exec_lo
	s_wait_alu 0xfffe
	s_or_b32 s0, s0, s2
	s_or_b32 exec_lo, exec_lo, s1
	s_wait_alu 0xfffe
	s_and_saveexec_b32 s1, s0
	s_cbranch_execnz .LBB6_515
	s_branch .LBB6_516
.LBB6_997:
	s_mov_b32 s0, -1
	s_mov_b32 s2, exec_lo
	v_cmpx_eq_u16_e32 0x80, v19
; %bb.998:
	s_xor_b32 s0, exec_lo, -1
; %bb.999:
	s_wait_alu 0xfffe
	s_or_b32 exec_lo, exec_lo, s2
	s_delay_alu instid0(SALU_CYCLE_1)
	s_and_b32 s0, s0, exec_lo
                                        ; implicit-def: $vgpr19
	s_or_saveexec_b32 s1, s1
	v_mov_b32_e32 v2, 0x7f800001
	s_wait_alu 0xfffe
	s_xor_b32 exec_lo, exec_lo, s1
	s_cbranch_execz .LBB6_518
.LBB6_1000:
	v_cmp_ne_u16_e32 vcc_lo, 0, v19
	v_mov_b32_e32 v2, 0
	s_and_not1_b32 s0, s0, exec_lo
	s_and_b32 s2, vcc_lo, exec_lo
	s_wait_alu 0xfffe
	s_or_b32 s0, s0, s2
	s_or_b32 exec_lo, exec_lo, s1
	s_wait_alu 0xfffe
	s_and_saveexec_b32 s1, s0
	s_cbranch_execnz .LBB6_519
	s_branch .LBB6_520
.LBB6_1001:
	s_mov_b32 s0, -1
	s_mov_b32 s2, exec_lo
	v_cmpx_eq_u16_e32 0x80, v19
; %bb.1002:
	s_xor_b32 s0, exec_lo, -1
; %bb.1003:
	s_wait_alu 0xfffe
	s_or_b32 exec_lo, exec_lo, s2
	s_delay_alu instid0(SALU_CYCLE_1)
	s_and_b32 s0, s0, exec_lo
                                        ; implicit-def: $vgpr19
	s_or_saveexec_b32 s1, s1
	v_mov_b32_e32 v16, 0x7f800001
	s_wait_alu 0xfffe
	s_xor_b32 exec_lo, exec_lo, s1
	s_cbranch_execz .LBB6_522
.LBB6_1004:
	v_cmp_ne_u16_e32 vcc_lo, 0, v19
	v_mov_b32_e32 v16, 0
	s_and_not1_b32 s0, s0, exec_lo
	s_and_b32 s2, vcc_lo, exec_lo
	s_wait_alu 0xfffe
	s_or_b32 s0, s0, s2
	s_or_b32 exec_lo, exec_lo, s1
	s_wait_alu 0xfffe
	s_and_saveexec_b32 s1, s0
	s_cbranch_execnz .LBB6_523
	s_branch .LBB6_524
.LBB6_1005:
	s_mov_b32 s0, -1
	s_mov_b32 s2, exec_lo
	v_cmpx_eq_u16_e32 0x80, v13
; %bb.1006:
	s_xor_b32 s0, exec_lo, -1
; %bb.1007:
	s_wait_alu 0xfffe
	s_or_b32 exec_lo, exec_lo, s2
	s_delay_alu instid0(SALU_CYCLE_1)
	s_and_b32 s0, s0, exec_lo
	s_or_saveexec_b32 s1, s1
	v_mov_b32_e32 v14, 0x7f800001
	s_wait_alu 0xfffe
	s_xor_b32 exec_lo, exec_lo, s1
	s_cbranch_execz .LBB6_526
.LBB6_1008:
	v_cmp_ne_u16_e32 vcc_lo, 0, v13
	v_mov_b32_e32 v14, 0
	s_and_not1_b32 s0, s0, exec_lo
	s_and_b32 s2, vcc_lo, exec_lo
	s_wait_alu 0xfffe
	s_or_b32 s0, s0, s2
	s_or_b32 exec_lo, exec_lo, s1
	s_wait_alu 0xfffe
	s_and_saveexec_b32 s1, s0
	s_cbranch_execnz .LBB6_527
	s_branch .LBB6_528
.LBB6_1009:
	s_mov_b32 s0, -1
	s_mov_b32 s2, exec_lo
	v_cmpx_eq_u16_e32 0x80, v19
; %bb.1010:
	s_xor_b32 s0, exec_lo, -1
; %bb.1011:
	s_wait_alu 0xfffe
	s_or_b32 exec_lo, exec_lo, s2
	s_delay_alu instid0(SALU_CYCLE_1)
	s_and_b32 s0, s0, exec_lo
                                        ; implicit-def: $vgpr19
	s_or_saveexec_b32 s1, s1
	v_mov_b32_e32 v13, 0x7f800001
	s_wait_alu 0xfffe
	s_xor_b32 exec_lo, exec_lo, s1
	s_cbranch_execz .LBB6_530
.LBB6_1012:
	v_cmp_ne_u16_e32 vcc_lo, 0, v19
	v_mov_b32_e32 v13, 0
	s_and_not1_b32 s0, s0, exec_lo
	s_and_b32 s2, vcc_lo, exec_lo
	s_wait_alu 0xfffe
	s_or_b32 s0, s0, s2
	s_or_b32 exec_lo, exec_lo, s1
	s_wait_alu 0xfffe
	s_and_saveexec_b32 s1, s0
	s_cbranch_execnz .LBB6_531
	s_branch .LBB6_532
.LBB6_1013:
	s_mov_b32 s0, -1
	s_mov_b32 s2, exec_lo
	v_cmpx_eq_u16_e32 0x80, v19
; %bb.1014:
	s_xor_b32 s0, exec_lo, -1
; %bb.1015:
	s_wait_alu 0xfffe
	s_or_b32 exec_lo, exec_lo, s2
	s_delay_alu instid0(SALU_CYCLE_1)
	s_and_b32 s0, s0, exec_lo
                                        ; implicit-def: $vgpr19
	s_or_saveexec_b32 s1, s1
	v_mov_b32_e32 v3, 0x7f800001
	s_wait_alu 0xfffe
	s_xor_b32 exec_lo, exec_lo, s1
	s_cbranch_execz .LBB6_534
.LBB6_1016:
	v_cmp_ne_u16_e32 vcc_lo, 0, v19
	v_mov_b32_e32 v3, 0
	s_and_not1_b32 s0, s0, exec_lo
	s_and_b32 s2, vcc_lo, exec_lo
	s_wait_alu 0xfffe
	s_or_b32 s0, s0, s2
	s_or_b32 exec_lo, exec_lo, s1
	s_wait_alu 0xfffe
	s_and_saveexec_b32 s1, s0
	s_cbranch_execnz .LBB6_535
	s_branch .LBB6_536
.LBB6_1017:
	s_mov_b32 s0, -1
	s_mov_b32 s2, exec_lo
	v_cmpx_eq_u16_e32 0x80, v19
; %bb.1018:
	s_xor_b32 s0, exec_lo, -1
; %bb.1019:
	s_wait_alu 0xfffe
	s_or_b32 exec_lo, exec_lo, s2
	s_delay_alu instid0(SALU_CYCLE_1)
	s_and_b32 s0, s0, exec_lo
                                        ; implicit-def: $vgpr19
	s_or_saveexec_b32 s1, s1
	v_mov_b32_e32 v9, 0x7f800001
	s_wait_alu 0xfffe
	s_xor_b32 exec_lo, exec_lo, s1
	s_cbranch_execz .LBB6_538
.LBB6_1020:
	v_cmp_ne_u16_e32 vcc_lo, 0, v19
	v_mov_b32_e32 v9, 0
	s_and_not1_b32 s0, s0, exec_lo
	s_and_b32 s2, vcc_lo, exec_lo
	s_wait_alu 0xfffe
	s_or_b32 s0, s0, s2
	s_or_b32 exec_lo, exec_lo, s1
	s_wait_alu 0xfffe
	s_and_saveexec_b32 s1, s0
	s_cbranch_execnz .LBB6_539
	s_branch .LBB6_540
.LBB6_1021:
	s_mov_b32 s0, -1
	s_mov_b32 s2, exec_lo
	v_cmpx_eq_u16_e32 0x80, v7
; %bb.1022:
	s_xor_b32 s0, exec_lo, -1
; %bb.1023:
	s_wait_alu 0xfffe
	s_or_b32 exec_lo, exec_lo, s2
	s_delay_alu instid0(SALU_CYCLE_1)
	s_and_b32 s0, s0, exec_lo
	s_or_saveexec_b32 s1, s1
	v_mov_b32_e32 v8, 0x7f800001
	s_wait_alu 0xfffe
	s_xor_b32 exec_lo, exec_lo, s1
	s_cbranch_execz .LBB6_542
.LBB6_1024:
	v_cmp_ne_u16_e32 vcc_lo, 0, v7
	v_mov_b32_e32 v8, 0
	s_and_not1_b32 s0, s0, exec_lo
	s_and_b32 s2, vcc_lo, exec_lo
	s_wait_alu 0xfffe
	s_or_b32 s0, s0, s2
	s_or_b32 exec_lo, exec_lo, s1
	s_wait_alu 0xfffe
	s_and_saveexec_b32 s1, s0
	s_cbranch_execnz .LBB6_543
	s_branch .LBB6_544
.Lfunc_end6:
	.size	_ZNK2ck32ThreadwiseTensorSliceTransfer_v4INS_9f8_fnuz_tEDF16_KNS_16TensorDescriptorINS_5TupleIJNS_5EmbedINS3_IJNS_17integral_constantIiLi16EEENS5_IiLi32EEES6_EEENS3_IJS6_NS5_IiLi256EEENS5_IiLi1EEEEEELb0EEENS_3XorINS3_IJS7_S6_EEELb1EEENS_11PassThroughIS6_EENS_7UnMergeINS3_IJS6_SA_EEELb0EEENSG_IS7_EESH_SH_NS_21Merge_v3_division_modINS3_IJS7_SA_EEEEESH_NSM_INS3_IJS6_S6_EEEEENSI_INS3_IJSA_NS5_IiLi2EEES6_EEELb0EEEEEENS3_IJNS_8SequenceIJLi0EEEENSV_IJLi2ELi1EEEENSV_IJLi3EEEENSV_IJLi5EEEENSV_IJLi4EEEENSV_IJLi6EEEENSV_IJLi7EEEENSV_IJLi9ELi8EEEENSV_IJLi10EEEENSV_IJLi11ELi13EEEENSV_IJLi12EEEEEEENS3_IJNSV_IJLi1ELi2ELi3EEEENSV_IJLi4ELi5EEEES11_NSV_IJLi7ELi8EEEENSV_IJLi9EEEES14_NSV_IJLi11EEEES16_NSV_IJLi13EEEENSV_IJLi14EEEENSV_IJLi15ELi16ELi17EEEEEEENSV_IJLi15ELi16ELi17ELi14EEEENS5_IlLl8192EEEEEKNS2_INS3_IJNS4_INS3_IJSA_SA_SA_NS5_IiLi128EEEEEENS3_IJS1L_S1L_S1L_SA_EEELb0EEEEEENS3_IJSW_EEENS3_IJNSV_IJLi1ELi2ELi3ELi4EEEEEEES1R_NS5_IlLl128EEEEENSV_IJLi1ELi1ELi1ELi128EEEENSV_IJLi0ELi1ELi2ELi3EEEELi3ELi16ELi16ELb0EE3RunINS3_IJNS5_IiLi0EEES20_S20_S20_EEES21_NS_13DynamicBufferILNS_16AddressSpaceEnumE2ES1_S1I_Lb1ELNS_22AmdBufferCoherenceEnumE0EiEENS_12StaticBufferILS23_4EDF16_Li128ELb1EEEEEvRS1K_RKT_RKT1_RS1V_RKT0_RT2_, .Lfunc_end6-_ZNK2ck32ThreadwiseTensorSliceTransfer_v4INS_9f8_fnuz_tEDF16_KNS_16TensorDescriptorINS_5TupleIJNS_5EmbedINS3_IJNS_17integral_constantIiLi16EEENS5_IiLi32EEES6_EEENS3_IJS6_NS5_IiLi256EEENS5_IiLi1EEEEEELb0EEENS_3XorINS3_IJS7_S6_EEELb1EEENS_11PassThroughIS6_EENS_7UnMergeINS3_IJS6_SA_EEELb0EEENSG_IS7_EESH_SH_NS_21Merge_v3_division_modINS3_IJS7_SA_EEEEESH_NSM_INS3_IJS6_S6_EEEEENSI_INS3_IJSA_NS5_IiLi2EEES6_EEELb0EEEEEENS3_IJNS_8SequenceIJLi0EEEENSV_IJLi2ELi1EEEENSV_IJLi3EEEENSV_IJLi5EEEENSV_IJLi4EEEENSV_IJLi6EEEENSV_IJLi7EEEENSV_IJLi9ELi8EEEENSV_IJLi10EEEENSV_IJLi11ELi13EEEENSV_IJLi12EEEEEEENS3_IJNSV_IJLi1ELi2ELi3EEEENSV_IJLi4ELi5EEEES11_NSV_IJLi7ELi8EEEENSV_IJLi9EEEES14_NSV_IJLi11EEEES16_NSV_IJLi13EEEENSV_IJLi14EEEENSV_IJLi15ELi16ELi17EEEEEEENSV_IJLi15ELi16ELi17ELi14EEEENS5_IlLl8192EEEEEKNS2_INS3_IJNS4_INS3_IJSA_SA_SA_NS5_IiLi128EEEEEENS3_IJS1L_S1L_S1L_SA_EEELb0EEEEEENS3_IJSW_EEENS3_IJNSV_IJLi1ELi2ELi3ELi4EEEEEEES1R_NS5_IlLl128EEEEENSV_IJLi1ELi1ELi1ELi128EEEENSV_IJLi0ELi1ELi2ELi3EEEELi3ELi16ELi16ELb0EE3RunINS3_IJNS5_IiLi0EEES20_S20_S20_EEES21_NS_13DynamicBufferILNS_16AddressSpaceEnumE2ES1_S1I_Lb1ELNS_22AmdBufferCoherenceEnumE0EiEENS_12StaticBufferILS23_4EDF16_Li128ELb1EEEEEvRS1K_RKT_RKT1_RS1V_RKT0_RT2_
                                        ; -- End function
	.set .L_ZNK2ck32ThreadwiseTensorSliceTransfer_v4INS_9f8_fnuz_tEDF16_KNS_16TensorDescriptorINS_5TupleIJNS_5EmbedINS3_IJNS_17integral_constantIiLi16EEENS5_IiLi32EEES6_EEENS3_IJS6_NS5_IiLi256EEENS5_IiLi1EEEEEELb0EEENS_3XorINS3_IJS7_S6_EEELb1EEENS_11PassThroughIS6_EENS_7UnMergeINS3_IJS6_SA_EEELb0EEENSG_IS7_EESH_SH_NS_21Merge_v3_division_modINS3_IJS7_SA_EEEEESH_NSM_INS3_IJS6_S6_EEEEENSI_INS3_IJSA_NS5_IiLi2EEES6_EEELb0EEEEEENS3_IJNS_8SequenceIJLi0EEEENSV_IJLi2ELi1EEEENSV_IJLi3EEEENSV_IJLi5EEEENSV_IJLi4EEEENSV_IJLi6EEEENSV_IJLi7EEEENSV_IJLi9ELi8EEEENSV_IJLi10EEEENSV_IJLi11ELi13EEEENSV_IJLi12EEEEEEENS3_IJNSV_IJLi1ELi2ELi3EEEENSV_IJLi4ELi5EEEES11_NSV_IJLi7ELi8EEEENSV_IJLi9EEEES14_NSV_IJLi11EEEES16_NSV_IJLi13EEEENSV_IJLi14EEEENSV_IJLi15ELi16ELi17EEEEEEENSV_IJLi15ELi16ELi17ELi14EEEENS5_IlLl8192EEEEEKNS2_INS3_IJNS4_INS3_IJSA_SA_SA_NS5_IiLi128EEEEEENS3_IJS1L_S1L_S1L_SA_EEELb0EEEEEENS3_IJSW_EEENS3_IJNSV_IJLi1ELi2ELi3ELi4EEEEEEES1R_NS5_IlLl128EEEEENSV_IJLi1ELi1ELi1ELi128EEEENSV_IJLi0ELi1ELi2ELi3EEEELi3ELi16ELi16ELb0EE3RunINS3_IJNS5_IiLi0EEES20_S20_S20_EEES21_NS_13DynamicBufferILNS_16AddressSpaceEnumE2ES1_S1I_Lb1ELNS_22AmdBufferCoherenceEnumE0EiEENS_12StaticBufferILS23_4EDF16_Li128ELb1EEEEEvRS1K_RKT_RKT1_RS1V_RKT0_RT2_.num_vgpr, 29
	.set .L_ZNK2ck32ThreadwiseTensorSliceTransfer_v4INS_9f8_fnuz_tEDF16_KNS_16TensorDescriptorINS_5TupleIJNS_5EmbedINS3_IJNS_17integral_constantIiLi16EEENS5_IiLi32EEES6_EEENS3_IJS6_NS5_IiLi256EEENS5_IiLi1EEEEEELb0EEENS_3XorINS3_IJS7_S6_EEELb1EEENS_11PassThroughIS6_EENS_7UnMergeINS3_IJS6_SA_EEELb0EEENSG_IS7_EESH_SH_NS_21Merge_v3_division_modINS3_IJS7_SA_EEEEESH_NSM_INS3_IJS6_S6_EEEEENSI_INS3_IJSA_NS5_IiLi2EEES6_EEELb0EEEEEENS3_IJNS_8SequenceIJLi0EEEENSV_IJLi2ELi1EEEENSV_IJLi3EEEENSV_IJLi5EEEENSV_IJLi4EEEENSV_IJLi6EEEENSV_IJLi7EEEENSV_IJLi9ELi8EEEENSV_IJLi10EEEENSV_IJLi11ELi13EEEENSV_IJLi12EEEEEEENS3_IJNSV_IJLi1ELi2ELi3EEEENSV_IJLi4ELi5EEEES11_NSV_IJLi7ELi8EEEENSV_IJLi9EEEES14_NSV_IJLi11EEEES16_NSV_IJLi13EEEENSV_IJLi14EEEENSV_IJLi15ELi16ELi17EEEEEEENSV_IJLi15ELi16ELi17ELi14EEEENS5_IlLl8192EEEEEKNS2_INS3_IJNS4_INS3_IJSA_SA_SA_NS5_IiLi128EEEEEENS3_IJS1L_S1L_S1L_SA_EEELb0EEEEEENS3_IJSW_EEENS3_IJNSV_IJLi1ELi2ELi3ELi4EEEEEEES1R_NS5_IlLl128EEEEENSV_IJLi1ELi1ELi1ELi128EEEENSV_IJLi0ELi1ELi2ELi3EEEELi3ELi16ELi16ELb0EE3RunINS3_IJNS5_IiLi0EEES20_S20_S20_EEES21_NS_13DynamicBufferILNS_16AddressSpaceEnumE2ES1_S1I_Lb1ELNS_22AmdBufferCoherenceEnumE0EiEENS_12StaticBufferILS23_4EDF16_Li128ELb1EEEEEvRS1K_RKT_RKT1_RS1V_RKT0_RT2_.num_agpr, 0
	.set .L_ZNK2ck32ThreadwiseTensorSliceTransfer_v4INS_9f8_fnuz_tEDF16_KNS_16TensorDescriptorINS_5TupleIJNS_5EmbedINS3_IJNS_17integral_constantIiLi16EEENS5_IiLi32EEES6_EEENS3_IJS6_NS5_IiLi256EEENS5_IiLi1EEEEEELb0EEENS_3XorINS3_IJS7_S6_EEELb1EEENS_11PassThroughIS6_EENS_7UnMergeINS3_IJS6_SA_EEELb0EEENSG_IS7_EESH_SH_NS_21Merge_v3_division_modINS3_IJS7_SA_EEEEESH_NSM_INS3_IJS6_S6_EEEEENSI_INS3_IJSA_NS5_IiLi2EEES6_EEELb0EEEEEENS3_IJNS_8SequenceIJLi0EEEENSV_IJLi2ELi1EEEENSV_IJLi3EEEENSV_IJLi5EEEENSV_IJLi4EEEENSV_IJLi6EEEENSV_IJLi7EEEENSV_IJLi9ELi8EEEENSV_IJLi10EEEENSV_IJLi11ELi13EEEENSV_IJLi12EEEEEEENS3_IJNSV_IJLi1ELi2ELi3EEEENSV_IJLi4ELi5EEEES11_NSV_IJLi7ELi8EEEENSV_IJLi9EEEES14_NSV_IJLi11EEEES16_NSV_IJLi13EEEENSV_IJLi14EEEENSV_IJLi15ELi16ELi17EEEEEEENSV_IJLi15ELi16ELi17ELi14EEEENS5_IlLl8192EEEEEKNS2_INS3_IJNS4_INS3_IJSA_SA_SA_NS5_IiLi128EEEEEENS3_IJS1L_S1L_S1L_SA_EEELb0EEEEEENS3_IJSW_EEENS3_IJNSV_IJLi1ELi2ELi3ELi4EEEEEEES1R_NS5_IlLl128EEEEENSV_IJLi1ELi1ELi1ELi128EEEENSV_IJLi0ELi1ELi2ELi3EEEELi3ELi16ELi16ELb0EE3RunINS3_IJNS5_IiLi0EEES20_S20_S20_EEES21_NS_13DynamicBufferILNS_16AddressSpaceEnumE2ES1_S1I_Lb1ELNS_22AmdBufferCoherenceEnumE0EiEENS_12StaticBufferILS23_4EDF16_Li128ELb1EEEEEvRS1K_RKT_RKT1_RS1V_RKT0_RT2_.numbered_sgpr, 32
	.set .L_ZNK2ck32ThreadwiseTensorSliceTransfer_v4INS_9f8_fnuz_tEDF16_KNS_16TensorDescriptorINS_5TupleIJNS_5EmbedINS3_IJNS_17integral_constantIiLi16EEENS5_IiLi32EEES6_EEENS3_IJS6_NS5_IiLi256EEENS5_IiLi1EEEEEELb0EEENS_3XorINS3_IJS7_S6_EEELb1EEENS_11PassThroughIS6_EENS_7UnMergeINS3_IJS6_SA_EEELb0EEENSG_IS7_EESH_SH_NS_21Merge_v3_division_modINS3_IJS7_SA_EEEEESH_NSM_INS3_IJS6_S6_EEEEENSI_INS3_IJSA_NS5_IiLi2EEES6_EEELb0EEEEEENS3_IJNS_8SequenceIJLi0EEEENSV_IJLi2ELi1EEEENSV_IJLi3EEEENSV_IJLi5EEEENSV_IJLi4EEEENSV_IJLi6EEEENSV_IJLi7EEEENSV_IJLi9ELi8EEEENSV_IJLi10EEEENSV_IJLi11ELi13EEEENSV_IJLi12EEEEEEENS3_IJNSV_IJLi1ELi2ELi3EEEENSV_IJLi4ELi5EEEES11_NSV_IJLi7ELi8EEEENSV_IJLi9EEEES14_NSV_IJLi11EEEES16_NSV_IJLi13EEEENSV_IJLi14EEEENSV_IJLi15ELi16ELi17EEEEEEENSV_IJLi15ELi16ELi17ELi14EEEENS5_IlLl8192EEEEEKNS2_INS3_IJNS4_INS3_IJSA_SA_SA_NS5_IiLi128EEEEEENS3_IJS1L_S1L_S1L_SA_EEELb0EEEEEENS3_IJSW_EEENS3_IJNSV_IJLi1ELi2ELi3ELi4EEEEEEES1R_NS5_IlLl128EEEEENSV_IJLi1ELi1ELi1ELi128EEEENSV_IJLi0ELi1ELi2ELi3EEEELi3ELi16ELi16ELb0EE3RunINS3_IJNS5_IiLi0EEES20_S20_S20_EEES21_NS_13DynamicBufferILNS_16AddressSpaceEnumE2ES1_S1I_Lb1ELNS_22AmdBufferCoherenceEnumE0EiEENS_12StaticBufferILS23_4EDF16_Li128ELb1EEEEEvRS1K_RKT_RKT1_RS1V_RKT0_RT2_.num_named_barrier, 0
	.set .L_ZNK2ck32ThreadwiseTensorSliceTransfer_v4INS_9f8_fnuz_tEDF16_KNS_16TensorDescriptorINS_5TupleIJNS_5EmbedINS3_IJNS_17integral_constantIiLi16EEENS5_IiLi32EEES6_EEENS3_IJS6_NS5_IiLi256EEENS5_IiLi1EEEEEELb0EEENS_3XorINS3_IJS7_S6_EEELb1EEENS_11PassThroughIS6_EENS_7UnMergeINS3_IJS6_SA_EEELb0EEENSG_IS7_EESH_SH_NS_21Merge_v3_division_modINS3_IJS7_SA_EEEEESH_NSM_INS3_IJS6_S6_EEEEENSI_INS3_IJSA_NS5_IiLi2EEES6_EEELb0EEEEEENS3_IJNS_8SequenceIJLi0EEEENSV_IJLi2ELi1EEEENSV_IJLi3EEEENSV_IJLi5EEEENSV_IJLi4EEEENSV_IJLi6EEEENSV_IJLi7EEEENSV_IJLi9ELi8EEEENSV_IJLi10EEEENSV_IJLi11ELi13EEEENSV_IJLi12EEEEEEENS3_IJNSV_IJLi1ELi2ELi3EEEENSV_IJLi4ELi5EEEES11_NSV_IJLi7ELi8EEEENSV_IJLi9EEEES14_NSV_IJLi11EEEES16_NSV_IJLi13EEEENSV_IJLi14EEEENSV_IJLi15ELi16ELi17EEEEEEENSV_IJLi15ELi16ELi17ELi14EEEENS5_IlLl8192EEEEEKNS2_INS3_IJNS4_INS3_IJSA_SA_SA_NS5_IiLi128EEEEEENS3_IJS1L_S1L_S1L_SA_EEELb0EEEEEENS3_IJSW_EEENS3_IJNSV_IJLi1ELi2ELi3ELi4EEEEEEES1R_NS5_IlLl128EEEEENSV_IJLi1ELi1ELi1ELi128EEEENSV_IJLi0ELi1ELi2ELi3EEEELi3ELi16ELi16ELb0EE3RunINS3_IJNS5_IiLi0EEES20_S20_S20_EEES21_NS_13DynamicBufferILNS_16AddressSpaceEnumE2ES1_S1I_Lb1ELNS_22AmdBufferCoherenceEnumE0EiEENS_12StaticBufferILS23_4EDF16_Li128ELb1EEEEEvRS1K_RKT_RKT1_RS1V_RKT0_RT2_.private_seg_size, 0
	.set .L_ZNK2ck32ThreadwiseTensorSliceTransfer_v4INS_9f8_fnuz_tEDF16_KNS_16TensorDescriptorINS_5TupleIJNS_5EmbedINS3_IJNS_17integral_constantIiLi16EEENS5_IiLi32EEES6_EEENS3_IJS6_NS5_IiLi256EEENS5_IiLi1EEEEEELb0EEENS_3XorINS3_IJS7_S6_EEELb1EEENS_11PassThroughIS6_EENS_7UnMergeINS3_IJS6_SA_EEELb0EEENSG_IS7_EESH_SH_NS_21Merge_v3_division_modINS3_IJS7_SA_EEEEESH_NSM_INS3_IJS6_S6_EEEEENSI_INS3_IJSA_NS5_IiLi2EEES6_EEELb0EEEEEENS3_IJNS_8SequenceIJLi0EEEENSV_IJLi2ELi1EEEENSV_IJLi3EEEENSV_IJLi5EEEENSV_IJLi4EEEENSV_IJLi6EEEENSV_IJLi7EEEENSV_IJLi9ELi8EEEENSV_IJLi10EEEENSV_IJLi11ELi13EEEENSV_IJLi12EEEEEEENS3_IJNSV_IJLi1ELi2ELi3EEEENSV_IJLi4ELi5EEEES11_NSV_IJLi7ELi8EEEENSV_IJLi9EEEES14_NSV_IJLi11EEEES16_NSV_IJLi13EEEENSV_IJLi14EEEENSV_IJLi15ELi16ELi17EEEEEEENSV_IJLi15ELi16ELi17ELi14EEEENS5_IlLl8192EEEEEKNS2_INS3_IJNS4_INS3_IJSA_SA_SA_NS5_IiLi128EEEEEENS3_IJS1L_S1L_S1L_SA_EEELb0EEEEEENS3_IJSW_EEENS3_IJNSV_IJLi1ELi2ELi3ELi4EEEEEEES1R_NS5_IlLl128EEEEENSV_IJLi1ELi1ELi1ELi128EEEENSV_IJLi0ELi1ELi2ELi3EEEELi3ELi16ELi16ELb0EE3RunINS3_IJNS5_IiLi0EEES20_S20_S20_EEES21_NS_13DynamicBufferILNS_16AddressSpaceEnumE2ES1_S1I_Lb1ELNS_22AmdBufferCoherenceEnumE0EiEENS_12StaticBufferILS23_4EDF16_Li128ELb1EEEEEvRS1K_RKT_RKT1_RS1V_RKT0_RT2_.uses_vcc, 1
	.set .L_ZNK2ck32ThreadwiseTensorSliceTransfer_v4INS_9f8_fnuz_tEDF16_KNS_16TensorDescriptorINS_5TupleIJNS_5EmbedINS3_IJNS_17integral_constantIiLi16EEENS5_IiLi32EEES6_EEENS3_IJS6_NS5_IiLi256EEENS5_IiLi1EEEEEELb0EEENS_3XorINS3_IJS7_S6_EEELb1EEENS_11PassThroughIS6_EENS_7UnMergeINS3_IJS6_SA_EEELb0EEENSG_IS7_EESH_SH_NS_21Merge_v3_division_modINS3_IJS7_SA_EEEEESH_NSM_INS3_IJS6_S6_EEEEENSI_INS3_IJSA_NS5_IiLi2EEES6_EEELb0EEEEEENS3_IJNS_8SequenceIJLi0EEEENSV_IJLi2ELi1EEEENSV_IJLi3EEEENSV_IJLi5EEEENSV_IJLi4EEEENSV_IJLi6EEEENSV_IJLi7EEEENSV_IJLi9ELi8EEEENSV_IJLi10EEEENSV_IJLi11ELi13EEEENSV_IJLi12EEEEEEENS3_IJNSV_IJLi1ELi2ELi3EEEENSV_IJLi4ELi5EEEES11_NSV_IJLi7ELi8EEEENSV_IJLi9EEEES14_NSV_IJLi11EEEES16_NSV_IJLi13EEEENSV_IJLi14EEEENSV_IJLi15ELi16ELi17EEEEEEENSV_IJLi15ELi16ELi17ELi14EEEENS5_IlLl8192EEEEEKNS2_INS3_IJNS4_INS3_IJSA_SA_SA_NS5_IiLi128EEEEEENS3_IJS1L_S1L_S1L_SA_EEELb0EEEEEENS3_IJSW_EEENS3_IJNSV_IJLi1ELi2ELi3ELi4EEEEEEES1R_NS5_IlLl128EEEEENSV_IJLi1ELi1ELi1ELi128EEEENSV_IJLi0ELi1ELi2ELi3EEEELi3ELi16ELi16ELb0EE3RunINS3_IJNS5_IiLi0EEES20_S20_S20_EEES21_NS_13DynamicBufferILNS_16AddressSpaceEnumE2ES1_S1I_Lb1ELNS_22AmdBufferCoherenceEnumE0EiEENS_12StaticBufferILS23_4EDF16_Li128ELb1EEEEEvRS1K_RKT_RKT1_RS1V_RKT0_RT2_.uses_flat_scratch, 1
	.set .L_ZNK2ck32ThreadwiseTensorSliceTransfer_v4INS_9f8_fnuz_tEDF16_KNS_16TensorDescriptorINS_5TupleIJNS_5EmbedINS3_IJNS_17integral_constantIiLi16EEENS5_IiLi32EEES6_EEENS3_IJS6_NS5_IiLi256EEENS5_IiLi1EEEEEELb0EEENS_3XorINS3_IJS7_S6_EEELb1EEENS_11PassThroughIS6_EENS_7UnMergeINS3_IJS6_SA_EEELb0EEENSG_IS7_EESH_SH_NS_21Merge_v3_division_modINS3_IJS7_SA_EEEEESH_NSM_INS3_IJS6_S6_EEEEENSI_INS3_IJSA_NS5_IiLi2EEES6_EEELb0EEEEEENS3_IJNS_8SequenceIJLi0EEEENSV_IJLi2ELi1EEEENSV_IJLi3EEEENSV_IJLi5EEEENSV_IJLi4EEEENSV_IJLi6EEEENSV_IJLi7EEEENSV_IJLi9ELi8EEEENSV_IJLi10EEEENSV_IJLi11ELi13EEEENSV_IJLi12EEEEEEENS3_IJNSV_IJLi1ELi2ELi3EEEENSV_IJLi4ELi5EEEES11_NSV_IJLi7ELi8EEEENSV_IJLi9EEEES14_NSV_IJLi11EEEES16_NSV_IJLi13EEEENSV_IJLi14EEEENSV_IJLi15ELi16ELi17EEEEEEENSV_IJLi15ELi16ELi17ELi14EEEENS5_IlLl8192EEEEEKNS2_INS3_IJNS4_INS3_IJSA_SA_SA_NS5_IiLi128EEEEEENS3_IJS1L_S1L_S1L_SA_EEELb0EEEEEENS3_IJSW_EEENS3_IJNSV_IJLi1ELi2ELi3ELi4EEEEEEES1R_NS5_IlLl128EEEEENSV_IJLi1ELi1ELi1ELi128EEEENSV_IJLi0ELi1ELi2ELi3EEEELi3ELi16ELi16ELb0EE3RunINS3_IJNS5_IiLi0EEES20_S20_S20_EEES21_NS_13DynamicBufferILNS_16AddressSpaceEnumE2ES1_S1I_Lb1ELNS_22AmdBufferCoherenceEnumE0EiEENS_12StaticBufferILS23_4EDF16_Li128ELb1EEEEEvRS1K_RKT_RKT1_RS1V_RKT0_RT2_.has_dyn_sized_stack, 0
	.set .L_ZNK2ck32ThreadwiseTensorSliceTransfer_v4INS_9f8_fnuz_tEDF16_KNS_16TensorDescriptorINS_5TupleIJNS_5EmbedINS3_IJNS_17integral_constantIiLi16EEENS5_IiLi32EEES6_EEENS3_IJS6_NS5_IiLi256EEENS5_IiLi1EEEEEELb0EEENS_3XorINS3_IJS7_S6_EEELb1EEENS_11PassThroughIS6_EENS_7UnMergeINS3_IJS6_SA_EEELb0EEENSG_IS7_EESH_SH_NS_21Merge_v3_division_modINS3_IJS7_SA_EEEEESH_NSM_INS3_IJS6_S6_EEEEENSI_INS3_IJSA_NS5_IiLi2EEES6_EEELb0EEEEEENS3_IJNS_8SequenceIJLi0EEEENSV_IJLi2ELi1EEEENSV_IJLi3EEEENSV_IJLi5EEEENSV_IJLi4EEEENSV_IJLi6EEEENSV_IJLi7EEEENSV_IJLi9ELi8EEEENSV_IJLi10EEEENSV_IJLi11ELi13EEEENSV_IJLi12EEEEEEENS3_IJNSV_IJLi1ELi2ELi3EEEENSV_IJLi4ELi5EEEES11_NSV_IJLi7ELi8EEEENSV_IJLi9EEEES14_NSV_IJLi11EEEES16_NSV_IJLi13EEEENSV_IJLi14EEEENSV_IJLi15ELi16ELi17EEEEEEENSV_IJLi15ELi16ELi17ELi14EEEENS5_IlLl8192EEEEEKNS2_INS3_IJNS4_INS3_IJSA_SA_SA_NS5_IiLi128EEEEEENS3_IJS1L_S1L_S1L_SA_EEELb0EEEEEENS3_IJSW_EEENS3_IJNSV_IJLi1ELi2ELi3ELi4EEEEEEES1R_NS5_IlLl128EEEEENSV_IJLi1ELi1ELi1ELi128EEEENSV_IJLi0ELi1ELi2ELi3EEEELi3ELi16ELi16ELb0EE3RunINS3_IJNS5_IiLi0EEES20_S20_S20_EEES21_NS_13DynamicBufferILNS_16AddressSpaceEnumE2ES1_S1I_Lb1ELNS_22AmdBufferCoherenceEnumE0EiEENS_12StaticBufferILS23_4EDF16_Li128ELb1EEEEEvRS1K_RKT_RKT1_RS1V_RKT0_RT2_.has_recursion, 0
	.set .L_ZNK2ck32ThreadwiseTensorSliceTransfer_v4INS_9f8_fnuz_tEDF16_KNS_16TensorDescriptorINS_5TupleIJNS_5EmbedINS3_IJNS_17integral_constantIiLi16EEENS5_IiLi32EEES6_EEENS3_IJS6_NS5_IiLi256EEENS5_IiLi1EEEEEELb0EEENS_3XorINS3_IJS7_S6_EEELb1EEENS_11PassThroughIS6_EENS_7UnMergeINS3_IJS6_SA_EEELb0EEENSG_IS7_EESH_SH_NS_21Merge_v3_division_modINS3_IJS7_SA_EEEEESH_NSM_INS3_IJS6_S6_EEEEENSI_INS3_IJSA_NS5_IiLi2EEES6_EEELb0EEEEEENS3_IJNS_8SequenceIJLi0EEEENSV_IJLi2ELi1EEEENSV_IJLi3EEEENSV_IJLi5EEEENSV_IJLi4EEEENSV_IJLi6EEEENSV_IJLi7EEEENSV_IJLi9ELi8EEEENSV_IJLi10EEEENSV_IJLi11ELi13EEEENSV_IJLi12EEEEEEENS3_IJNSV_IJLi1ELi2ELi3EEEENSV_IJLi4ELi5EEEES11_NSV_IJLi7ELi8EEEENSV_IJLi9EEEES14_NSV_IJLi11EEEES16_NSV_IJLi13EEEENSV_IJLi14EEEENSV_IJLi15ELi16ELi17EEEEEEENSV_IJLi15ELi16ELi17ELi14EEEENS5_IlLl8192EEEEEKNS2_INS3_IJNS4_INS3_IJSA_SA_SA_NS5_IiLi128EEEEEENS3_IJS1L_S1L_S1L_SA_EEELb0EEEEEENS3_IJSW_EEENS3_IJNSV_IJLi1ELi2ELi3ELi4EEEEEEES1R_NS5_IlLl128EEEEENSV_IJLi1ELi1ELi1ELi128EEEENSV_IJLi0ELi1ELi2ELi3EEEELi3ELi16ELi16ELb0EE3RunINS3_IJNS5_IiLi0EEES20_S20_S20_EEES21_NS_13DynamicBufferILNS_16AddressSpaceEnumE2ES1_S1I_Lb1ELNS_22AmdBufferCoherenceEnumE0EiEENS_12StaticBufferILS23_4EDF16_Li128ELb1EEEEEvRS1K_RKT_RKT1_RS1V_RKT0_RT2_.has_indirect_call, 0
	.section	.AMDGPU.csdata,"",@progbits
; Function info:
; codeLenInByte = 41332
; TotalNumSgprs: 34
; NumVgprs: 29
; ScratchSize: 0
; MemoryBound: 0
	.text
	.p2align	2                               ; -- Begin function _ZNK2ck31BlockwiseGemmXdlops_pipeline_v1ILNS_26BlockGemmPipelineSchedulerE1ELi64EDF16_NS_9f8_fnuz_tEDF16_fNS_16TensorDescriptorINS_5TupleIJNS_5EmbedINS4_IJNS_17integral_constantIiLi32EEES7_NS6_IiLi8EEEEEENS4_IJS8_NS6_IiLi256EEENS6_IiLi1EEEEEELb0EEENS_3XorINS4_IJS7_S7_EEELb1EEENS_11PassThroughIS8_EENS_7UnMergeINS4_IJS7_SB_EEELb0EEENSH_IS7_EESI_SM_NS_21Merge_v3_division_modISK_EESI_EEENS4_IJNS_8SequenceIJLi0EEEENSQ_IJLi2ELi1EEEENSQ_IJLi3EEEENSQ_IJLi5EEEENSQ_IJLi4EEEENSQ_IJLi6EEEENSQ_IJLi7EEEENSQ_IJLi9ELi8EEEENSQ_IJLi10EEEEEEENS4_IJNSQ_IJLi1ELi2ELi3EEEENSQ_IJLi4ELi5EEEESW_NSQ_IJLi7ELi8EEEENSQ_IJLi9EEEESZ_NSQ_IJLi11EEEENSQ_IJLi12EEEENSQ_IJLi13EEEEEEENSQ_IJLi11ELi12ELi13EEEENS6_IlLl8192EEEEENS3_INS4_IJNS5_INS4_IJNS6_IiLi16EEES7_S1C_EEENS4_IJS1C_SA_SB_EEELb0EEENSE_INS4_IJS7_S1C_EEELb1EEENSH_IS1C_EENSJ_INS4_IJS1C_SB_EEELb0EEESM_S1I_S1I_SO_S1I_EEES10_S18_S19_S1A_EENS3_INS4_IJSD_SG_SI_SL_SM_SI_SM_SO_SI_NSN_INS4_IJS7_S8_EEEEENSJ_INS4_IJNS6_IiLi2EEESB_S1C_EEELb0EEEEEENS4_IJSR_SS_ST_SU_SV_SW_SX_SY_SZ_NSQ_IJLi11ELi13EEEES16_EEENS4_IJS11_S12_SW_S13_S14_SZ_S15_S16_S17_NSQ_IJLi14EEEENSQ_IJLi15ELi16ELi17EEEEEEENSQ_IJLi15ELi16ELi17ELi14EEEES1A_EENS3_INS4_IJS1F_S1H_S1I_S1K_SM_S1I_S1I_SO_S1I_NSN_INS4_IJS1C_S1C_EEEEENSJ_INS4_IJSB_S1P_S1C_EEELb0EEEEEES1U_S1X_S1Y_S1A_EELi8ELi16ELi32ELi32ELi256ELi16ELi16ELi2ELi1ELi16ELb1EE3RunILb1ELNS_10TailNumberE10ENS3_INS4_IJNS5_INS4_IJiiEEENS4_IJiSB_EEELb0EEENSJ_IS29_Lb0EEENSH_IiEEEEENS4_IJSR_NSQ_IJLi2EEEENSQ_IJLi1EEEEEEENS4_IJNSQ_IJLi1ELi2EEEENSQ_IJLi3ELi4EEEESU_EEENSQ_IJLi3ELi5ELi4EEEElEES1B_NS_35ThreadGroupTensorSliceTransfer_v4r1INS_15ThisThreadBlockILi64EEENS_16tensor_operation12element_wise11PassThroughES2S_LNS_25InMemoryDataOperationEnumE0ENSQ_IJLi32ELi32ELi8EEEENSQ_IJLi32ELi2ELi1EEEENSQ_IJLi1ELi0ELi2EEEEDF16_DF16_RKS2M_KS1B_S2W_NSQ_IJLi0ELi1ELi2EEEELi2ELi2ELi8ELi8ELi1ELi1ELb0ELb1ELi1EiEENS_13DynamicBufferILNS_16AddressSpaceEnumE1EKDF16_lLb1ELNS_22AmdBufferCoherenceEnumE0EiEENS32_ILS33_2EDF16_S1A_Lb1ELS35_0EiEENS4_IJiiiEEES2M_S1M_NS2N_IS2P_S2S_S2S_LS2T_0ENSQ_IJLi16ELi32ELi16EEEENSQ_IJLi16ELi4ELi1EEEES2W_S2_S2_S2Y_KS1M_S2W_S30_Li2ELi2ELi16ELi16ELi1ELi1ELb0ELb1ELi1EiEENS32_ILS33_1EKS2_lLb1ELS35_0EiEENS32_ILS33_2ES2_S1A_Lb1ELS35_0EiEES38_NS_25StaticBufferTupleOfVectorILS33_4EfLi2ELi8ELb1ELb0EEEEEvRKT1_RKT2_RT3_RKT4_RT5_RKT6_RKT7_RKT8_RT9_RKT10_RT11_RKT12_RT13_i
	.type	_ZNK2ck31BlockwiseGemmXdlops_pipeline_v1ILNS_26BlockGemmPipelineSchedulerE1ELi64EDF16_NS_9f8_fnuz_tEDF16_fNS_16TensorDescriptorINS_5TupleIJNS_5EmbedINS4_IJNS_17integral_constantIiLi32EEES7_NS6_IiLi8EEEEEENS4_IJS8_NS6_IiLi256EEENS6_IiLi1EEEEEELb0EEENS_3XorINS4_IJS7_S7_EEELb1EEENS_11PassThroughIS8_EENS_7UnMergeINS4_IJS7_SB_EEELb0EEENSH_IS7_EESI_SM_NS_21Merge_v3_division_modISK_EESI_EEENS4_IJNS_8SequenceIJLi0EEEENSQ_IJLi2ELi1EEEENSQ_IJLi3EEEENSQ_IJLi5EEEENSQ_IJLi4EEEENSQ_IJLi6EEEENSQ_IJLi7EEEENSQ_IJLi9ELi8EEEENSQ_IJLi10EEEEEEENS4_IJNSQ_IJLi1ELi2ELi3EEEENSQ_IJLi4ELi5EEEESW_NSQ_IJLi7ELi8EEEENSQ_IJLi9EEEESZ_NSQ_IJLi11EEEENSQ_IJLi12EEEENSQ_IJLi13EEEEEEENSQ_IJLi11ELi12ELi13EEEENS6_IlLl8192EEEEENS3_INS4_IJNS5_INS4_IJNS6_IiLi16EEES7_S1C_EEENS4_IJS1C_SA_SB_EEELb0EEENSE_INS4_IJS7_S1C_EEELb1EEENSH_IS1C_EENSJ_INS4_IJS1C_SB_EEELb0EEESM_S1I_S1I_SO_S1I_EEES10_S18_S19_S1A_EENS3_INS4_IJSD_SG_SI_SL_SM_SI_SM_SO_SI_NSN_INS4_IJS7_S8_EEEEENSJ_INS4_IJNS6_IiLi2EEESB_S1C_EEELb0EEEEEENS4_IJSR_SS_ST_SU_SV_SW_SX_SY_SZ_NSQ_IJLi11ELi13EEEES16_EEENS4_IJS11_S12_SW_S13_S14_SZ_S15_S16_S17_NSQ_IJLi14EEEENSQ_IJLi15ELi16ELi17EEEEEEENSQ_IJLi15ELi16ELi17ELi14EEEES1A_EENS3_INS4_IJS1F_S1H_S1I_S1K_SM_S1I_S1I_SO_S1I_NSN_INS4_IJS1C_S1C_EEEEENSJ_INS4_IJSB_S1P_S1C_EEELb0EEEEEES1U_S1X_S1Y_S1A_EELi8ELi16ELi32ELi32ELi256ELi16ELi16ELi2ELi1ELi16ELb1EE3RunILb1ELNS_10TailNumberE10ENS3_INS4_IJNS5_INS4_IJiiEEENS4_IJiSB_EEELb0EEENSJ_IS29_Lb0EEENSH_IiEEEEENS4_IJSR_NSQ_IJLi2EEEENSQ_IJLi1EEEEEEENS4_IJNSQ_IJLi1ELi2EEEENSQ_IJLi3ELi4EEEESU_EEENSQ_IJLi3ELi5ELi4EEEElEES1B_NS_35ThreadGroupTensorSliceTransfer_v4r1INS_15ThisThreadBlockILi64EEENS_16tensor_operation12element_wise11PassThroughES2S_LNS_25InMemoryDataOperationEnumE0ENSQ_IJLi32ELi32ELi8EEEENSQ_IJLi32ELi2ELi1EEEENSQ_IJLi1ELi0ELi2EEEEDF16_DF16_RKS2M_KS1B_S2W_NSQ_IJLi0ELi1ELi2EEEELi2ELi2ELi8ELi8ELi1ELi1ELb0ELb1ELi1EiEENS_13DynamicBufferILNS_16AddressSpaceEnumE1EKDF16_lLb1ELNS_22AmdBufferCoherenceEnumE0EiEENS32_ILS33_2EDF16_S1A_Lb1ELS35_0EiEENS4_IJiiiEEES2M_S1M_NS2N_IS2P_S2S_S2S_LS2T_0ENSQ_IJLi16ELi32ELi16EEEENSQ_IJLi16ELi4ELi1EEEES2W_S2_S2_S2Y_KS1M_S2W_S30_Li2ELi2ELi16ELi16ELi1ELi1ELb0ELb1ELi1EiEENS32_ILS33_1EKS2_lLb1ELS35_0EiEENS32_ILS33_2ES2_S1A_Lb1ELS35_0EiEES38_NS_25StaticBufferTupleOfVectorILS33_4EfLi2ELi8ELb1ELb0EEEEEvRKT1_RKT2_RT3_RKT4_RT5_RKT6_RKT7_RKT8_RT9_RKT10_RT11_RKT12_RT13_i,@function
_ZNK2ck31BlockwiseGemmXdlops_pipeline_v1ILNS_26BlockGemmPipelineSchedulerE1ELi64EDF16_NS_9f8_fnuz_tEDF16_fNS_16TensorDescriptorINS_5TupleIJNS_5EmbedINS4_IJNS_17integral_constantIiLi32EEES7_NS6_IiLi8EEEEEENS4_IJS8_NS6_IiLi256EEENS6_IiLi1EEEEEELb0EEENS_3XorINS4_IJS7_S7_EEELb1EEENS_11PassThroughIS8_EENS_7UnMergeINS4_IJS7_SB_EEELb0EEENSH_IS7_EESI_SM_NS_21Merge_v3_division_modISK_EESI_EEENS4_IJNS_8SequenceIJLi0EEEENSQ_IJLi2ELi1EEEENSQ_IJLi3EEEENSQ_IJLi5EEEENSQ_IJLi4EEEENSQ_IJLi6EEEENSQ_IJLi7EEEENSQ_IJLi9ELi8EEEENSQ_IJLi10EEEEEEENS4_IJNSQ_IJLi1ELi2ELi3EEEENSQ_IJLi4ELi5EEEESW_NSQ_IJLi7ELi8EEEENSQ_IJLi9EEEESZ_NSQ_IJLi11EEEENSQ_IJLi12EEEENSQ_IJLi13EEEEEEENSQ_IJLi11ELi12ELi13EEEENS6_IlLl8192EEEEENS3_INS4_IJNS5_INS4_IJNS6_IiLi16EEES7_S1C_EEENS4_IJS1C_SA_SB_EEELb0EEENSE_INS4_IJS7_S1C_EEELb1EEENSH_IS1C_EENSJ_INS4_IJS1C_SB_EEELb0EEESM_S1I_S1I_SO_S1I_EEES10_S18_S19_S1A_EENS3_INS4_IJSD_SG_SI_SL_SM_SI_SM_SO_SI_NSN_INS4_IJS7_S8_EEEEENSJ_INS4_IJNS6_IiLi2EEESB_S1C_EEELb0EEEEEENS4_IJSR_SS_ST_SU_SV_SW_SX_SY_SZ_NSQ_IJLi11ELi13EEEES16_EEENS4_IJS11_S12_SW_S13_S14_SZ_S15_S16_S17_NSQ_IJLi14EEEENSQ_IJLi15ELi16ELi17EEEEEEENSQ_IJLi15ELi16ELi17ELi14EEEES1A_EENS3_INS4_IJS1F_S1H_S1I_S1K_SM_S1I_S1I_SO_S1I_NSN_INS4_IJS1C_S1C_EEEEENSJ_INS4_IJSB_S1P_S1C_EEELb0EEEEEES1U_S1X_S1Y_S1A_EELi8ELi16ELi32ELi32ELi256ELi16ELi16ELi2ELi1ELi16ELb1EE3RunILb1ELNS_10TailNumberE10ENS3_INS4_IJNS5_INS4_IJiiEEENS4_IJiSB_EEELb0EEENSJ_IS29_Lb0EEENSH_IiEEEEENS4_IJSR_NSQ_IJLi2EEEENSQ_IJLi1EEEEEEENS4_IJNSQ_IJLi1ELi2EEEENSQ_IJLi3ELi4EEEESU_EEENSQ_IJLi3ELi5ELi4EEEElEES1B_NS_35ThreadGroupTensorSliceTransfer_v4r1INS_15ThisThreadBlockILi64EEENS_16tensor_operation12element_wise11PassThroughES2S_LNS_25InMemoryDataOperationEnumE0ENSQ_IJLi32ELi32ELi8EEEENSQ_IJLi32ELi2ELi1EEEENSQ_IJLi1ELi0ELi2EEEEDF16_DF16_RKS2M_KS1B_S2W_NSQ_IJLi0ELi1ELi2EEEELi2ELi2ELi8ELi8ELi1ELi1ELb0ELb1ELi1EiEENS_13DynamicBufferILNS_16AddressSpaceEnumE1EKDF16_lLb1ELNS_22AmdBufferCoherenceEnumE0EiEENS32_ILS33_2EDF16_S1A_Lb1ELS35_0EiEENS4_IJiiiEEES2M_S1M_NS2N_IS2P_S2S_S2S_LS2T_0ENSQ_IJLi16ELi32ELi16EEEENSQ_IJLi16ELi4ELi1EEEES2W_S2_S2_S2Y_KS1M_S2W_S30_Li2ELi2ELi16ELi16ELi1ELi1ELb0ELb1ELi1EiEENS32_ILS33_1EKS2_lLb1ELS35_0EiEENS32_ILS33_2ES2_S1A_Lb1ELS35_0EiEES38_NS_25StaticBufferTupleOfVectorILS33_4EfLi2ELi8ELb1ELb0EEEEEvRKT1_RKT2_RT3_RKT4_RT5_RKT6_RKT7_RKT8_RT9_RKT10_RT11_RKT12_RT13_i: ; @_ZNK2ck31BlockwiseGemmXdlops_pipeline_v1ILNS_26BlockGemmPipelineSchedulerE1ELi64EDF16_NS_9f8_fnuz_tEDF16_fNS_16TensorDescriptorINS_5TupleIJNS_5EmbedINS4_IJNS_17integral_constantIiLi32EEES7_NS6_IiLi8EEEEEENS4_IJS8_NS6_IiLi256EEENS6_IiLi1EEEEEELb0EEENS_3XorINS4_IJS7_S7_EEELb1EEENS_11PassThroughIS8_EENS_7UnMergeINS4_IJS7_SB_EEELb0EEENSH_IS7_EESI_SM_NS_21Merge_v3_division_modISK_EESI_EEENS4_IJNS_8SequenceIJLi0EEEENSQ_IJLi2ELi1EEEENSQ_IJLi3EEEENSQ_IJLi5EEEENSQ_IJLi4EEEENSQ_IJLi6EEEENSQ_IJLi7EEEENSQ_IJLi9ELi8EEEENSQ_IJLi10EEEEEEENS4_IJNSQ_IJLi1ELi2ELi3EEEENSQ_IJLi4ELi5EEEESW_NSQ_IJLi7ELi8EEEENSQ_IJLi9EEEESZ_NSQ_IJLi11EEEENSQ_IJLi12EEEENSQ_IJLi13EEEEEEENSQ_IJLi11ELi12ELi13EEEENS6_IlLl8192EEEEENS3_INS4_IJNS5_INS4_IJNS6_IiLi16EEES7_S1C_EEENS4_IJS1C_SA_SB_EEELb0EEENSE_INS4_IJS7_S1C_EEELb1EEENSH_IS1C_EENSJ_INS4_IJS1C_SB_EEELb0EEESM_S1I_S1I_SO_S1I_EEES10_S18_S19_S1A_EENS3_INS4_IJSD_SG_SI_SL_SM_SI_SM_SO_SI_NSN_INS4_IJS7_S8_EEEEENSJ_INS4_IJNS6_IiLi2EEESB_S1C_EEELb0EEEEEENS4_IJSR_SS_ST_SU_SV_SW_SX_SY_SZ_NSQ_IJLi11ELi13EEEES16_EEENS4_IJS11_S12_SW_S13_S14_SZ_S15_S16_S17_NSQ_IJLi14EEEENSQ_IJLi15ELi16ELi17EEEEEEENSQ_IJLi15ELi16ELi17ELi14EEEES1A_EENS3_INS4_IJS1F_S1H_S1I_S1K_SM_S1I_S1I_SO_S1I_NSN_INS4_IJS1C_S1C_EEEEENSJ_INS4_IJSB_S1P_S1C_EEELb0EEEEEES1U_S1X_S1Y_S1A_EELi8ELi16ELi32ELi32ELi256ELi16ELi16ELi2ELi1ELi16ELb1EE3RunILb1ELNS_10TailNumberE10ENS3_INS4_IJNS5_INS4_IJiiEEENS4_IJiSB_EEELb0EEENSJ_IS29_Lb0EEENSH_IiEEEEENS4_IJSR_NSQ_IJLi2EEEENSQ_IJLi1EEEEEEENS4_IJNSQ_IJLi1ELi2EEEENSQ_IJLi3ELi4EEEESU_EEENSQ_IJLi3ELi5ELi4EEEElEES1B_NS_35ThreadGroupTensorSliceTransfer_v4r1INS_15ThisThreadBlockILi64EEENS_16tensor_operation12element_wise11PassThroughES2S_LNS_25InMemoryDataOperationEnumE0ENSQ_IJLi32ELi32ELi8EEEENSQ_IJLi32ELi2ELi1EEEENSQ_IJLi1ELi0ELi2EEEEDF16_DF16_RKS2M_KS1B_S2W_NSQ_IJLi0ELi1ELi2EEEELi2ELi2ELi8ELi8ELi1ELi1ELb0ELb1ELi1EiEENS_13DynamicBufferILNS_16AddressSpaceEnumE1EKDF16_lLb1ELNS_22AmdBufferCoherenceEnumE0EiEENS32_ILS33_2EDF16_S1A_Lb1ELS35_0EiEENS4_IJiiiEEES2M_S1M_NS2N_IS2P_S2S_S2S_LS2T_0ENSQ_IJLi16ELi32ELi16EEEENSQ_IJLi16ELi4ELi1EEEES2W_S2_S2_S2Y_KS1M_S2W_S30_Li2ELi2ELi16ELi16ELi1ELi1ELb0ELb1ELi1EiEENS32_ILS33_1EKS2_lLb1ELS35_0EiEENS32_ILS33_2ES2_S1A_Lb1ELS35_0EiEES38_NS_25StaticBufferTupleOfVectorILS33_4EfLi2ELi8ELb1ELb0EEEEEvRKT1_RKT2_RT3_RKT4_RT5_RKT6_RKT7_RKT8_RT9_RKT10_RT11_RKT12_RT13_i
; %bb.0:
	s_wait_loadcnt_dscnt 0x0
	s_wait_expcnt 0x0
	s_wait_samplecnt 0x0
	s_wait_bvhcnt 0x0
	s_wait_kmcnt 0x0
	s_mov_b32 s12, s33
	s_mov_b32 s33, s32
	s_or_saveexec_b32 s0, -1
	scratch_store_b32 off, v152, s33 offset:256 ; 4-byte Folded Spill
	s_wait_alu 0xfffe
	s_mov_b32 exec_lo, s0
	v_writelane_b32 v152, s30, 0
	s_addk_co_i32 s32, 0x110
	v_writelane_b32 v152, s31, 1
	v_dual_mov_b32 v192, v28 :: v_dual_mov_b32 v149, v5
	v_dual_mov_b32 v148, v4 :: v_dual_mov_b32 v133, v27
	s_mov_b32 s0, 0
	v_dual_mov_b32 v166, v14 :: v_dual_mov_b32 v181, v3
	flat_load_b64 v[4:5], v[148:149] offset:688
	s_wait_alu 0xfffe
	s_mov_b32 s1, s0
	s_mov_b32 s2, s0
	;; [unrolled: 1-line block ×3, first 2 shown]
	v_dual_mov_b32 v176, v12 :: v_dual_mov_b32 v147, v1
	v_dual_mov_b32 v180, v2 :: v_dual_and_b32 v179, 0xffff, v7
	v_dual_mov_b32 v146, v0 :: v_dual_mov_b32 v73, 0x31004000
	v_mov_b32_e32 v0, s0
	v_dual_mov_b32 v132, v26 :: v_dual_mov_b32 v151, v25
	v_dual_mov_b32 v150, v24 :: v_dual_mov_b32 v135, v23
	;; [unrolled: 1-line block ×6, first 2 shown]
	s_wait_alu 0xfffe
	v_dual_mov_b32 v144, v10 :: v_dual_mov_b32 v1, s1
	v_dual_mov_b32 v178, v6 :: v_dual_mov_b32 v3, s3
	v_mov_b32_e32 v2, s2
	v_mov_b32_e32 v6, 1
	v_lshlrev_b32_e32 v72, 1, v8
	s_mov_b32 s1, exec_lo
	s_wait_loadcnt_dscnt 0x0
	v_lshlrev_b32_e32 v7, 1, v4
	s_clause 0xf
	scratch_store_b128 off, v[0:3], s33
	scratch_store_b128 off, v[0:3], s33 offset:16
	scratch_store_b128 off, v[0:3], s33 offset:32
	;; [unrolled: 1-line block ×15, first 2 shown]
	flat_store_b8 v[148:149], v6 offset:272
.LBB7_1:                                ; =>This Inner Loop Header: Depth=1
	v_readfirstlane_b32 s4, v178
	v_readfirstlane_b32 s5, v179
	;; [unrolled: 1-line block ×4, first 2 shown]
	s_wait_alu 0xf1ff
	s_delay_alu instid0(VALU_DEP_3) | instskip(NEXT) | instid1(VALU_DEP_2)
	v_cmp_eq_u64_e32 vcc_lo, s[4:5], v[178:179]
	v_cmp_eq_u64_e64 s0, s[6:7], v[72:73]
	s_and_b32 s0, vcc_lo, s0
	s_wait_alu 0xfffe
	s_and_saveexec_b32 s0, s0
	s_wait_loadcnt 0x0
	buffer_load_b128 v[0:3], v7, s[4:7], null offen
                                        ; implicit-def: $vgpr7
	s_xor_b32 exec_lo, exec_lo, s0
	s_cbranch_execnz .LBB7_1
; %bb.2:
	s_mov_b32 exec_lo, s1
	flat_load_b32 v7, v[148:149] offset:708
	v_add_nc_u32_e32 v9, 1, v5
	s_mov_b32 s1, exec_lo
	s_wait_loadcnt_dscnt 0x0
	v_add_nc_u32_e32 v8, 1, v7
	s_clause 0x2
	flat_store_b128 v[148:149], v[0:3]
	flat_store_b32 v[148:149], v8 offset:708
	flat_store_b32 v[148:149], v9 offset:692
	flat_load_b32 v0, v[180:181] offset:8
	s_wait_loadcnt_dscnt 0x0
	v_add_nc_u32_e32 v4, v0, v4
	s_clause 0x1
	flat_store_b32 v[148:149], v4 offset:688
	flat_store_b8 v[148:149], v6 offset:280
	v_lshlrev_b32_e32 v8, 1, v4
.LBB7_3:                                ; =>This Inner Loop Header: Depth=1
	v_readfirstlane_b32 s4, v178
	v_readfirstlane_b32 s5, v179
	v_readfirstlane_b32 s6, v72
	v_readfirstlane_b32 s7, v73
	s_wait_alu 0xf1ff
	s_delay_alu instid0(VALU_DEP_3) | instskip(NEXT) | instid1(VALU_DEP_2)
	v_cmp_eq_u64_e32 vcc_lo, s[4:5], v[178:179]
	v_cmp_eq_u64_e64 s0, s[6:7], v[72:73]
	s_and_b32 s0, vcc_lo, s0
	s_wait_alu 0xfffe
	s_and_saveexec_b32 s0, s0
	s_wait_loadcnt 0x0
	buffer_load_b128 v[0:3], v8, s[4:7], null offen
                                        ; implicit-def: $vgpr8
	s_xor_b32 exec_lo, exec_lo, s0
	s_cbranch_execnz .LBB7_3
; %bb.4:
	s_mov_b32 exec_lo, s1
	v_add_nc_u32_e32 v8, 2, v7
	v_add_nc_u32_e32 v9, 2, v5
	s_mov_b32 s1, exec_lo
	s_wait_loadcnt 0x0
	s_clause 0x2
	flat_store_b128 v[148:149], v[0:3] offset:16
	flat_store_b32 v[148:149], v8 offset:708
	flat_store_b32 v[148:149], v9 offset:692
	flat_load_b32 v0, v[180:181] offset:8
	s_wait_loadcnt_dscnt 0x0
	v_add_nc_u32_e32 v4, v0, v4
	s_clause 0x1
	flat_store_b32 v[148:149], v4 offset:688
	flat_store_b8 v[148:149], v6 offset:288
	v_lshlrev_b32_e32 v8, 1, v4
.LBB7_5:                                ; =>This Inner Loop Header: Depth=1
	v_readfirstlane_b32 s4, v178
	v_readfirstlane_b32 s5, v179
	v_readfirstlane_b32 s6, v72
	v_readfirstlane_b32 s7, v73
	s_wait_alu 0xf1ff
	s_delay_alu instid0(VALU_DEP_3) | instskip(NEXT) | instid1(VALU_DEP_2)
	v_cmp_eq_u64_e32 vcc_lo, s[4:5], v[178:179]
	v_cmp_eq_u64_e64 s0, s[6:7], v[72:73]
	s_and_b32 s0, vcc_lo, s0
	s_wait_alu 0xfffe
	s_and_saveexec_b32 s0, s0
	s_wait_loadcnt 0x0
	buffer_load_b128 v[0:3], v8, s[4:7], null offen
                                        ; implicit-def: $vgpr8
	s_xor_b32 exec_lo, exec_lo, s0
	s_cbranch_execnz .LBB7_5
; %bb.6:
	s_mov_b32 exec_lo, s1
	v_add_nc_u32_e32 v8, 3, v7
	v_add_nc_u32_e32 v9, 3, v5
	s_mov_b32 s1, exec_lo
	s_wait_loadcnt 0x0
	s_clause 0x2
	flat_store_b128 v[148:149], v[0:3] offset:32
	;; [unrolled: 34-line block ×4, first 2 shown]
	flat_store_b32 v[148:149], v8 offset:708
	flat_store_b32 v[148:149], v9 offset:692
	flat_load_b32 v0, v[180:181] offset:8
	s_wait_loadcnt_dscnt 0x0
	v_add_nc_u32_e32 v4, v0, v4
	s_clause 0x1
	flat_store_b32 v[148:149], v4 offset:688
	flat_store_b8 v[148:149], v6 offset:312
	v_lshlrev_b32_e32 v8, 1, v4
.LBB7_11:                               ; =>This Inner Loop Header: Depth=1
	v_readfirstlane_b32 s4, v178
	v_readfirstlane_b32 s5, v179
	v_readfirstlane_b32 s6, v72
	v_readfirstlane_b32 s7, v73
	s_wait_alu 0xf1ff
	s_delay_alu instid0(VALU_DEP_3) | instskip(NEXT) | instid1(VALU_DEP_2)
	v_cmp_eq_u64_e32 vcc_lo, s[4:5], v[178:179]
	v_cmp_eq_u64_e64 s0, s[6:7], v[72:73]
	s_and_b32 s0, vcc_lo, s0
	s_wait_alu 0xfffe
	s_and_saveexec_b32 s0, s0
	s_wait_loadcnt 0x0
	buffer_load_b128 v[0:3], v8, s[4:7], null offen
                                        ; implicit-def: $vgpr8
	s_xor_b32 exec_lo, exec_lo, s0
	s_cbranch_execnz .LBB7_11
; %bb.12:
	s_mov_b32 exec_lo, s1
	v_add_nc_u32_e32 v8, 6, v7
	v_add_nc_u32_e32 v9, 6, v5
	s_mov_b32 s1, exec_lo
	s_wait_loadcnt 0x0
	s_clause 0x2
	flat_store_b128 v[148:149], v[0:3] offset:80
	flat_store_b32 v[148:149], v8 offset:708
	flat_store_b32 v[148:149], v9 offset:692
	flat_load_b32 v0, v[180:181] offset:8
	s_wait_loadcnt_dscnt 0x0
	v_add_nc_u32_e32 v4, v0, v4
	s_clause 0x1
	flat_store_b32 v[148:149], v4 offset:688
	flat_store_b8 v[148:149], v6 offset:320
	v_lshlrev_b32_e32 v8, 1, v4
.LBB7_13:                               ; =>This Inner Loop Header: Depth=1
	v_readfirstlane_b32 s4, v178
	v_readfirstlane_b32 s5, v179
	v_readfirstlane_b32 s6, v72
	v_readfirstlane_b32 s7, v73
	s_wait_alu 0xf1ff
	s_delay_alu instid0(VALU_DEP_3) | instskip(NEXT) | instid1(VALU_DEP_2)
	v_cmp_eq_u64_e32 vcc_lo, s[4:5], v[178:179]
	v_cmp_eq_u64_e64 s0, s[6:7], v[72:73]
	s_and_b32 s0, vcc_lo, s0
	s_wait_alu 0xfffe
	s_and_saveexec_b32 s0, s0
	s_wait_loadcnt 0x0
	buffer_load_b128 v[0:3], v8, s[4:7], null offen
                                        ; implicit-def: $vgpr8
	s_xor_b32 exec_lo, exec_lo, s0
	s_cbranch_execnz .LBB7_13
; %bb.14:
	s_mov_b32 exec_lo, s1
	v_add_nc_u32_e32 v8, 7, v7
	v_add_nc_u32_e32 v9, 7, v5
	s_mov_b32 s1, exec_lo
	s_wait_loadcnt 0x0
	s_clause 0x2
	flat_store_b128 v[148:149], v[0:3] offset:96
	;; [unrolled: 34-line block ×10, first 2 shown]
	flat_store_b32 v[148:149], v7 offset:708
	flat_store_b32 v[148:149], v5 offset:692
	flat_load_b32 v0, v[180:181] offset:8
	s_wait_loadcnt_dscnt 0x0
	v_add_nc_u32_e32 v0, v0, v4
	s_clause 0x1
	flat_store_b32 v[148:149], v0 offset:688
	flat_store_b8 v[148:149], v6 offset:392
	v_lshlrev_b32_e32 v4, 1, v0
.LBB7_31:                               ; =>This Inner Loop Header: Depth=1
	v_readfirstlane_b32 s4, v178
	v_readfirstlane_b32 s5, v179
	;; [unrolled: 1-line block ×4, first 2 shown]
	s_wait_alu 0xf1ff
	s_delay_alu instid0(VALU_DEP_3) | instskip(NEXT) | instid1(VALU_DEP_2)
	v_cmp_eq_u64_e32 vcc_lo, s[4:5], v[178:179]
	v_cmp_eq_u64_e64 s0, s[6:7], v[72:73]
	s_and_b32 s0, vcc_lo, s0
	s_wait_alu 0xfffe
	s_and_saveexec_b32 s0, s0
	s_wait_loadcnt 0x0
	buffer_load_b128 v[0:3], v4, s[4:7], null offen
                                        ; implicit-def: $vgpr4
	s_xor_b32 exec_lo, exec_lo, s0
	s_cbranch_execnz .LBB7_31
; %bb.32:
	s_mov_b32 exec_lo, s1
	s_wait_loadcnt 0x0
	flat_store_b128 v[148:149], v[0:3] offset:240
	flat_load_b64 v[4:5], v[164:165] offset:432
	v_and_b32_e32 v163, 0xffff, v19
	v_mov_b32_e32 v161, 0x31004000
	s_mov_b32 s1, exec_lo
	flat_store_b8 v[164:165], v6 offset:144
.LBB7_33:                               ; =>This Inner Loop Header: Depth=1
	v_readfirstlane_b32 s4, v162
	v_readfirstlane_b32 s5, v163
	;; [unrolled: 1-line block ×4, first 2 shown]
	s_wait_alu 0xf1ff
	s_delay_alu instid0(VALU_DEP_3) | instskip(NEXT) | instid1(VALU_DEP_2)
	v_cmp_eq_u64_e32 vcc_lo, s[4:5], v[162:163]
	v_cmp_eq_u64_e64 s0, s[6:7], v[160:161]
	s_and_b32 s0, vcc_lo, s0
	s_wait_alu 0xfffe
	s_and_saveexec_b32 s0, s0
	s_wait_loadcnt_dscnt 0x1
	buffer_load_b128 v[0:3], v4, s[4:7], null offen
	s_xor_b32 exec_lo, exec_lo, s0
	s_cbranch_execnz .LBB7_33
; %bb.34:
	s_mov_b32 exec_lo, s1
	flat_load_b32 v7, v[164:165] offset:452
	v_add_nc_u32_e32 v9, 1, v5
	s_mov_b32 s1, exec_lo
	s_wait_loadcnt_dscnt 0x0
	v_add_nc_u32_e32 v8, 1, v7
	s_clause 0x2
	flat_store_b128 v[164:165], v[0:3]
	flat_store_b32 v[164:165], v8 offset:452
	flat_store_b32 v[164:165], v9 offset:436
	flat_load_b32 v0, v[166:167] offset:8
	s_wait_loadcnt_dscnt 0x0
	v_add_nc_u32_e32 v4, v0, v4
	s_clause 0x1
	flat_store_b32 v[164:165], v4 offset:432
	flat_store_b8 v[164:165], v6 offset:160
.LBB7_35:                               ; =>This Inner Loop Header: Depth=1
	v_readfirstlane_b32 s4, v162
	v_readfirstlane_b32 s5, v163
	v_readfirstlane_b32 s6, v160
	v_readfirstlane_b32 s7, v161
	s_wait_alu 0xf1ff
	s_delay_alu instid0(VALU_DEP_3) | instskip(NEXT) | instid1(VALU_DEP_2)
	v_cmp_eq_u64_e32 vcc_lo, s[4:5], v[162:163]
	v_cmp_eq_u64_e64 s0, s[6:7], v[160:161]
	s_and_b32 s0, vcc_lo, s0
	s_wait_alu 0xfffe
	s_and_saveexec_b32 s0, s0
	s_wait_loadcnt 0x0
	buffer_load_b128 v[0:3], v4, s[4:7], null offen
	s_xor_b32 exec_lo, exec_lo, s0
	s_cbranch_execnz .LBB7_35
; %bb.36:
	s_mov_b32 exec_lo, s1
	v_add_nc_u32_e32 v8, 2, v7
	v_add_nc_u32_e32 v9, 2, v5
	s_mov_b32 s1, exec_lo
	s_wait_loadcnt 0x0
	s_clause 0x2
	flat_store_b128 v[164:165], v[0:3] offset:16
	flat_store_b32 v[164:165], v8 offset:452
	flat_store_b32 v[164:165], v9 offset:436
	flat_load_b32 v0, v[166:167] offset:8
	s_wait_loadcnt_dscnt 0x0
	v_add_nc_u32_e32 v4, v0, v4
	s_clause 0x1
	flat_store_b32 v[164:165], v4 offset:432
	flat_store_b8 v[164:165], v6 offset:176
.LBB7_37:                               ; =>This Inner Loop Header: Depth=1
	v_readfirstlane_b32 s4, v162
	v_readfirstlane_b32 s5, v163
	v_readfirstlane_b32 s6, v160
	v_readfirstlane_b32 s7, v161
	s_wait_alu 0xf1ff
	s_delay_alu instid0(VALU_DEP_3) | instskip(NEXT) | instid1(VALU_DEP_2)
	v_cmp_eq_u64_e32 vcc_lo, s[4:5], v[162:163]
	v_cmp_eq_u64_e64 s0, s[6:7], v[160:161]
	s_and_b32 s0, vcc_lo, s0
	s_wait_alu 0xfffe
	s_and_saveexec_b32 s0, s0
	s_wait_loadcnt 0x0
	buffer_load_b128 v[0:3], v4, s[4:7], null offen
	s_xor_b32 exec_lo, exec_lo, s0
	s_cbranch_execnz .LBB7_37
; %bb.38:
	s_mov_b32 exec_lo, s1
	v_add_nc_u32_e32 v8, 3, v7
	v_add_nc_u32_e32 v9, 3, v5
	s_mov_b32 s1, exec_lo
	s_wait_loadcnt 0x0
	s_clause 0x2
	flat_store_b128 v[164:165], v[0:3] offset:32
	;; [unrolled: 32-line block ×6, first 2 shown]
	flat_store_b32 v[164:165], v7 offset:452
	flat_store_b32 v[164:165], v5 offset:436
	flat_load_b32 v0, v[166:167] offset:8
	s_wait_loadcnt_dscnt 0x0
	v_add_nc_u32_e32 v4, v0, v4
	s_clause 0x1
	flat_store_b32 v[164:165], v4 offset:432
	flat_store_b8 v[164:165], v6 offset:256
.LBB7_47:                               ; =>This Inner Loop Header: Depth=1
	v_readfirstlane_b32 s4, v162
	v_readfirstlane_b32 s5, v163
	;; [unrolled: 1-line block ×4, first 2 shown]
	s_wait_alu 0xf1ff
	s_delay_alu instid0(VALU_DEP_3) | instskip(NEXT) | instid1(VALU_DEP_2)
	v_cmp_eq_u64_e32 vcc_lo, s[4:5], v[162:163]
	v_cmp_eq_u64_e64 s0, s[6:7], v[160:161]
	s_and_b32 s0, vcc_lo, s0
	s_wait_alu 0xfffe
	s_and_saveexec_b32 s0, s0
	s_wait_loadcnt 0x0
	buffer_load_b128 v[0:3], v4, s[4:7], null offen
                                        ; implicit-def: $vgpr4
	s_xor_b32 exec_lo, exec_lo, s0
	s_cbranch_execnz .LBB7_47
; %bb.48:
	s_mov_b32 exec_lo, s1
	s_wait_loadcnt 0x0
	flat_store_b128 v[164:165], v[0:3] offset:112
	flat_load_b96 v[0:2], v[176:177]
	flat_load_b96 v[4:6], v[148:149] offset:700
	s_mov_b32 s0, exec_lo
	s_wait_loadcnt_dscnt 0x101
	v_add_nc_u32_e32 v3, -15, v1
	s_wait_loadcnt_dscnt 0x0
	v_add_nc_u32_e32 v4, v4, v0
	v_add_nc_u32_e32 v5, v5, v2
	s_delay_alu instid0(VALU_DEP_3)
	v_add_nc_u32_e32 v6, v6, v3
	flat_store_b96 v[148:149], v[4:6] offset:700
	v_cmpx_ne_u32_e32 0, v3
	s_cbranch_execz .LBB7_50
; %bb.49:
	flat_load_b32 v1, v[148:149] offset:692
	s_wait_loadcnt_dscnt 0x0
	v_add_nc_u32_e32 v1, v1, v3
	flat_store_b32 v[148:149], v1 offset:692
.LBB7_50:
	s_wait_alu 0xfffe
	s_or_b32 exec_lo, exec_lo, s0
	v_or_b32_e32 v4, v2, v0
	v_mov_b32_e32 v1, 0
	s_mov_b32 s0, exec_lo
	s_delay_alu instid0(VALU_DEP_2)
	v_cmpx_ne_u32_e32 0, v4
	s_cbranch_execz .LBB7_52
; %bb.51:
	flat_load_b32 v5, v[180:181] offset:24
	flat_load_b32 v6, v[148:149] offset:696
	v_mov_b32_e32 v1, v2
	s_wait_loadcnt_dscnt 0x101
	s_delay_alu instid0(VALU_DEP_1) | instskip(SKIP_1) | instid1(VALU_DEP_1)
	v_mad_co_u64_u32 v[1:2], null, v5, v0, v[1:2]
	s_wait_loadcnt_dscnt 0x0
	v_add_nc_u32_e32 v0, v1, v6
	flat_store_b32 v[148:149], v0 offset:696
.LBB7_52:
	s_wait_alu 0xfffe
	s_or_b32 exec_lo, exec_lo, s0
	v_or_b32_e32 v0, v4, v3
	s_mov_b32 s0, exec_lo
	s_delay_alu instid0(VALU_DEP_1)
	v_cmpx_ne_u32_e32 0, v0
	s_cbranch_execz .LBB7_54
; %bb.53:
	flat_load_b32 v0, v[180:181] offset:8
	flat_load_b32 v2, v[148:149] offset:688
	s_wait_loadcnt_dscnt 0x101
	v_mul_lo_u32 v0, v0, v3
	s_wait_loadcnt_dscnt 0x0
	s_delay_alu instid0(VALU_DEP_1)
	v_add3_u32 v0, v2, v1, v0
	flat_store_b32 v[148:149], v0 offset:688
.LBB7_54:
	s_wait_alu 0xfffe
	s_or_b32 exec_lo, exec_lo, s0
	flat_load_b96 v[0:2], v[150:151]
	flat_load_b96 v[4:6], v[164:165] offset:444
	s_mov_b32 s0, exec_lo
	s_wait_loadcnt_dscnt 0x101
	v_add_nc_u32_e32 v3, -7, v1
	s_wait_loadcnt_dscnt 0x0
	v_add_nc_u32_e32 v4, v4, v0
	v_add_nc_u32_e32 v5, v5, v2
	s_delay_alu instid0(VALU_DEP_3)
	v_add_nc_u32_e32 v6, v6, v3
	flat_store_b96 v[164:165], v[4:6] offset:444
	v_cmpx_ne_u32_e32 0, v3
	s_cbranch_execz .LBB7_56
; %bb.55:
	flat_load_b32 v1, v[164:165] offset:436
	s_wait_loadcnt_dscnt 0x0
	v_add_nc_u32_e32 v1, v1, v3
	flat_store_b32 v[164:165], v1 offset:436
.LBB7_56:
	s_wait_alu 0xfffe
	s_or_b32 exec_lo, exec_lo, s0
	v_or_b32_e32 v4, v2, v0
	v_mov_b32_e32 v1, 0
	s_mov_b32 s0, exec_lo
	s_delay_alu instid0(VALU_DEP_2)
	v_cmpx_ne_u32_e32 0, v4
	s_cbranch_execz .LBB7_58
; %bb.57:
	flat_load_b32 v5, v[166:167] offset:24
	flat_load_b32 v6, v[164:165] offset:440
	v_mov_b32_e32 v1, v2
	s_wait_loadcnt_dscnt 0x101
	s_delay_alu instid0(VALU_DEP_1) | instskip(SKIP_1) | instid1(VALU_DEP_1)
	v_mad_co_u64_u32 v[1:2], null, v5, v0, v[1:2]
	s_wait_loadcnt_dscnt 0x0
	v_add_nc_u32_e32 v0, v1, v6
	flat_store_b32 v[164:165], v0 offset:440
.LBB7_58:
	s_wait_alu 0xfffe
	s_or_b32 exec_lo, exec_lo, s0
	v_or_b32_e32 v0, v4, v3
	s_mov_b32 s8, 0
	s_mov_b32 s0, exec_lo
	s_delay_alu instid0(VALU_DEP_1)
	v_cmpx_ne_u32_e32 0, v0
	s_cbranch_execz .LBB7_60
; %bb.59:
	flat_load_b32 v0, v[166:167] offset:8
	flat_load_b32 v2, v[164:165] offset:432
	s_wait_loadcnt_dscnt 0x101
	v_mul_lo_u32 v0, v0, v3
	s_wait_loadcnt_dscnt 0x0
	s_delay_alu instid0(VALU_DEP_1)
	v_add3_u32 v0, v2, v1, v0
	flat_store_b32 v[164:165], v0 offset:432
.LBB7_60:
	s_wait_alu 0xfffe
	s_or_b32 exec_lo, exec_lo, s0
	v_dual_mov_b32 v0, v148 :: v_dual_mov_b32 v1, v149
	v_dual_mov_b32 v2, v144 :: v_dual_mov_b32 v3, v145
	s_getpc_b64 s[0:1]
	s_wait_alu 0xfffe
	s_sext_i32_i16 s1, s1
	s_add_co_u32 s0, s0, _ZN2ck35ThreadGroupTensorSliceTransfer_v4r1INS_15ThisThreadBlockILi64EEENS_16tensor_operation12element_wise11PassThroughES5_LNS_25InMemoryDataOperationEnumE0ENS_8SequenceIJLi32ELi32ELi8EEEENS7_IJLi32ELi2ELi1EEEENS7_IJLi1ELi0ELi2EEEEDF16_DF16_RKNS_16TensorDescriptorINS_5TupleIJNS_5EmbedINSC_IJiiEEENSC_IJiNS_17integral_constantIiLi1EEEEEELb0EEENS_7UnMergeISE_Lb0EEENS_11PassThroughIiEEEEENSC_IJNS7_IJLi0EEEENS7_IJLi2EEEENS7_IJLi1EEEEEEENSC_IJNS7_IJLi1ELi2EEEENS7_IJLi3ELi4EEEENS7_IJLi5EEEEEEENS7_IJLi3ELi5ELi4EEEElEEKNSB_INSC_IJNSD_INSC_IJNSF_IiLi32EEES10_NSF_IiLi8EEEEEENSC_IJS11_NSF_IiLi256EEESG_EEELb0EEENS_3XorINSC_IJS10_S10_EEELb1EEENSL_IS11_EENSJ_INSC_IJS10_SG_EEELb0EEENSL_IS10_EES19_S1C_NS_21Merge_v3_division_modIS1A_EES19_EEENSC_IJSO_NS7_IJLi2ELi1EEEENS7_IJLi3EEEESU_NS7_IJLi4EEEENS7_IJLi6EEEENS7_IJLi7EEEENS7_IJLi9ELi8EEEENS7_IJLi10EEEEEEENSC_IJNS7_IJLi1ELi2ELi3EEEENS7_IJLi4ELi5EEEES1J_NS7_IJLi7ELi8EEEENS7_IJLi9EEEES1M_NS7_IJLi11EEEENS7_IJLi12EEEENS7_IJLi13EEEEEEENS7_IJLi11ELi12ELi13EEEENSF_IlLl8192EEEEESA_NS7_IJLi0ELi1ELi2EEEELi2ELi2ELi8ELi8ELi1ELi1ELb0ELb1ELi1EiE8RunWriteINS_13DynamicBufferILNS_16AddressSpaceEnumE2EDF16_S1X_Lb1ELNS_22AmdBufferCoherenceEnumE0EiEELi0EEEvRS1Z_RT_NSF_IiXT0_EEE@rel32@lo+12
	s_wait_alu 0xfffe
	s_add_co_ci_u32 s1, s1, _ZN2ck35ThreadGroupTensorSliceTransfer_v4r1INS_15ThisThreadBlockILi64EEENS_16tensor_operation12element_wise11PassThroughES5_LNS_25InMemoryDataOperationEnumE0ENS_8SequenceIJLi32ELi32ELi8EEEENS7_IJLi32ELi2ELi1EEEENS7_IJLi1ELi0ELi2EEEEDF16_DF16_RKNS_16TensorDescriptorINS_5TupleIJNS_5EmbedINSC_IJiiEEENSC_IJiNS_17integral_constantIiLi1EEEEEELb0EEENS_7UnMergeISE_Lb0EEENS_11PassThroughIiEEEEENSC_IJNS7_IJLi0EEEENS7_IJLi2EEEENS7_IJLi1EEEEEEENSC_IJNS7_IJLi1ELi2EEEENS7_IJLi3ELi4EEEENS7_IJLi5EEEEEEENS7_IJLi3ELi5ELi4EEEElEEKNSB_INSC_IJNSD_INSC_IJNSF_IiLi32EEES10_NSF_IiLi8EEEEEENSC_IJS11_NSF_IiLi256EEESG_EEELb0EEENS_3XorINSC_IJS10_S10_EEELb1EEENSL_IS11_EENSJ_INSC_IJS10_SG_EEELb0EEENSL_IS10_EES19_S1C_NS_21Merge_v3_division_modIS1A_EES19_EEENSC_IJSO_NS7_IJLi2ELi1EEEENS7_IJLi3EEEESU_NS7_IJLi4EEEENS7_IJLi6EEEENS7_IJLi7EEEENS7_IJLi9ELi8EEEENS7_IJLi10EEEEEEENSC_IJNS7_IJLi1ELi2ELi3EEEENS7_IJLi4ELi5EEEES1J_NS7_IJLi7ELi8EEEENS7_IJLi9EEEES1M_NS7_IJLi11EEEENS7_IJLi12EEEENS7_IJLi13EEEEEEENS7_IJLi11ELi12ELi13EEEENSF_IlLl8192EEEEESA_NS7_IJLi0ELi1ELi2EEEELi2ELi2ELi8ELi8ELi1ELi1ELb0ELb1ELi1EiE8RunWriteINS_13DynamicBufferILNS_16AddressSpaceEnumE2EDF16_S1X_Lb1ELNS_22AmdBufferCoherenceEnumE0EiEELi0EEEvRS1Z_RT_NSF_IiXT0_EEE@rel32@hi+24
	s_wait_alu 0xfffe
	s_swappc_b64 s[30:31], s[0:1]
	s_clause 0x10
	flat_load_u8 v32, v[164:165] offset:192
	flat_load_u8 v33, v[164:165] offset:208
	;; [unrolled: 1-line block ×5, first 2 shown]
	flat_load_b128 v[0:3], v[164:165] offset:48
	flat_load_b128 v[4:7], v[164:165] offset:64
	;; [unrolled: 1-line block ×5, first 2 shown]
	flat_load_u8 v37, v[164:165] offset:144
	flat_load_u8 v38, v[164:165] offset:160
	;; [unrolled: 1-line block ×3, first 2 shown]
	flat_load_b128 v[20:23], v[164:165] offset:32
	flat_load_b128 v[24:27], v[164:165]
	flat_load_b128 v[28:31], v[164:165] offset:16
	flat_load_b32 v48, v[164:165] offset:456
	s_mov_b32 s9, s8
	s_mov_b32 s10, s8
	;; [unrolled: 1-line block ×3, first 2 shown]
	v_dual_mov_b32 v74, 0 :: v_dual_mov_b32 v79, 1
	s_wait_loadcnt_dscnt 0x1010
	v_and_b32_e32 v32, 1, v32
	s_delay_alu instid0(VALU_DEP_1)
	v_cmp_eq_u32_e32 vcc_lo, 1, v32
	s_wait_loadcnt_dscnt 0xf0f
	v_and_b32_e32 v33, 1, v33
	s_wait_loadcnt_dscnt 0xe0e
	v_and_b32_e32 v34, 1, v34
	s_wait_loadcnt_dscnt 0xb0b
	s_wait_alu 0xfffd
	v_dual_cndmask_b32 v0, 0, v0 :: v_dual_and_b32 v35, 1, v35
	v_cndmask_b32_e32 v3, 0, v3, vcc_lo
	s_wait_loadcnt_dscnt 0x404
	v_and_b32_e32 v32, 1, v39
	v_dual_cndmask_b32 v2, 0, v2 :: v_dual_cndmask_b32 v1, 0, v1
	v_cmp_eq_u32_e64 s1, 1, v34
	v_cmp_eq_u32_e64 s2, 1, v35
	s_delay_alu instid0(VALU_DEP_4)
	v_cmp_eq_u32_e32 vcc_lo, 1, v32
	v_and_b32_e32 v36, 1, v36
	v_cmp_eq_u32_e64 s0, 1, v33
	s_wait_alu 0xf1ff
	v_cndmask_b32_e64 v11, 0, v11, s1
	v_cndmask_b32_e64 v15, 0, v15, s2
	s_wait_loadcnt_dscnt 0x303
	s_wait_alu 0xfffd
	v_cndmask_b32_e32 v23, 0, v23, vcc_lo
	v_cmp_eq_u32_e64 s3, 1, v36
	v_cndmask_b32_e64 v10, 0, v10, s1
	v_cndmask_b32_e64 v9, 0, v9, s1
	;; [unrolled: 1-line block ×4, first 2 shown]
	s_wait_alu 0xf1ff
	v_cndmask_b32_e64 v19, 0, v19, s3
	v_cndmask_b32_e64 v13, 0, v13, s2
	;; [unrolled: 1-line block ×10, first 2 shown]
	s_clause 0x4
	flat_store_b128 v[164:165], v[0:3] offset:48
	flat_store_b128 v[164:165], v[4:7] offset:64
	;; [unrolled: 1-line block ×5, first 2 shown]
	s_clause 0x4
	flat_load_b128 v[3:6], v[164:165] offset:60
	flat_load_b128 v[7:10], v[164:165] offset:76
	;; [unrolled: 1-line block ×4, first 2 shown]
	flat_load_b32 v19, v[164:165] offset:124
	v_dual_cndmask_b32 v20, 0, v20 :: v_dual_and_b32 v33, 1, v38
	v_and_b32_e32 v32, 1, v37
	v_dual_cndmask_b32 v22, 0, v22 :: v_dual_cndmask_b32 v21, 0, v21
	s_delay_alu instid0(VALU_DEP_3) | instskip(NEXT) | instid1(VALU_DEP_3)
	v_cmp_eq_u32_e64 s0, 1, v33
	v_cmp_eq_u32_e32 vcc_lo, 1, v32
	s_wait_loadcnt_dscnt 0x60b
	s_wait_alu 0xf1ff
	s_delay_alu instid0(VALU_DEP_2)
	v_cndmask_b32_e64 v31, 0, v31, s0
	v_cndmask_b32_e64 v30, 0, v30, s0
	;; [unrolled: 1-line block ×4, first 2 shown]
	s_wait_alu 0xfffd
	v_dual_cndmask_b32 v27, 0, v27 :: v_dual_cndmask_b32 v26, 0, v26
	v_dual_cndmask_b32 v25, 0, v25 :: v_dual_cndmask_b32 v24, 0, v24
	flat_store_b128 v[164:165], v[28:31] offset:16
	v_perm_b32 v28, v28, v28, 0x3020104
	s_clause 0x4
	flat_store_b128 v[164:165], v[20:23] offset:32
	flat_store_b128 v[164:165], v[24:27]
	flat_store_b128 v[164:165], v[24:27] offset:288
	flat_store_b128 v[164:165], v[28:31] offset:304
	flat_store_b128 v[164:165], v[20:23] offset:320
	s_wait_loadcnt_dscnt 0x40a
	flat_store_b128 v[164:165], v[0:3] offset:336
	s_wait_loadcnt_dscnt 0x30a
	flat_store_b128 v[164:165], v[4:7] offset:352
	;; [unrolled: 2-line block ×5, first 2 shown]
	flat_load_b64 v[0:1], v[134:135]
	v_ashrrev_i32_e32 v2, 31, v48
	s_wait_loadcnt_dscnt 0x0
	v_add_co_u32 v0, vcc_lo, v0, v48
	s_wait_alu 0xfffd
	s_delay_alu instid0(VALU_DEP_2)
	v_add_co_ci_u32_e64 v1, null, v1, v2, vcc_lo
	flat_store_b128 v[0:1], v[24:27]
	s_clause 0x4
	flat_load_b32 v7, v[164:165] offset:504
	flat_load_b32 v8, v[164:165] offset:492
	;; [unrolled: 1-line block ×3, first 2 shown]
	flat_load_b128 v[0:3], v[164:165] offset:476
	flat_load_b96 v[4:6], v[164:165] offset:456
	s_wait_loadcnt_dscnt 0x404
	v_add_nc_u32_e32 v75, 1, v7
	s_wait_loadcnt_dscnt 0x101
	v_sub_nc_u32_e32 v10, v0, v3
	s_delay_alu instid0(VALU_DEP_2) | instskip(NEXT) | instid1(VALU_DEP_1)
	v_sub_nc_u32_e32 v1, v75, v8
	v_add_nc_u32_e32 v9, v9, v1
	s_delay_alu instid0(VALU_DEP_1) | instskip(SKIP_3) | instid1(VALU_DEP_3)
	v_ashrrev_i32_e32 v1, 31, v9
	v_mov_b32_e32 v8, v9
	s_wait_loadcnt_dscnt 0x0
	v_sub_nc_u32_e32 v6, v9, v6
	v_lshrrev_b32_e32 v1, 28, v1
	s_delay_alu instid0(VALU_DEP_2) | instskip(NEXT) | instid1(VALU_DEP_2)
	v_lshlrev_b32_e32 v6, 8, v6
	v_add_nc_u32_e32 v1, v9, v1
	s_delay_alu instid0(VALU_DEP_1) | instskip(NEXT) | instid1(VALU_DEP_1)
	v_and_b32_e32 v1, -16, v1
	v_sub_nc_u32_e32 v0, v9, v1
	s_delay_alu instid0(VALU_DEP_1) | instskip(SKIP_2) | instid1(VALU_DEP_1)
	v_xor_b32_e32 v7, v10, v0
	flat_load_b128 v[0:3], v[164:165] offset:304
	v_sub_nc_u32_e32 v5, v7, v5
	v_lshlrev_b32_e32 v5, 4, v5
	s_delay_alu instid0(VALU_DEP_1)
	v_add3_u32 v6, v6, v5, v4
	s_clause 0x3
	flat_store_b32 v[164:165], v75 offset:504
	flat_store_b64 v[164:165], v[74:75] offset:488
	flat_store_b64 v[164:165], v[9:10] offset:472
	flat_store_b96 v[164:165], v[6:8] offset:456
	flat_load_b64 v[4:5], v[134:135]
	v_ashrrev_i32_e32 v7, 31, v6
	s_wait_loadcnt_dscnt 0x0
	v_add_co_u32 v4, vcc_lo, v4, v6
	s_wait_alu 0xfffd
	s_delay_alu instid0(VALU_DEP_2)
	v_add_co_ci_u32_e64 v5, null, v5, v7, vcc_lo
	flat_store_b128 v[4:5], v[0:3]
	s_clause 0x4
	flat_load_b32 v7, v[164:165] offset:504
	flat_load_b32 v8, v[164:165] offset:492
	flat_load_b32 v9, v[164:165] offset:472
	flat_load_b128 v[0:3], v[164:165] offset:476
	flat_load_b96 v[4:6], v[164:165] offset:456
	s_wait_loadcnt_dscnt 0x404
	v_add_nc_u32_e32 v75, 1, v7
	s_wait_loadcnt_dscnt 0x101
	v_sub_nc_u32_e32 v10, v0, v3
	s_delay_alu instid0(VALU_DEP_2) | instskip(NEXT) | instid1(VALU_DEP_1)
	v_sub_nc_u32_e32 v1, v75, v8
	v_add_nc_u32_e32 v9, v9, v1
	s_delay_alu instid0(VALU_DEP_1) | instskip(SKIP_3) | instid1(VALU_DEP_3)
	v_ashrrev_i32_e32 v1, 31, v9
	s_wait_loadcnt_dscnt 0x0
	v_sub_nc_u32_e32 v6, v9, v6
	v_mov_b32_e32 v8, v9
	v_lshrrev_b32_e32 v1, 28, v1
	s_delay_alu instid0(VALU_DEP_3) | instskip(NEXT) | instid1(VALU_DEP_2)
	v_lshlrev_b32_e32 v6, 8, v6
	v_add_nc_u32_e32 v1, v9, v1
	s_delay_alu instid0(VALU_DEP_1) | instskip(NEXT) | instid1(VALU_DEP_1)
	v_and_b32_e32 v1, -16, v1
	v_sub_nc_u32_e32 v0, v9, v1
	s_delay_alu instid0(VALU_DEP_1) | instskip(SKIP_2) | instid1(VALU_DEP_1)
	v_xor_b32_e32 v7, v10, v0
	flat_load_b128 v[0:3], v[164:165] offset:320
	v_sub_nc_u32_e32 v5, v7, v5
	v_lshlrev_b32_e32 v5, 4, v5
	s_delay_alu instid0(VALU_DEP_1)
	v_add3_u32 v6, v6, v5, v4
	s_clause 0x3
	flat_store_b32 v[164:165], v75 offset:504
	flat_store_b64 v[164:165], v[74:75] offset:488
	flat_store_b64 v[164:165], v[9:10] offset:472
	flat_store_b96 v[164:165], v[6:8] offset:456
	flat_load_b64 v[4:5], v[134:135]
	v_ashrrev_i32_e32 v7, 31, v6
	s_wait_loadcnt_dscnt 0x0
	v_add_co_u32 v4, vcc_lo, v4, v6
	s_wait_alu 0xfffd
	s_delay_alu instid0(VALU_DEP_2)
	v_add_co_ci_u32_e64 v5, null, v5, v7, vcc_lo
	flat_store_b128 v[4:5], v[0:3]
	s_clause 0x4
	flat_load_b32 v7, v[164:165] offset:504
	flat_load_b32 v8, v[164:165] offset:492
	flat_load_b32 v9, v[164:165] offset:472
	flat_load_b128 v[0:3], v[164:165] offset:476
	flat_load_b96 v[4:6], v[164:165] offset:456
	s_wait_loadcnt_dscnt 0x404
	v_add_nc_u32_e32 v75, 1, v7
	s_wait_loadcnt_dscnt 0x101
	v_sub_nc_u32_e32 v10, v0, v3
	s_delay_alu instid0(VALU_DEP_2) | instskip(NEXT) | instid1(VALU_DEP_1)
	v_sub_nc_u32_e32 v1, v75, v8
	v_add_nc_u32_e32 v9, v9, v1
	s_delay_alu instid0(VALU_DEP_1) | instskip(SKIP_3) | instid1(VALU_DEP_3)
	v_ashrrev_i32_e32 v1, 31, v9
	s_wait_loadcnt_dscnt 0x0
	v_sub_nc_u32_e32 v6, v9, v6
	v_mov_b32_e32 v8, v9
	v_lshrrev_b32_e32 v1, 28, v1
	s_delay_alu instid0(VALU_DEP_3) | instskip(NEXT) | instid1(VALU_DEP_2)
	;; [unrolled: 45-line block ×6, first 2 shown]
	v_lshlrev_b32_e32 v6, 8, v6
	v_add_nc_u32_e32 v1, v9, v1
	s_delay_alu instid0(VALU_DEP_1) | instskip(NEXT) | instid1(VALU_DEP_1)
	v_and_b32_e32 v1, -16, v1
	v_sub_nc_u32_e32 v0, v9, v1
	s_delay_alu instid0(VALU_DEP_1) | instskip(SKIP_2) | instid1(VALU_DEP_1)
	v_xor_b32_e32 v7, v10, v0
	flat_load_b128 v[0:3], v[164:165] offset:400
	v_sub_nc_u32_e32 v5, v7, v5
	v_lshlrev_b32_e32 v5, 4, v5
	s_delay_alu instid0(VALU_DEP_1)
	v_add3_u32 v6, v6, v5, v4
	s_clause 0x3
	flat_store_b32 v[164:165], v75 offset:504
	flat_store_b64 v[164:165], v[74:75] offset:488
	flat_store_b64 v[164:165], v[9:10] offset:472
	flat_store_b96 v[164:165], v[6:8] offset:456
	flat_load_b64 v[4:5], v[134:135]
	v_ashrrev_i32_e32 v7, 31, v6
	s_wait_loadcnt_dscnt 0x0
	v_add_co_u32 v4, vcc_lo, v4, v6
	s_wait_alu 0xfffd
	s_delay_alu instid0(VALU_DEP_2)
	v_add_co_ci_u32_e64 v5, null, v5, v7, vcc_lo
	v_add_co_u32 v182, vcc_lo, 0x118, v146
	s_wait_alu 0xfffd
	v_add_co_ci_u32_e64 v183, null, 0, v147, vcc_lo
	flat_store_b128 v[4:5], v[0:3]
	s_clause 0x3
	flat_load_b32 v7, v[164:165] offset:504
	flat_load_b64 v[0:1], v[164:165] offset:488
	flat_load_b64 v[2:3], v[164:165] offset:472
	flat_load_b96 v[4:6], v[164:165] offset:456
	s_wait_loadcnt_dscnt 0x303
	v_add_nc_u32_e32 v75, -7, v7
	s_wait_loadcnt_dscnt 0x101
	v_sub_nc_u32_e32 v10, v3, v0
	s_delay_alu instid0(VALU_DEP_2) | instskip(NEXT) | instid1(VALU_DEP_1)
	v_sub_nc_u32_e32 v1, v75, v1
	v_add_nc_u32_e32 v9, v2, v1
	s_delay_alu instid0(VALU_DEP_1) | instskip(SKIP_1) | instid1(VALU_DEP_2)
	v_ashrrev_i32_e32 v1, 31, v9
	v_mov_b32_e32 v8, v9
	v_lshrrev_b32_e32 v1, 28, v1
	s_delay_alu instid0(VALU_DEP_1) | instskip(NEXT) | instid1(VALU_DEP_1)
	v_add_nc_u32_e32 v1, v9, v1
	v_and_b32_e32 v1, -16, v1
	s_delay_alu instid0(VALU_DEP_1) | instskip(NEXT) | instid1(VALU_DEP_1)
	v_sub_nc_u32_e32 v0, v9, v1
	v_xor_b32_e32 v7, v10, v0
	s_wait_loadcnt_dscnt 0x0
	v_sub_nc_u32_e32 v0, v9, v6
	s_delay_alu instid0(VALU_DEP_2) | instskip(SKIP_1) | instid1(VALU_DEP_3)
	v_sub_nc_u32_e32 v1, v7, v5
	v_add_nc_u32_e32 v5, -1, v192
	v_lshlrev_b32_e32 v6, 8, v0
	s_delay_alu instid0(VALU_DEP_3)
	v_dual_mov_b32 v0, s8 :: v_dual_lshlrev_b32 v11, 4, v1
	s_wait_alu 0xfffe
	v_dual_mov_b32 v1, s9 :: v_dual_mov_b32 v2, s10
	v_mov_b32_e32 v3, s11
	v_max_i32_e32 v90, 1, v5
	v_add3_u32 v6, v6, v11, v4
	s_clause 0x1
	flat_store_b128 v[132:133], v[0:3]
	flat_store_b128 v[132:133], v[0:3] offset:16
	s_clause 0x3
	flat_store_b32 v[164:165], v75 offset:504
	flat_store_b64 v[164:165], v[74:75] offset:488
	flat_store_b64 v[164:165], v[9:10] offset:472
	flat_store_b96 v[164:165], v[6:8] offset:456
	s_clause 0x1
	flat_store_b128 v[132:133], v[0:3] offset:32
	flat_store_b128 v[132:133], v[0:3] offset:48
	s_branch .LBB7_62
.LBB7_61:                               ;   in Loop: Header=BB7_62 Depth=1
	s_wait_alu 0xfffe
	s_or_b32 exec_lo, exec_lo, s1
	v_cvt_pk_rtz_f16_f32_e32 v108, v75, v60
	v_cvt_pk_rtz_f16_f32_e32 v109, v78, v89
	;; [unrolled: 1-line block ×8, first 2 shown]
	s_clause 0x1
	scratch_store_b128 off, v[108:111], s33 offset:224
	scratch_store_b128 off, v[104:107], s33 offset:240
	; sched_barrier mask(0x00000000)
	s_barrier_signal -1
	s_barrier_wait -1
	; sched_barrier mask(0x00000000)
	s_clause 0x1
	flat_load_b128 v[108:111], v[132:133] offset:16
	flat_load_b128 v[104:107], v[132:133]
	s_clause 0x1
	scratch_load_b128 v[60:63], off, s33
	scratch_load_b128 v[75:78], off, s33 offset:16
	s_wait_loadcnt_dscnt 0x100
	v_wmma_f32_16x16x16_f16 v[104:111], v[60:63], v[84:87], v[104:111]
	s_wait_loadcnt 0x0
	s_delay_alu instid0(VALU_DEP_1)
	v_wmma_f32_16x16x16_f16 v[104:111], v[75:78], v[80:83], v[104:111]
	s_clause 0x1
	flat_store_b128 v[132:133], v[104:107]
	flat_store_b128 v[132:133], v[108:111] offset:16
	; sched_barrier mask(0x00000000)
	s_setprio 1
	; sched_barrier mask(0x00000000)
	scratch_load_b128 v[80:83], off, s33 offset:10
	s_wait_loadcnt 0x0
	v_perm_b32 v62, v80, v62, 0x5040100
	v_alignbit_b32 v63, v81, v80, 16
	v_perm_b32 v75, v81, v82, 0x1000706
	s_clause 0x2
	scratch_load_b32 v76, off, s33 offset:20
	scratch_load_b32 v77, off, s33 offset:24
	;; [unrolled: 1-line block ×3, first 2 shown]
	s_clause 0x1
	flat_load_b128 v[84:87], v[132:133] offset:48
	flat_load_b128 v[80:83], v[132:133] offset:32
	s_wait_loadcnt_dscnt 0x0
	v_wmma_f32_16x16x16_f16 v[80:87], v[60:63], v[44:47], v[80:87]
	s_delay_alu instid0(VALU_DEP_1)
	v_wmma_f32_16x16x16_f16 v[80:87], v[75:78], v[56:59], v[80:87]
	s_clause 0x1
	scratch_load_b128 v[44:47], off, s33 offset:48
	scratch_load_b128 v[75:78], off, s33 offset:32
	s_clause 0x1
	flat_load_b128 v[60:63], v[132:133] offset:16
	flat_load_b128 v[56:59], v[132:133]
	s_wait_loadcnt 0x2
	v_wmma_f32_16x16x16_f16 v[80:87], v[75:78], v[244:247], v[80:87]
	s_wait_loadcnt_dscnt 0x0
	v_wmma_f32_16x16x16_f16 v[56:63], v[75:78], v[64:67], v[56:63]
	s_delay_alu instid0(VALU_DEP_2) | instskip(NEXT) | instid1(VALU_DEP_2)
	v_wmma_f32_16x16x16_f16 v[80:87], v[44:47], v[40:43], v[80:87]
	v_wmma_f32_16x16x16_f16 v[56:63], v[44:47], v[68:71], v[56:63]
	s_clause 0x1
	scratch_load_b128 v[64:67], off, s33 offset:80
	scratch_load_b128 v[68:71], off, s33 offset:64
	s_wait_loadcnt 0x0
	v_wmma_f32_16x16x16_f16 v[56:63], v[68:71], v[48:51], v[56:63]
	v_wmma_f32_16x16x16_f16 v[80:87], v[68:71], v[228:231], v[80:87]
	s_delay_alu instid0(VALU_DEP_2)
	v_wmma_f32_16x16x16_f16 v[56:63], v[64:67], v[52:55], v[56:63]
	s_clause 0x1
	scratch_load_b128 v[48:51], off, s33 offset:112
	scratch_load_b128 v[52:55], off, s33 offset:96
	v_wmma_f32_16x16x16_f16 v[80:87], v[64:67], v[240:243], v[80:87]
	s_wait_loadcnt 0x0
	v_wmma_f32_16x16x16_f16 v[56:63], v[52:55], v[32:35], v[56:63]
	s_delay_alu instid0(VALU_DEP_2) | instskip(NEXT) | instid1(VALU_DEP_2)
	v_wmma_f32_16x16x16_f16 v[80:87], v[52:55], v[212:215], v[80:87]
	v_wmma_f32_16x16x16_f16 v[56:63], v[48:51], v[36:39], v[56:63]
	s_clause 0x1
	scratch_load_b128 v[32:35], off, s33 offset:144
	scratch_load_b128 v[36:39], off, s33 offset:128
	v_wmma_f32_16x16x16_f16 v[80:87], v[48:51], v[224:227], v[80:87]
	s_wait_loadcnt 0x0
	v_wmma_f32_16x16x16_f16 v[56:63], v[36:39], v[24:27], v[56:63]
	s_delay_alu instid0(VALU_DEP_2) | instskip(NEXT) | instid1(VALU_DEP_2)
	v_wmma_f32_16x16x16_f16 v[80:87], v[36:39], v[196:199], v[80:87]
	;; [unrolled: 9-line block ×3, first 2 shown]
	v_wmma_f32_16x16x16_f16 v[56:63], v[24:27], v[20:23], v[56:63]
	s_clause 0x1
	scratch_load_b128 v[16:19], off, s33 offset:208
	scratch_load_b128 v[20:23], off, s33 offset:192
	v_wmma_f32_16x16x16_f16 v[80:87], v[24:27], v[192:195], v[80:87]
	s_wait_loadcnt 0x0
	s_delay_alu instid0(VALU_DEP_1) | instskip(SKIP_1) | instid1(VALU_DEP_2)
	v_wmma_f32_16x16x16_f16 v[80:87], v[20:23], v[112:115], v[80:87]
	v_wmma_f32_16x16x16_f16 v[56:63], v[20:23], v[8:11], v[56:63]
	;; [unrolled: 1-line block ×3, first 2 shown]
	s_clause 0x1
	flat_store_b128 v[132:133], v[80:83] offset:32
	flat_store_b128 v[132:133], v[84:87] offset:48
	v_wmma_f32_16x16x16_f16 v[56:63], v[16:19], v[12:15], v[56:63]
	s_clause 0x1
	scratch_load_b128 v[8:11], off, s33 offset:240
	scratch_load_b128 v[12:15], off, s33 offset:224
	s_wait_loadcnt 0x0
	v_wmma_f32_16x16x16_f16 v[56:63], v[12:15], v[4:7], v[56:63]
	s_delay_alu instid0(VALU_DEP_1)
	v_wmma_f32_16x16x16_f16 v[56:63], v[8:11], v[0:3], v[56:63]
	s_clause 0x1
	flat_store_b128 v[132:133], v[56:59]
	flat_store_b128 v[132:133], v[60:63] offset:16
	; sched_barrier mask(0x00000000)
	s_wait_dscnt 0x0
	s_barrier_signal -1
	s_barrier_wait -1
	; sched_barrier mask(0x00000000)
	s_clause 0x1
	flat_load_b128 v[4:7], v[132:133] offset:48
	flat_load_b128 v[0:3], v[132:133] offset:32
	s_wait_loadcnt_dscnt 0x0
	v_wmma_f32_16x16x16_f16 v[0:7], v[12:15], v[100:103], v[0:7]
	s_delay_alu instid0(VALU_DEP_1)
	v_wmma_f32_16x16x16_f16 v[0:7], v[8:11], v[96:99], v[0:7]
	s_clause 0x1
	flat_store_b128 v[132:133], v[0:3] offset:32
	flat_store_b128 v[132:133], v[4:7] offset:48
	; sched_barrier mask(0x00000000)
	s_setprio 0
	; sched_barrier mask(0x00000000)
	v_dual_mov_b32 v0, v148 :: v_dual_mov_b32 v1, v149
	v_dual_mov_b32 v2, v144 :: v_dual_mov_b32 v3, v145
	s_getpc_b64 s[0:1]
	s_wait_alu 0xfffe
	s_sext_i32_i16 s1, s1
	s_add_co_u32 s0, s0, _ZN2ck35ThreadGroupTensorSliceTransfer_v4r1INS_15ThisThreadBlockILi64EEENS_16tensor_operation12element_wise11PassThroughES5_LNS_25InMemoryDataOperationEnumE0ENS_8SequenceIJLi32ELi32ELi8EEEENS7_IJLi32ELi2ELi1EEEENS7_IJLi1ELi0ELi2EEEEDF16_DF16_RKNS_16TensorDescriptorINS_5TupleIJNS_5EmbedINSC_IJiiEEENSC_IJiNS_17integral_constantIiLi1EEEEEELb0EEENS_7UnMergeISE_Lb0EEENS_11PassThroughIiEEEEENSC_IJNS7_IJLi0EEEENS7_IJLi2EEEENS7_IJLi1EEEEEEENSC_IJNS7_IJLi1ELi2EEEENS7_IJLi3ELi4EEEENS7_IJLi5EEEEEEENS7_IJLi3ELi5ELi4EEEElEEKNSB_INSC_IJNSD_INSC_IJNSF_IiLi32EEES10_NSF_IiLi8EEEEEENSC_IJS11_NSF_IiLi256EEESG_EEELb0EEENS_3XorINSC_IJS10_S10_EEELb1EEENSL_IS11_EENSJ_INSC_IJS10_SG_EEELb0EEENSL_IS10_EES19_S1C_NS_21Merge_v3_division_modIS1A_EES19_EEENSC_IJSO_NS7_IJLi2ELi1EEEENS7_IJLi3EEEESU_NS7_IJLi4EEEENS7_IJLi6EEEENS7_IJLi7EEEENS7_IJLi9ELi8EEEENS7_IJLi10EEEEEEENSC_IJNS7_IJLi1ELi2ELi3EEEENS7_IJLi4ELi5EEEES1J_NS7_IJLi7ELi8EEEENS7_IJLi9EEEES1M_NS7_IJLi11EEEENS7_IJLi12EEEENS7_IJLi13EEEEEEENS7_IJLi11ELi12ELi13EEEENSF_IlLl8192EEEEESA_NS7_IJLi0ELi1ELi2EEEELi2ELi2ELi8ELi8ELi1ELi1ELb0ELb1ELi1EiE8RunWriteINS_13DynamicBufferILNS_16AddressSpaceEnumE2EDF16_S1X_Lb1ELNS_22AmdBufferCoherenceEnumE0EiEELi0EEEvRS1Z_RT_NSF_IiXT0_EEE@rel32@lo+12
	s_wait_alu 0xfffe
	s_add_co_ci_u32 s1, s1, _ZN2ck35ThreadGroupTensorSliceTransfer_v4r1INS_15ThisThreadBlockILi64EEENS_16tensor_operation12element_wise11PassThroughES5_LNS_25InMemoryDataOperationEnumE0ENS_8SequenceIJLi32ELi32ELi8EEEENS7_IJLi32ELi2ELi1EEEENS7_IJLi1ELi0ELi2EEEEDF16_DF16_RKNS_16TensorDescriptorINS_5TupleIJNS_5EmbedINSC_IJiiEEENSC_IJiNS_17integral_constantIiLi1EEEEEELb0EEENS_7UnMergeISE_Lb0EEENS_11PassThroughIiEEEEENSC_IJNS7_IJLi0EEEENS7_IJLi2EEEENS7_IJLi1EEEEEEENSC_IJNS7_IJLi1ELi2EEEENS7_IJLi3ELi4EEEENS7_IJLi5EEEEEEENS7_IJLi3ELi5ELi4EEEElEEKNSB_INSC_IJNSD_INSC_IJNSF_IiLi32EEES10_NSF_IiLi8EEEEEENSC_IJS11_NSF_IiLi256EEESG_EEELb0EEENS_3XorINSC_IJS10_S10_EEELb1EEENSL_IS11_EENSJ_INSC_IJS10_SG_EEELb0EEENSL_IS10_EES19_S1C_NS_21Merge_v3_division_modIS1A_EES19_EEENSC_IJSO_NS7_IJLi2ELi1EEEENS7_IJLi3EEEESU_NS7_IJLi4EEEENS7_IJLi6EEEENS7_IJLi7EEEENS7_IJLi9ELi8EEEENS7_IJLi10EEEEEEENSC_IJNS7_IJLi1ELi2ELi3EEEENS7_IJLi4ELi5EEEES1J_NS7_IJLi7ELi8EEEENS7_IJLi9EEEES1M_NS7_IJLi11EEEENS7_IJLi12EEEENS7_IJLi13EEEEEEENS7_IJLi11ELi12ELi13EEEENSF_IlLl8192EEEEESA_NS7_IJLi0ELi1ELi2EEEELi2ELi2ELi8ELi8ELi1ELi1ELb0ELb1ELi1EiE8RunWriteINS_13DynamicBufferILNS_16AddressSpaceEnumE2EDF16_S1X_Lb1ELNS_22AmdBufferCoherenceEnumE0EiEELi0EEEvRS1Z_RT_NSF_IiXT0_EEE@rel32@hi+24
	s_wait_alu 0xfffe
	s_swappc_b64 s[30:31], s[0:1]
	s_clause 0x10
	flat_load_u8 v32, v[164:165] offset:160
	flat_load_u8 v33, v[164:165] offset:176
	;; [unrolled: 1-line block ×7, first 2 shown]
	flat_load_b128 v[0:3], v[164:165] offset:16
	flat_load_b128 v[4:7], v[164:165] offset:32
	;; [unrolled: 1-line block ×7, first 2 shown]
	flat_load_u8 v39, v[164:165] offset:144
	flat_load_b128 v[28:31], v[164:165]
	flat_load_b32 v68, v[164:165] offset:456
	v_add_nc_u32_e32 v90, -1, v90
	s_wait_loadcnt_dscnt 0x1010
	v_and_b32_e32 v32, 1, v32
	s_delay_alu instid0(VALU_DEP_1)
	v_cmp_eq_u32_e32 vcc_lo, 1, v32
	s_wait_loadcnt_dscnt 0xf0f
	v_and_b32_e32 v33, 1, v33
	s_wait_loadcnt_dscnt 0xe0e
	v_and_b32_e32 v34, 1, v34
	s_wait_loadcnt_dscnt 0x909
	s_wait_alu 0xfffd
	v_dual_cndmask_b32 v0, 0, v0 :: v_dual_and_b32 v35, 1, v35
	v_cndmask_b32_e32 v2, 0, v2, vcc_lo
	v_cmp_eq_u32_e64 s0, 1, v33
	v_cndmask_b32_e32 v3, 0, v3, vcc_lo
	s_wait_loadcnt_dscnt 0x202
	v_and_b32_e32 v33, 1, v39
	v_cndmask_b32_e32 v1, 0, v1, vcc_lo
	v_cmp_eq_u32_e64 s1, 1, v34
	v_cmp_eq_u32_e64 s2, 1, v35
	s_wait_alu 0xf1ff
	v_cndmask_b32_e64 v7, 0, v7, s0
	v_cmp_eq_u32_e32 vcc_lo, 1, v33
	v_and_b32_e32 v36, 1, v36
	v_and_b32_e32 v37, 1, v37
	;; [unrolled: 1-line block ×3, first 2 shown]
	v_cndmask_b32_e64 v6, 0, v6, s0
	s_wait_loadcnt_dscnt 0x101
	s_wait_alu 0xfffd
	v_cndmask_b32_e32 v31, 0, v31, vcc_lo
	v_cmp_eq_u32_e64 s3, 1, v36
	v_cndmask_b32_e32 v30, 0, v30, vcc_lo
	v_cmp_eq_u32_e64 s4, 1, v37
	v_cndmask_b32_e64 v5, 0, v5, s0
	v_cndmask_b32_e64 v4, 0, v4, s0
	v_cndmask_b32_e32 v29, 0, v29, vcc_lo
	v_cmp_eq_u32_e64 s5, 1, v38
	v_cndmask_b32_e64 v11, 0, v11, s1
	v_cndmask_b32_e64 v10, 0, v10, s1
	;; [unrolled: 1-line block ×8, first 2 shown]
	s_wait_alu 0xf1ff
	v_cndmask_b32_e64 v19, 0, v19, s3
	v_cndmask_b32_e64 v18, 0, v18, s3
	;; [unrolled: 1-line block ×12, first 2 shown]
	s_clause 0x5
	flat_store_b128 v[164:165], v[4:7] offset:32
	flat_store_b128 v[164:165], v[8:11] offset:48
	;; [unrolled: 1-line block ×6, first 2 shown]
	s_clause 0x1
	flat_load_b128 v[24:27], v[164:165] offset:110
	flat_load_u16 v69, v[164:165] offset:126
	flat_store_b128 v[164:165], v[0:3] offset:16
	s_clause 0x4
	flat_load_b32 v32, v[164:165] offset:30
	flat_load_b32 v36, v[164:165] offset:46
	;; [unrolled: 1-line block ×5, first 2 shown]
	v_alignbit_b32 v3, v3, v2, 16
	v_alignbit_b32 v33, v5, v4, 16
	v_cndmask_b32_e32 v28, 0, v28, vcc_lo
	v_perm_b32 v0, v0, v0, 0x3020104
	v_perm_b32 v2, v2, v2, 0x3020504
	v_lshrrev_b32_e32 v4, 24, v3
	v_lshrrev_b32_e32 v3, 16, v3
	flat_store_b128 v[164:165], v[28:31]
	v_perm_b32 v34, v5, v6, 0x1000706
	v_alignbit_b32 v35, v7, v6, 16
	v_lshlrev_b16 v4, 8, v4
	v_and_b32_e32 v3, 0xff, v3
	v_alignbit_b32 v37, v9, v8, 16
	v_perm_b32 v38, v9, v10, 0x1000706
	v_alignbit_b32 v39, v11, v10, 16
	v_alignbit_b32 v49, v13, v12, 16
	v_or_b32_e32 v3, v3, v4
	v_perm_b32 v50, v13, v14, 0x1000706
	v_alignbit_b32 v51, v15, v14, 16
	v_alignbit_b32 v53, v17, v16, 16
	v_perm_b32 v54, v17, v18, 0x1000706
	v_alignbit_b32 v55, v19, v18, 16
	v_alignbit_b32 v65, v21, v20, 16
	v_perm_b32 v66, v21, v22, 0x1000706
	v_alignbit_b32 v67, v23, v22, 16
	s_clause 0x1
	flat_store_b128 v[164:165], v[28:31] offset:288
	flat_store_b96 v[164:165], v[0:2] offset:304
	s_wait_loadcnt_dscnt 0x60a
	flat_store_b128 v[164:165], v[24:27] offset:398
	s_wait_loadcnt_dscnt 0x50a
	s_clause 0x1
	flat_store_b16 v[164:165], v69 offset:414
	flat_store_b16 v[164:165], v3 offset:316
	s_wait_loadcnt_dscnt 0x40a
	flat_store_b128 v[164:165], v[32:35] offset:318
	s_wait_loadcnt_dscnt 0x30a
	flat_store_b128 v[164:165], v[36:39] offset:334
	;; [unrolled: 2-line block ×5, first 2 shown]
	flat_load_b64 v[0:1], v[134:135]
	v_ashrrev_i32_e32 v2, 31, v68
	s_wait_loadcnt_dscnt 0x0
	v_add_co_u32 v0, vcc_lo, v0, v68
	s_wait_alu 0xfffd
	s_delay_alu instid0(VALU_DEP_2)
	v_add_co_ci_u32_e64 v1, null, v1, v2, vcc_lo
	flat_store_b128 v[0:1], v[28:31]
	s_clause 0x4
	flat_load_b32 v7, v[164:165] offset:504
	flat_load_b32 v8, v[164:165] offset:492
	flat_load_b32 v9, v[164:165] offset:472
	flat_load_b128 v[0:3], v[164:165] offset:476
	flat_load_b96 v[4:6], v[164:165] offset:456
	s_wait_loadcnt_dscnt 0x404
	v_add_nc_u32_e32 v75, 1, v7
	s_wait_loadcnt_dscnt 0x101
	v_sub_nc_u32_e32 v10, v0, v3
	s_delay_alu instid0(VALU_DEP_2) | instskip(NEXT) | instid1(VALU_DEP_1)
	v_sub_nc_u32_e32 v1, v75, v8
	v_add_nc_u32_e32 v9, v9, v1
	s_delay_alu instid0(VALU_DEP_1) | instskip(SKIP_3) | instid1(VALU_DEP_3)
	v_ashrrev_i32_e32 v1, 31, v9
	s_wait_loadcnt_dscnt 0x0
	v_sub_nc_u32_e32 v6, v9, v6
	v_mov_b32_e32 v8, v9
	v_lshrrev_b32_e32 v1, 28, v1
	s_delay_alu instid0(VALU_DEP_3) | instskip(NEXT) | instid1(VALU_DEP_2)
	v_lshlrev_b32_e32 v6, 8, v6
	v_add_nc_u32_e32 v1, v9, v1
	s_delay_alu instid0(VALU_DEP_1) | instskip(NEXT) | instid1(VALU_DEP_1)
	v_and_b32_e32 v1, -16, v1
	v_sub_nc_u32_e32 v0, v9, v1
	s_delay_alu instid0(VALU_DEP_1) | instskip(SKIP_2) | instid1(VALU_DEP_1)
	v_xor_b32_e32 v7, v10, v0
	flat_load_b128 v[0:3], v[164:165] offset:304
	v_sub_nc_u32_e32 v5, v7, v5
	v_lshlrev_b32_e32 v5, 4, v5
	s_delay_alu instid0(VALU_DEP_1)
	v_add3_u32 v6, v6, v5, v4
	s_clause 0x3
	flat_store_b32 v[164:165], v75 offset:504
	flat_store_b64 v[164:165], v[74:75] offset:488
	flat_store_b64 v[164:165], v[9:10] offset:472
	flat_store_b96 v[164:165], v[6:8] offset:456
	flat_load_b64 v[4:5], v[134:135]
	v_ashrrev_i32_e32 v7, 31, v6
	s_wait_loadcnt_dscnt 0x0
	v_add_co_u32 v4, vcc_lo, v4, v6
	s_wait_alu 0xfffd
	s_delay_alu instid0(VALU_DEP_2)
	v_add_co_ci_u32_e64 v5, null, v5, v7, vcc_lo
	flat_store_b128 v[4:5], v[0:3]
	s_clause 0x4
	flat_load_b32 v7, v[164:165] offset:504
	flat_load_b32 v8, v[164:165] offset:492
	flat_load_b32 v9, v[164:165] offset:472
	flat_load_b128 v[0:3], v[164:165] offset:476
	flat_load_b96 v[4:6], v[164:165] offset:456
	s_wait_loadcnt_dscnt 0x404
	v_add_nc_u32_e32 v75, 1, v7
	s_wait_loadcnt_dscnt 0x101
	v_sub_nc_u32_e32 v10, v0, v3
	s_delay_alu instid0(VALU_DEP_2) | instskip(NEXT) | instid1(VALU_DEP_1)
	v_sub_nc_u32_e32 v1, v75, v8
	v_add_nc_u32_e32 v9, v9, v1
	s_delay_alu instid0(VALU_DEP_1) | instskip(SKIP_3) | instid1(VALU_DEP_3)
	v_ashrrev_i32_e32 v1, 31, v9
	s_wait_loadcnt_dscnt 0x0
	v_sub_nc_u32_e32 v6, v9, v6
	v_mov_b32_e32 v8, v9
	v_lshrrev_b32_e32 v1, 28, v1
	s_delay_alu instid0(VALU_DEP_3) | instskip(NEXT) | instid1(VALU_DEP_2)
	v_lshlrev_b32_e32 v6, 8, v6
	v_add_nc_u32_e32 v1, v9, v1
	s_delay_alu instid0(VALU_DEP_1) | instskip(NEXT) | instid1(VALU_DEP_1)
	v_and_b32_e32 v1, -16, v1
	v_sub_nc_u32_e32 v0, v9, v1
	s_delay_alu instid0(VALU_DEP_1) | instskip(SKIP_2) | instid1(VALU_DEP_1)
	v_xor_b32_e32 v7, v10, v0
	flat_load_b128 v[0:3], v[164:165] offset:320
	v_sub_nc_u32_e32 v5, v7, v5
	v_lshlrev_b32_e32 v5, 4, v5
	s_delay_alu instid0(VALU_DEP_1)
	v_add3_u32 v6, v6, v5, v4
	s_clause 0x3
	flat_store_b32 v[164:165], v75 offset:504
	flat_store_b64 v[164:165], v[74:75] offset:488
	flat_store_b64 v[164:165], v[9:10] offset:472
	flat_store_b96 v[164:165], v[6:8] offset:456
	;; [unrolled: 45-line block ×7, first 2 shown]
	flat_load_b64 v[4:5], v[134:135]
	v_ashrrev_i32_e32 v7, 31, v6
	s_wait_loadcnt_dscnt 0x0
	v_add_co_u32 v4, vcc_lo, v4, v6
	s_wait_alu 0xfffd
	s_delay_alu instid0(VALU_DEP_2)
	v_add_co_ci_u32_e64 v5, null, v5, v7, vcc_lo
	v_cmp_eq_u32_e32 vcc_lo, 0, v90
	flat_store_b128 v[4:5], v[0:3]
	s_clause 0x3
	flat_load_b32 v7, v[164:165] offset:504
	flat_load_b64 v[3:4], v[164:165] offset:488
	flat_load_b64 v[5:6], v[164:165] offset:472
	flat_load_b96 v[0:2], v[164:165] offset:456
	s_or_b32 s8, vcc_lo, s8
	s_wait_loadcnt_dscnt 0x303
	v_add_nc_u32_e32 v75, -7, v7
	s_clause 0x1
	flat_store_b32 v[164:165], v75 offset:504
	flat_store_b64 v[164:165], v[74:75] offset:488
	s_wait_loadcnt_dscnt 0x204
	v_sub_nc_u32_e32 v4, v75, v4
	s_wait_loadcnt_dscnt 0x103
	v_sub_nc_u32_e32 v6, v6, v3
	s_delay_alu instid0(VALU_DEP_2) | instskip(NEXT) | instid1(VALU_DEP_1)
	v_add_nc_u32_e32 v5, v5, v4
	v_ashrrev_i32_e32 v4, 31, v5
	s_wait_loadcnt_dscnt 0x2
	v_sub_nc_u32_e32 v2, v5, v2
	s_delay_alu instid0(VALU_DEP_2) | instskip(NEXT) | instid1(VALU_DEP_2)
	v_lshrrev_b32_e32 v4, 28, v4
	v_lshlrev_b32_e32 v2, 8, v2
	s_delay_alu instid0(VALU_DEP_2) | instskip(NEXT) | instid1(VALU_DEP_1)
	v_add_nc_u32_e32 v4, v5, v4
	v_and_b32_e32 v4, -16, v4
	s_delay_alu instid0(VALU_DEP_1) | instskip(SKIP_1) | instid1(VALU_DEP_2)
	v_sub_nc_u32_e32 v3, v5, v4
	v_mov_b32_e32 v4, v5
	v_xor_b32_e32 v3, v6, v3
	s_delay_alu instid0(VALU_DEP_1) | instskip(NEXT) | instid1(VALU_DEP_1)
	v_sub_nc_u32_e32 v1, v3, v1
	v_lshlrev_b32_e32 v1, 4, v1
	s_delay_alu instid0(VALU_DEP_1)
	v_add3_u32 v2, v2, v1, v0
	s_clause 0x1
	flat_store_b64 v[164:165], v[5:6] offset:472
	flat_store_b96 v[164:165], v[2:4] offset:456
	s_wait_alu 0xfffe
	s_and_not1_b32 exec_lo, exec_lo, s8
	s_cbranch_execz .LBB7_2170
.LBB7_62:                               ; =>This Loop Header: Depth=1
                                        ;     Child Loop BB7_63 Depth 2
                                        ;     Child Loop BB7_65 Depth 2
	;; [unrolled: 1-line block ×24, first 2 shown]
	flat_load_b64 v[4:5], v[148:149] offset:688
	s_mov_b32 s1, exec_lo
	flat_store_b8 v[148:149], v79 offset:272
	s_wait_loadcnt_dscnt 0x1
	v_lshlrev_b32_e32 v6, 1, v4
.LBB7_63:                               ;   Parent Loop BB7_62 Depth=1
                                        ; =>  This Inner Loop Header: Depth=2
	v_readfirstlane_b32 s4, v178
	v_readfirstlane_b32 s5, v179
	;; [unrolled: 1-line block ×4, first 2 shown]
	s_wait_alu 0xf1ff
	s_delay_alu instid0(VALU_DEP_3) | instskip(NEXT) | instid1(VALU_DEP_2)
	v_cmp_eq_u64_e32 vcc_lo, s[4:5], v[178:179]
	v_cmp_eq_u64_e64 s0, s[6:7], v[72:73]
	s_and_b32 s0, vcc_lo, s0
	s_wait_alu 0xfffe
	s_and_saveexec_b32 s0, s0
	s_wait_loadcnt 0x0
	buffer_load_b128 v[0:3], v6, s[4:7], null offen
                                        ; implicit-def: $vgpr6
	s_xor_b32 exec_lo, exec_lo, s0
	s_cbranch_execnz .LBB7_63
; %bb.64:                               ;   in Loop: Header=BB7_62 Depth=1
	s_mov_b32 exec_lo, s1
	flat_load_b32 v6, v[148:149] offset:708
	v_add_nc_u32_e32 v8, 1, v5
	s_mov_b32 s1, exec_lo
	s_wait_loadcnt_dscnt 0x0
	v_add_nc_u32_e32 v7, 1, v6
	s_clause 0x2
	flat_store_b128 v[148:149], v[0:3]
	flat_store_b32 v[148:149], v7 offset:708
	flat_store_b32 v[148:149], v8 offset:692
	flat_load_b32 v0, v[180:181] offset:8
	s_wait_loadcnt_dscnt 0x0
	v_add_nc_u32_e32 v4, v0, v4
	s_clause 0x1
	flat_store_b32 v[148:149], v4 offset:688
	flat_store_b8 v[148:149], v79 offset:280
	v_lshlrev_b32_e32 v7, 1, v4
.LBB7_65:                               ;   Parent Loop BB7_62 Depth=1
                                        ; =>  This Inner Loop Header: Depth=2
	v_readfirstlane_b32 s4, v178
	v_readfirstlane_b32 s5, v179
	v_readfirstlane_b32 s6, v72
	v_readfirstlane_b32 s7, v73
	s_wait_alu 0xf1ff
	s_delay_alu instid0(VALU_DEP_3) | instskip(NEXT) | instid1(VALU_DEP_2)
	v_cmp_eq_u64_e32 vcc_lo, s[4:5], v[178:179]
	v_cmp_eq_u64_e64 s0, s[6:7], v[72:73]
	s_and_b32 s0, vcc_lo, s0
	s_wait_alu 0xfffe
	s_and_saveexec_b32 s0, s0
	s_wait_loadcnt 0x0
	buffer_load_b128 v[0:3], v7, s[4:7], null offen
                                        ; implicit-def: $vgpr7
	s_xor_b32 exec_lo, exec_lo, s0
	s_cbranch_execnz .LBB7_65
; %bb.66:                               ;   in Loop: Header=BB7_62 Depth=1
	s_mov_b32 exec_lo, s1
	v_add_nc_u32_e32 v7, 2, v6
	v_add_nc_u32_e32 v8, 2, v5
	s_mov_b32 s1, exec_lo
	s_wait_loadcnt 0x0
	s_clause 0x2
	flat_store_b128 v[148:149], v[0:3] offset:16
	flat_store_b32 v[148:149], v7 offset:708
	flat_store_b32 v[148:149], v8 offset:692
	flat_load_b32 v0, v[180:181] offset:8
	s_wait_loadcnt_dscnt 0x0
	v_add_nc_u32_e32 v4, v0, v4
	s_clause 0x1
	flat_store_b32 v[148:149], v4 offset:688
	flat_store_b8 v[148:149], v79 offset:288
	v_lshlrev_b32_e32 v7, 1, v4
.LBB7_67:                               ;   Parent Loop BB7_62 Depth=1
                                        ; =>  This Inner Loop Header: Depth=2
	v_readfirstlane_b32 s4, v178
	v_readfirstlane_b32 s5, v179
	v_readfirstlane_b32 s6, v72
	v_readfirstlane_b32 s7, v73
	s_wait_alu 0xf1ff
	s_delay_alu instid0(VALU_DEP_3) | instskip(NEXT) | instid1(VALU_DEP_2)
	v_cmp_eq_u64_e32 vcc_lo, s[4:5], v[178:179]
	v_cmp_eq_u64_e64 s0, s[6:7], v[72:73]
	s_and_b32 s0, vcc_lo, s0
	s_wait_alu 0xfffe
	s_and_saveexec_b32 s0, s0
	s_wait_loadcnt 0x0
	buffer_load_b128 v[0:3], v7, s[4:7], null offen
                                        ; implicit-def: $vgpr7
	s_xor_b32 exec_lo, exec_lo, s0
	s_cbranch_execnz .LBB7_67
; %bb.68:                               ;   in Loop: Header=BB7_62 Depth=1
	s_mov_b32 exec_lo, s1
	v_add_nc_u32_e32 v7, 3, v6
	v_add_nc_u32_e32 v8, 3, v5
	s_mov_b32 s1, exec_lo
	s_wait_loadcnt 0x0
	s_clause 0x2
	flat_store_b128 v[148:149], v[0:3] offset:32
	;; [unrolled: 35-line block ×14, first 2 shown]
	flat_store_b32 v[148:149], v6 offset:708
	flat_store_b32 v[148:149], v5 offset:692
	flat_load_b32 v0, v[180:181] offset:8
	s_wait_loadcnt_dscnt 0x0
	v_add_nc_u32_e32 v0, v0, v4
	s_clause 0x1
	flat_store_b32 v[148:149], v0 offset:688
	flat_store_b8 v[148:149], v79 offset:392
	v_lshlrev_b32_e32 v4, 1, v0
.LBB7_93:                               ;   Parent Loop BB7_62 Depth=1
                                        ; =>  This Inner Loop Header: Depth=2
	v_readfirstlane_b32 s4, v178
	v_readfirstlane_b32 s5, v179
	;; [unrolled: 1-line block ×4, first 2 shown]
	s_wait_alu 0xf1ff
	s_delay_alu instid0(VALU_DEP_3) | instskip(NEXT) | instid1(VALU_DEP_2)
	v_cmp_eq_u64_e32 vcc_lo, s[4:5], v[178:179]
	v_cmp_eq_u64_e64 s0, s[6:7], v[72:73]
	s_and_b32 s0, vcc_lo, s0
	s_wait_alu 0xfffe
	s_and_saveexec_b32 s0, s0
	s_wait_loadcnt 0x0
	buffer_load_b128 v[0:3], v4, s[4:7], null offen
                                        ; implicit-def: $vgpr4
	s_xor_b32 exec_lo, exec_lo, s0
	s_cbranch_execnz .LBB7_93
; %bb.94:                               ;   in Loop: Header=BB7_62 Depth=1
	s_mov_b32 exec_lo, s1
	s_wait_loadcnt 0x0
	flat_store_b128 v[148:149], v[0:3] offset:240
	flat_load_b64 v[4:5], v[164:165] offset:432
	s_mov_b32 s1, exec_lo
	flat_store_b8 v[164:165], v79 offset:144
.LBB7_95:                               ;   Parent Loop BB7_62 Depth=1
                                        ; =>  This Inner Loop Header: Depth=2
	v_readfirstlane_b32 s4, v162
	v_readfirstlane_b32 s5, v163
	;; [unrolled: 1-line block ×4, first 2 shown]
	s_wait_alu 0xf1ff
	s_delay_alu instid0(VALU_DEP_3) | instskip(NEXT) | instid1(VALU_DEP_2)
	v_cmp_eq_u64_e32 vcc_lo, s[4:5], v[162:163]
	v_cmp_eq_u64_e64 s0, s[6:7], v[160:161]
	s_and_b32 s0, vcc_lo, s0
	s_wait_alu 0xfffe
	s_and_saveexec_b32 s0, s0
	s_wait_loadcnt_dscnt 0x1
	buffer_load_b128 v[0:3], v4, s[4:7], null offen
	s_xor_b32 exec_lo, exec_lo, s0
	s_cbranch_execnz .LBB7_95
; %bb.96:                               ;   in Loop: Header=BB7_62 Depth=1
	s_mov_b32 exec_lo, s1
	flat_load_b32 v6, v[164:165] offset:452
	v_add_nc_u32_e32 v8, 1, v5
	s_mov_b32 s1, exec_lo
	s_wait_loadcnt_dscnt 0x0
	v_add_nc_u32_e32 v7, 1, v6
	s_clause 0x2
	flat_store_b128 v[164:165], v[0:3]
	flat_store_b32 v[164:165], v7 offset:452
	flat_store_b32 v[164:165], v8 offset:436
	flat_load_b32 v0, v[166:167] offset:8
	s_wait_loadcnt_dscnt 0x0
	v_add_nc_u32_e32 v4, v0, v4
	s_clause 0x1
	flat_store_b32 v[164:165], v4 offset:432
	flat_store_b8 v[164:165], v79 offset:160
.LBB7_97:                               ;   Parent Loop BB7_62 Depth=1
                                        ; =>  This Inner Loop Header: Depth=2
	v_readfirstlane_b32 s4, v162
	v_readfirstlane_b32 s5, v163
	;; [unrolled: 1-line block ×4, first 2 shown]
	s_wait_alu 0xf1ff
	s_delay_alu instid0(VALU_DEP_3) | instskip(NEXT) | instid1(VALU_DEP_2)
	v_cmp_eq_u64_e32 vcc_lo, s[4:5], v[162:163]
	v_cmp_eq_u64_e64 s0, s[6:7], v[160:161]
	s_and_b32 s0, vcc_lo, s0
	s_wait_alu 0xfffe
	s_and_saveexec_b32 s0, s0
	s_wait_loadcnt 0x0
	buffer_load_b128 v[0:3], v4, s[4:7], null offen
	s_xor_b32 exec_lo, exec_lo, s0
	s_cbranch_execnz .LBB7_97
; %bb.98:                               ;   in Loop: Header=BB7_62 Depth=1
	s_mov_b32 exec_lo, s1
	v_add_nc_u32_e32 v7, 2, v6
	v_add_nc_u32_e32 v8, 2, v5
	s_mov_b32 s1, exec_lo
	s_wait_loadcnt 0x0
	s_clause 0x2
	flat_store_b128 v[164:165], v[0:3] offset:16
	flat_store_b32 v[164:165], v7 offset:452
	flat_store_b32 v[164:165], v8 offset:436
	flat_load_b32 v0, v[166:167] offset:8
	s_wait_loadcnt_dscnt 0x0
	v_add_nc_u32_e32 v4, v0, v4
	s_clause 0x1
	flat_store_b32 v[164:165], v4 offset:432
	flat_store_b8 v[164:165], v79 offset:176
.LBB7_99:                               ;   Parent Loop BB7_62 Depth=1
                                        ; =>  This Inner Loop Header: Depth=2
	v_readfirstlane_b32 s4, v162
	v_readfirstlane_b32 s5, v163
	v_readfirstlane_b32 s6, v160
	v_readfirstlane_b32 s7, v161
	s_wait_alu 0xf1ff
	s_delay_alu instid0(VALU_DEP_3) | instskip(NEXT) | instid1(VALU_DEP_2)
	v_cmp_eq_u64_e32 vcc_lo, s[4:5], v[162:163]
	v_cmp_eq_u64_e64 s0, s[6:7], v[160:161]
	s_and_b32 s0, vcc_lo, s0
	s_wait_alu 0xfffe
	s_and_saveexec_b32 s0, s0
	s_wait_loadcnt 0x0
	buffer_load_b128 v[0:3], v4, s[4:7], null offen
	s_xor_b32 exec_lo, exec_lo, s0
	s_cbranch_execnz .LBB7_99
; %bb.100:                              ;   in Loop: Header=BB7_62 Depth=1
	s_mov_b32 exec_lo, s1
	v_add_nc_u32_e32 v7, 3, v6
	v_add_nc_u32_e32 v8, 3, v5
	s_mov_b32 s1, exec_lo
	s_wait_loadcnt 0x0
	s_clause 0x2
	flat_store_b128 v[164:165], v[0:3] offset:32
	flat_store_b32 v[164:165], v7 offset:452
	flat_store_b32 v[164:165], v8 offset:436
	flat_load_b32 v0, v[166:167] offset:8
	s_wait_loadcnt_dscnt 0x0
	v_add_nc_u32_e32 v4, v0, v4
	s_clause 0x1
	flat_store_b32 v[164:165], v4 offset:432
	flat_store_b8 v[164:165], v79 offset:192
.LBB7_101:                              ;   Parent Loop BB7_62 Depth=1
                                        ; =>  This Inner Loop Header: Depth=2
	v_readfirstlane_b32 s4, v162
	v_readfirstlane_b32 s5, v163
	v_readfirstlane_b32 s6, v160
	v_readfirstlane_b32 s7, v161
	s_wait_alu 0xf1ff
	s_delay_alu instid0(VALU_DEP_3) | instskip(NEXT) | instid1(VALU_DEP_2)
	v_cmp_eq_u64_e32 vcc_lo, s[4:5], v[162:163]
	v_cmp_eq_u64_e64 s0, s[6:7], v[160:161]
	s_and_b32 s0, vcc_lo, s0
	s_wait_alu 0xfffe
	s_and_saveexec_b32 s0, s0
	s_wait_loadcnt 0x0
	buffer_load_b128 v[0:3], v4, s[4:7], null offen
	s_xor_b32 exec_lo, exec_lo, s0
	s_cbranch_execnz .LBB7_101
; %bb.102:                              ;   in Loop: Header=BB7_62 Depth=1
	s_mov_b32 exec_lo, s1
	v_add_nc_u32_e32 v7, 4, v6
	v_add_nc_u32_e32 v8, 4, v5
	s_mov_b32 s1, exec_lo
	s_wait_loadcnt 0x0
	s_clause 0x2
	flat_store_b128 v[164:165], v[0:3] offset:48
	flat_store_b32 v[164:165], v7 offset:452
	flat_store_b32 v[164:165], v8 offset:436
	flat_load_b32 v0, v[166:167] offset:8
	s_wait_loadcnt_dscnt 0x0
	v_add_nc_u32_e32 v4, v0, v4
	s_clause 0x1
	flat_store_b32 v[164:165], v4 offset:432
	flat_store_b8 v[164:165], v79 offset:208
.LBB7_103:                              ;   Parent Loop BB7_62 Depth=1
                                        ; =>  This Inner Loop Header: Depth=2
	v_readfirstlane_b32 s4, v162
	v_readfirstlane_b32 s5, v163
	v_readfirstlane_b32 s6, v160
	v_readfirstlane_b32 s7, v161
	s_wait_alu 0xf1ff
	s_delay_alu instid0(VALU_DEP_3) | instskip(NEXT) | instid1(VALU_DEP_2)
	v_cmp_eq_u64_e32 vcc_lo, s[4:5], v[162:163]
	v_cmp_eq_u64_e64 s0, s[6:7], v[160:161]
	s_and_b32 s0, vcc_lo, s0
	s_wait_alu 0xfffe
	s_and_saveexec_b32 s0, s0
	s_wait_loadcnt 0x0
	buffer_load_b128 v[0:3], v4, s[4:7], null offen
	s_xor_b32 exec_lo, exec_lo, s0
	s_cbranch_execnz .LBB7_103
	;; [unrolled: 33-line block ×4, first 2 shown]
; %bb.108:                              ;   in Loop: Header=BB7_62 Depth=1
	s_mov_b32 exec_lo, s1
	v_add_nc_u32_e32 v6, 7, v6
	v_add_nc_u32_e32 v5, 7, v5
	s_mov_b32 s1, exec_lo
	s_wait_loadcnt 0x0
	s_clause 0x2
	flat_store_b128 v[164:165], v[0:3] offset:96
	flat_store_b32 v[164:165], v6 offset:452
	flat_store_b32 v[164:165], v5 offset:436
	flat_load_b32 v0, v[166:167] offset:8
	s_wait_loadcnt_dscnt 0x0
	v_add_nc_u32_e32 v4, v0, v4
	s_clause 0x1
	flat_store_b32 v[164:165], v4 offset:432
	flat_store_b8 v[164:165], v79 offset:256
.LBB7_109:                              ;   Parent Loop BB7_62 Depth=1
                                        ; =>  This Inner Loop Header: Depth=2
	v_readfirstlane_b32 s4, v162
	v_readfirstlane_b32 s5, v163
	;; [unrolled: 1-line block ×4, first 2 shown]
	s_wait_alu 0xf1ff
	s_delay_alu instid0(VALU_DEP_3) | instskip(NEXT) | instid1(VALU_DEP_2)
	v_cmp_eq_u64_e32 vcc_lo, s[4:5], v[162:163]
	v_cmp_eq_u64_e64 s0, s[6:7], v[160:161]
	s_and_b32 s0, vcc_lo, s0
	s_wait_alu 0xfffe
	s_and_saveexec_b32 s0, s0
	s_wait_loadcnt 0x0
	buffer_load_b128 v[0:3], v4, s[4:7], null offen
                                        ; implicit-def: $vgpr4
	s_xor_b32 exec_lo, exec_lo, s0
	s_cbranch_execnz .LBB7_109
; %bb.110:                              ;   in Loop: Header=BB7_62 Depth=1
	s_mov_b32 exec_lo, s1
	s_wait_loadcnt 0x0
	flat_store_b128 v[164:165], v[0:3] offset:112
	flat_load_b96 v[0:2], v[176:177]
	flat_load_b96 v[4:6], v[148:149] offset:700
	s_mov_b32 s0, exec_lo
	s_wait_loadcnt_dscnt 0x101
	v_add_nc_u32_e32 v3, -15, v1
	s_wait_loadcnt_dscnt 0x0
	v_add_nc_u32_e32 v4, v4, v0
	v_add_nc_u32_e32 v5, v5, v2
	s_delay_alu instid0(VALU_DEP_3)
	v_add_nc_u32_e32 v6, v6, v3
	flat_store_b96 v[148:149], v[4:6] offset:700
	v_cmpx_ne_u32_e32 0, v3
	s_cbranch_execz .LBB7_112
; %bb.111:                              ;   in Loop: Header=BB7_62 Depth=1
	flat_load_b32 v1, v[148:149] offset:692
	s_wait_loadcnt_dscnt 0x0
	v_add_nc_u32_e32 v1, v1, v3
	flat_store_b32 v[148:149], v1 offset:692
.LBB7_112:                              ;   in Loop: Header=BB7_62 Depth=1
	s_wait_alu 0xfffe
	s_or_b32 exec_lo, exec_lo, s0
	v_or_b32_e32 v4, v2, v0
	v_mov_b32_e32 v1, 0
	s_mov_b32 s0, exec_lo
	s_delay_alu instid0(VALU_DEP_2)
	v_cmpx_ne_u32_e32 0, v4
	s_cbranch_execz .LBB7_114
; %bb.113:                              ;   in Loop: Header=BB7_62 Depth=1
	flat_load_b32 v5, v[180:181] offset:24
	flat_load_b32 v6, v[148:149] offset:696
	v_mov_b32_e32 v1, v2
	s_wait_loadcnt_dscnt 0x101
	s_delay_alu instid0(VALU_DEP_1) | instskip(SKIP_1) | instid1(VALU_DEP_1)
	v_mad_co_u64_u32 v[1:2], null, v5, v0, v[1:2]
	s_wait_loadcnt_dscnt 0x0
	v_add_nc_u32_e32 v0, v1, v6
	flat_store_b32 v[148:149], v0 offset:696
.LBB7_114:                              ;   in Loop: Header=BB7_62 Depth=1
	s_wait_alu 0xfffe
	s_or_b32 exec_lo, exec_lo, s0
	v_or_b32_e32 v0, v4, v3
	s_mov_b32 s0, exec_lo
	s_delay_alu instid0(VALU_DEP_1)
	v_cmpx_ne_u32_e32 0, v0
	s_cbranch_execz .LBB7_116
; %bb.115:                              ;   in Loop: Header=BB7_62 Depth=1
	flat_load_b32 v0, v[180:181] offset:8
	flat_load_b32 v2, v[148:149] offset:688
	s_wait_loadcnt_dscnt 0x101
	v_mul_lo_u32 v0, v0, v3
	s_wait_loadcnt_dscnt 0x0
	s_delay_alu instid0(VALU_DEP_1)
	v_add3_u32 v0, v2, v1, v0
	flat_store_b32 v[148:149], v0 offset:688
.LBB7_116:                              ;   in Loop: Header=BB7_62 Depth=1
	s_wait_alu 0xfffe
	s_or_b32 exec_lo, exec_lo, s0
	flat_load_b96 v[0:2], v[150:151]
	flat_load_b96 v[4:6], v[164:165] offset:444
	s_mov_b32 s0, exec_lo
	s_wait_loadcnt_dscnt 0x101
	v_add_nc_u32_e32 v3, -7, v1
	s_wait_loadcnt_dscnt 0x0
	v_add_nc_u32_e32 v4, v4, v0
	v_add_nc_u32_e32 v5, v5, v2
	s_delay_alu instid0(VALU_DEP_3)
	v_add_nc_u32_e32 v6, v6, v3
	flat_store_b96 v[164:165], v[4:6] offset:444
	v_cmpx_ne_u32_e32 0, v3
	s_cbranch_execz .LBB7_118
; %bb.117:                              ;   in Loop: Header=BB7_62 Depth=1
	flat_load_b32 v1, v[164:165] offset:436
	s_wait_loadcnt_dscnt 0x0
	v_add_nc_u32_e32 v1, v1, v3
	flat_store_b32 v[164:165], v1 offset:436
.LBB7_118:                              ;   in Loop: Header=BB7_62 Depth=1
	s_wait_alu 0xfffe
	s_or_b32 exec_lo, exec_lo, s0
	v_or_b32_e32 v4, v2, v0
	v_mov_b32_e32 v1, 0
	s_mov_b32 s0, exec_lo
	s_delay_alu instid0(VALU_DEP_2)
	v_cmpx_ne_u32_e32 0, v4
	s_cbranch_execz .LBB7_120
; %bb.119:                              ;   in Loop: Header=BB7_62 Depth=1
	flat_load_b32 v5, v[166:167] offset:24
	flat_load_b32 v6, v[164:165] offset:440
	v_mov_b32_e32 v1, v2
	s_wait_loadcnt_dscnt 0x101
	s_delay_alu instid0(VALU_DEP_1) | instskip(SKIP_1) | instid1(VALU_DEP_1)
	v_mad_co_u64_u32 v[1:2], null, v5, v0, v[1:2]
	s_wait_loadcnt_dscnt 0x0
	v_add_nc_u32_e32 v0, v1, v6
	flat_store_b32 v[164:165], v0 offset:440
.LBB7_120:                              ;   in Loop: Header=BB7_62 Depth=1
	s_wait_alu 0xfffe
	s_or_b32 exec_lo, exec_lo, s0
	v_or_b32_e32 v0, v4, v3
	s_mov_b32 s0, exec_lo
	s_delay_alu instid0(VALU_DEP_1)
	v_cmpx_ne_u32_e32 0, v0
	s_cbranch_execz .LBB7_122
; %bb.121:                              ;   in Loop: Header=BB7_62 Depth=1
	flat_load_b32 v0, v[166:167] offset:8
	flat_load_b32 v2, v[164:165] offset:432
	s_wait_loadcnt_dscnt 0x101
	v_mul_lo_u32 v0, v0, v3
	s_wait_loadcnt_dscnt 0x0
	s_delay_alu instid0(VALU_DEP_1)
	v_add3_u32 v0, v2, v1, v0
	flat_store_b32 v[164:165], v0 offset:432
.LBB7_122:                              ;   in Loop: Header=BB7_62 Depth=1
	s_wait_alu 0xfffe
	s_or_b32 exec_lo, exec_lo, s0
	s_wait_dscnt 0x0
	s_barrier_signal -1
	s_barrier_wait -1
	s_clause 0x4
	flat_load_b96 v[0:2], v[146:147] offset:208
	flat_load_b64 v[3:4], v[146:147] offset:224
	flat_load_b64 v[5:6], v[146:147] offset:260
	flat_load_b32 v11, v[146:147] offset:252
	flat_load_b32 v116, v[146:147] offset:280
	flat_load_b64 v[100:101], v[134:135]
	flat_load_b64 v[7:8], v[144:145]
	s_mov_b32 s0, 0
	s_mov_b32 s1, exec_lo
	s_wait_loadcnt_dscnt 0x606
	v_ashrrev_i32_e32 v10, 31, v0
	s_wait_loadcnt_dscnt 0x505
	v_sub_nc_u32_e32 v2, v3, v2
	s_wait_loadcnt_dscnt 0x404
	v_add_nc_u32_e32 v13, 8, v6
	s_wait_loadcnt_dscnt 0x303
	v_sub_nc_u32_e32 v14, v4, v11
	v_ashrrev_i32_e32 v4, 31, v3
	v_add_nc_u32_e32 v15, 16, v6
	v_dual_mov_b32 v9, v0 :: v_dual_add_nc_u32 v16, 24, v6
	v_add_nc_u32_e32 v17, 32, v6
	v_add_nc_u32_e32 v18, 40, v6
	;; [unrolled: 1-line block ×12, first 2 shown]
	v_ashrrev_i32_e32 v28, 31, v13
	v_lshrrev_b32_e32 v4, 27, v4
	v_lshl_add_u32 v0, v2, 8, v0
	v_ashrrev_i32_e32 v2, 31, v15
	v_lshlrev_b64_e32 v[9:10], 1, v[9:10]
	v_ashrrev_i32_e32 v29, 31, v16
	s_wait_loadcnt_dscnt 0x202
	v_ashrrev_i32_e32 v12, 31, v116
	v_ashrrev_i32_e32 v30, 31, v17
	;; [unrolled: 1-line block ×13, first 2 shown]
	v_lshrrev_b32_e32 v28, 29, v28
	v_add_nc_u32_e32 v50, v3, v4
	v_sub_nc_u32_e32 v51, v0, v5
	v_lshrrev_b32_e32 v0, 29, v2
	s_wait_loadcnt_dscnt 0x101
	v_add_co_u32 v11, vcc_lo, v100, v116
	v_lshrrev_b32_e32 v2, 29, v29
	s_wait_alu 0xfffd
	v_add_co_ci_u32_e64 v12, null, v101, v12, vcc_lo
	v_lshrrev_b32_e32 v29, 29, v30
	v_lshrrev_b32_e32 v30, 29, v31
	;; [unrolled: 1-line block ×12, first 2 shown]
	s_wait_loadcnt_dscnt 0x0
	v_add_co_u32 v4, vcc_lo, v7, v9
	v_add_nc_u32_e32 v9, v13, v28
	s_wait_alu 0xfffd
	v_add_co_ci_u32_e64 v5, null, v8, v10, vcc_lo
	v_and_b32_e32 v10, 0xffffffe0, v50
	v_add_nc_u32_e32 v0, v15, v0
	v_add_nc_u32_e32 v2, v16, v2
	flat_load_b128 v[96:99], v[11:12]
	v_add_nc_u32_e32 v11, v17, v29
	v_add_nc_u32_e32 v12, v18, v30
	;; [unrolled: 1-line block ×12, first 2 shown]
	v_lshrrev_b32_e32 v38, 3, v9
	v_and_b32_e32 v9, -8, v9
	v_sub_nc_u32_e32 v3, v3, v10
	v_lshrrev_b32_e32 v10, 3, v0
	v_and_b32_e32 v0, -8, v0
	v_lshrrev_b32_e32 v39, 3, v2
	v_and_b32_e32 v2, -8, v2
	v_lshrrev_b32_e32 v48, 3, v11
	v_and_b32_e32 v11, -8, v11
	v_lshrrev_b32_e32 v49, 3, v12
	v_and_b32_e32 v12, -8, v12
	v_lshrrev_b32_e32 v50, 3, v28
	v_and_b32_e32 v28, -8, v28
	v_lshrrev_b32_e32 v52, 3, v29
	v_and_b32_e32 v29, -8, v29
	v_lshrrev_b32_e32 v53, 3, v30
	v_and_b32_e32 v30, -8, v30
	v_lshrrev_b32_e32 v54, 3, v31
	v_and_b32_e32 v31, -8, v31
	v_lshrrev_b32_e32 v55, 3, v32
	v_and_b32_e32 v32, -8, v32
	v_lshrrev_b32_e32 v64, 3, v33
	v_and_b32_e32 v33, -8, v33
	v_lshrrev_b32_e32 v65, 3, v34
	v_and_b32_e32 v34, -8, v34
	v_lshrrev_b32_e32 v66, 3, v35
	v_and_b32_e32 v35, -8, v35
	v_lshrrev_b32_e32 v67, 3, v36
	v_and_b32_e32 v36, -8, v36
	v_lshrrev_b32_e32 v68, 3, v37
	v_sub_nc_u32_e32 v9, v13, v9
	v_add_nc_u32_e32 v13, v38, v14
	v_sub_nc_u32_e32 v15, v15, v0
	v_add_nc_u32_e32 v0, v10, v14
	;; [unrolled: 2-line block ×14, first 2 shown]
	v_add_nc_u32_e32 v14, v68, v14
	v_xor_b32_e32 v13, v13, v3
	v_xor_b32_e32 v0, v0, v3
	v_xor_b32_e32 v2, v2, v3
	v_xor_b32_e32 v16, v16, v3
	v_xor_b32_e32 v17, v17, v3
	v_xor_b32_e32 v19, v19, v3
	v_xor_b32_e32 v28, v28, v3
	v_xor_b32_e32 v29, v29, v3
	v_xor_b32_e32 v30, v30, v3
	v_xor_b32_e32 v31, v31, v3
	v_xor_b32_e32 v32, v32, v3
	v_xor_b32_e32 v25, v25, v3
	v_xor_b32_e32 v34, v34, v3
	v_xor_b32_e32 v27, v27, v3
	v_xor_b32_e32 v3, v14, v3
	v_sub_nc_u32_e32 v13, v13, v1
	v_sub_nc_u32_e32 v0, v0, v1
	;; [unrolled: 1-line block ×3, first 2 shown]
	v_and_b32_e32 v37, -8, v37
	v_sub_nc_u32_e32 v14, v16, v1
	v_sub_nc_u32_e32 v16, v17, v1
	;; [unrolled: 1-line block ×12, first 2 shown]
	v_lshlrev_b32_e32 v3, 3, v13
	v_lshlrev_b32_e32 v13, 3, v0
	;; [unrolled: 1-line block ×3, first 2 shown]
	v_sub_nc_u32_e32 v6, v6, v37
	v_lshlrev_b32_e32 v36, 3, v25
	v_lshlrev_b32_e32 v1, 3, v1
	v_add3_u32 v0, v9, v51, v3
	v_lshlrev_b32_e32 v14, 3, v14
	v_add3_u32 v2, v15, v51, v13
	;; [unrolled: 2-line block ×3, first 2 shown]
	v_lshlrev_b32_e32 v17, 3, v17
	v_lshlrev_b32_e32 v37, 3, v27
	v_add3_u32 v27, v33, v51, v36
	v_add3_u32 v33, v6, v51, v1
	v_ashrrev_i32_e32 v1, 31, v0
	v_add3_u32 v11, v11, v51, v14
	v_lshlrev_b32_e32 v19, 3, v19
	v_ashrrev_i32_e32 v3, 31, v2
	v_add3_u32 v13, v12, v51, v16
	v_lshlrev_b32_e32 v28, 3, v28
	v_ashrrev_i32_e32 v10, 31, v9
	v_add3_u32 v15, v18, v51, v17
	v_lshlrev_b64_e32 v[0:1], 1, v[0:1]
	v_lshlrev_b32_e32 v29, 3, v29
	v_ashrrev_i32_e32 v12, 31, v11
	v_add3_u32 v17, v20, v51, v19
	v_lshlrev_b64_e32 v[2:3], 1, v[2:3]
	;; [unrolled: 4-line block ×4, first 2 shown]
	v_add_co_u32 v0, vcc_lo, v7, v0
	v_ashrrev_i32_e32 v18, 31, v17
	v_add3_u32 v23, v23, v51, v30
	v_lshlrev_b64_e32 v[13:14], 1, v[13:14]
	s_wait_alu 0xfffd
	v_add_co_ci_u32_e64 v1, null, v8, v1, vcc_lo
	v_add_co_u32 v2, vcc_lo, v7, v2
	v_lshlrev_b32_e32 v32, 3, v32
	v_ashrrev_i32_e32 v20, 31, v19
	v_add3_u32 v25, v24, v51, v31
	v_lshlrev_b64_e32 v[15:16], 1, v[15:16]
	s_wait_alu 0xfffd
	v_add_co_ci_u32_e64 v3, null, v8, v3, vcc_lo
	v_add_co_u32 v9, vcc_lo, v7, v9
	v_ashrrev_i32_e32 v22, 31, v21
	v_lshlrev_b64_e32 v[17:18], 1, v[17:18]
	s_wait_alu 0xfffd
	v_add_co_ci_u32_e64 v10, null, v8, v10, vcc_lo
	v_add_co_u32 v11, vcc_lo, v7, v11
	v_ashrrev_i32_e32 v24, 31, v23
	v_add3_u32 v29, v26, v51, v32
	v_lshlrev_b64_e32 v[19:20], 1, v[19:20]
	s_wait_alu 0xfffd
	v_add_co_ci_u32_e64 v12, null, v8, v12, vcc_lo
	v_add_co_u32 v13, vcc_lo, v7, v13
	v_ashrrev_i32_e32 v26, 31, v25
	v_add3_u32 v31, v35, v51, v37
	v_lshlrev_b64_e32 v[21:22], 1, v[21:22]
	s_wait_alu 0xfffd
	v_add_co_ci_u32_e64 v14, null, v8, v14, vcc_lo
	v_add_co_u32 v15, vcc_lo, v7, v15
	v_ashrrev_i32_e32 v28, 31, v27
	v_lshlrev_b64_e32 v[23:24], 1, v[23:24]
	s_wait_alu 0xfffd
	v_add_co_ci_u32_e64 v16, null, v8, v16, vcc_lo
	v_add_co_u32 v17, vcc_lo, v7, v17
	v_ashrrev_i32_e32 v30, 31, v29
	;; [unrolled: 5-line block ×4, first 2 shown]
	v_lshlrev_b64_e32 v[29:30], 1, v[29:30]
	s_wait_alu 0xfffd
	v_add_co_ci_u32_e64 v22, null, v8, v22, vcc_lo
	v_add_co_u32 v102, vcc_lo, v7, v23
	v_lshlrev_b64_e32 v[31:32], 1, v[31:32]
	s_wait_alu 0xfffd
	v_add_co_ci_u32_e64 v103, null, v8, v24, vcc_lo
	v_add_co_u32 v112, vcc_lo, v7, v25
	;; [unrolled: 4-line block ×3, first 2 shown]
	s_wait_alu 0xfffd
	v_add_co_ci_u32_e64 v115, null, v8, v28, vcc_lo
	v_add_co_u32 v117, vcc_lo, v7, v29
	s_wait_alu 0xfffd
	v_add_co_ci_u32_e64 v118, null, v8, v30, vcc_lo
	v_add_co_u32 v128, vcc_lo, v7, v31
	;; [unrolled: 3-line block ×3, first 2 shown]
	s_wait_alu 0xfffd
	v_add_co_ci_u32_e64 v131, null, v8, v34, vcc_lo
	s_clause 0xf
	flat_load_b128 v[84:87], v[4:5]
	flat_load_b128 v[80:83], v[0:1]
	;; [unrolled: 1-line block ×16, first 2 shown]
	s_wait_loadcnt_dscnt 0x1010
	v_and_b32_e32 v103, 0xff, v96
	s_delay_alu instid0(VALU_DEP_1)
	v_cmpx_lt_i16_e32 0x7f, v103
	s_wait_alu 0xfffe
	s_xor_b32 s1, exec_lo, s1
	s_cbranch_execnz .LBB7_1145
; %bb.123:                              ;   in Loop: Header=BB7_62 Depth=1
	s_wait_alu 0xfffe
	s_or_saveexec_b32 s1, s1
	v_mov_b32_e32 v102, 0x7f800001
	s_wait_alu 0xfffe
	s_xor_b32 exec_lo, exec_lo, s1
	s_cbranch_execnz .LBB7_1148
.LBB7_124:                              ;   in Loop: Header=BB7_62 Depth=1
	s_or_b32 exec_lo, exec_lo, s1
	s_and_saveexec_b32 s1, s0
	s_cbranch_execz .LBB7_126
.LBB7_125:                              ;   in Loop: Header=BB7_62 Depth=1
	v_lshrrev_b16 v113, 3, v96
	v_lshrrev_b16 v114, 7, v96
	s_delay_alu instid0(VALU_DEP_2) | instskip(NEXT) | instid1(VALU_DEP_1)
	v_and_b32_e32 v113, 15, v113
	v_cmp_eq_u16_e32 vcc_lo, 0, v113
	v_and_b32_e32 v102, 7, v96
	s_delay_alu instid0(VALU_DEP_1) | instskip(NEXT) | instid1(VALU_DEP_1)
	v_clz_i32_u32_e32 v103, v102
	v_min_u32_e32 v103, 32, v103
	s_delay_alu instid0(VALU_DEP_1) | instskip(SKIP_2) | instid1(VALU_DEP_1)
	v_subrev_nc_u32_e32 v112, 28, v103
	v_sub_nc_u32_e32 v103, 29, v103
	s_wait_alu 0xfffd
	v_dual_cndmask_b32 v103, v113, v103 :: v_dual_lshlrev_b32 v112, v112, v102
	s_delay_alu instid0(VALU_DEP_1) | instskip(NEXT) | instid1(VALU_DEP_2)
	v_lshl_add_u32 v103, v103, 23, 0x3b800000
	v_and_b32_e32 v112, 7, v112
	s_delay_alu instid0(VALU_DEP_1) | instskip(SKIP_1) | instid1(VALU_DEP_2)
	v_cndmask_b32_e32 v102, v102, v112, vcc_lo
	v_lshlrev_b32_e32 v112, 31, v114
	v_lshlrev_b32_e32 v102, 20, v102
	s_delay_alu instid0(VALU_DEP_1)
	v_or3_b32 v102, v112, v103, v102
.LBB7_126:                              ;   in Loop: Header=BB7_62 Depth=1
	s_wait_alu 0xfffe
	s_or_b32 exec_lo, exec_lo, s1
	v_lshrrev_b32_e32 v113, 8, v96
	v_lshrrev_b32_e32 v103, 24, v99
	;; [unrolled: 1-line block ×12, first 2 shown]
	v_and_b32_e32 v192, 0xff, v113
	s_mov_b32 s0, 0
	s_mov_b32 s1, exec_lo
	s_delay_alu instid0(VALU_DEP_1)
	v_cmpx_lt_i16_e64 0x7f, v192
	s_wait_alu 0xfffe
	s_xor_b32 s1, exec_lo, s1
	s_cbranch_execnz .LBB7_1149
; %bb.127:                              ;   in Loop: Header=BB7_62 Depth=1
	s_wait_alu 0xfffe
	s_or_saveexec_b32 s1, s1
	v_mov_b32_e32 v96, 0x7f800001
	s_wait_alu 0xfffe
	s_xor_b32 exec_lo, exec_lo, s1
	s_cbranch_execnz .LBB7_1152
.LBB7_128:                              ;   in Loop: Header=BB7_62 Depth=1
	s_or_b32 exec_lo, exec_lo, s1
	s_and_saveexec_b32 s1, s0
	s_cbranch_execz .LBB7_130
.LBB7_129:                              ;   in Loop: Header=BB7_62 Depth=1
	v_and_b32_e32 v96, 7, v113
	v_lshrrev_b16 v194, 3, v113
	v_lshrrev_b16 v113, 7, v113
	s_delay_alu instid0(VALU_DEP_3) | instskip(NEXT) | instid1(VALU_DEP_3)
	v_clz_i32_u32_e32 v192, v96
	v_and_b32_e32 v194, 15, v194
	s_delay_alu instid0(VALU_DEP_3) | instskip(NEXT) | instid1(VALU_DEP_3)
	v_lshlrev_b32_e32 v113, 31, v113
	v_min_u32_e32 v192, 32, v192
	s_delay_alu instid0(VALU_DEP_3) | instskip(NEXT) | instid1(VALU_DEP_2)
	v_cmp_eq_u16_e64 vcc_lo, 0, v194
	v_subrev_nc_u32_e32 v193, 28, v192
	v_sub_nc_u32_e32 v192, 29, v192
	s_delay_alu instid0(VALU_DEP_2) | instskip(SKIP_1) | instid1(VALU_DEP_1)
	v_lshlrev_b32_e32 v193, v193, v96
	s_wait_alu 0xfffd
	v_dual_cndmask_b32 v192, v194, v192 :: v_dual_and_b32 v193, 7, v193
	s_delay_alu instid0(VALU_DEP_1) | instskip(NEXT) | instid1(VALU_DEP_2)
	v_lshl_add_u32 v192, v192, 23, 0x3b800000
	v_cndmask_b32_e32 v96, v96, v193, vcc_lo
	s_delay_alu instid0(VALU_DEP_1) | instskip(NEXT) | instid1(VALU_DEP_1)
	v_lshlrev_b32_e32 v96, 20, v96
	v_or3_b32 v96, v113, v192, v96
.LBB7_130:                              ;   in Loop: Header=BB7_62 Depth=1
	s_wait_alu 0xfffe
	s_or_b32 exec_lo, exec_lo, s1
	v_and_b32_e32 v192, 0xff, v115
	s_mov_b32 s0, 0
	s_mov_b32 s1, exec_lo
	s_delay_alu instid0(VALU_DEP_1)
	v_cmpx_lt_i16_e64 0x7f, v192
	s_wait_alu 0xfffe
	s_xor_b32 s1, exec_lo, s1
	s_cbranch_execnz .LBB7_1153
; %bb.131:                              ;   in Loop: Header=BB7_62 Depth=1
	s_wait_alu 0xfffe
	s_or_saveexec_b32 s1, s1
	v_mov_b32_e32 v113, 0x7f800001
	s_wait_alu 0xfffe
	s_xor_b32 exec_lo, exec_lo, s1
	s_cbranch_execnz .LBB7_1156
.LBB7_132:                              ;   in Loop: Header=BB7_62 Depth=1
	s_or_b32 exec_lo, exec_lo, s1
	s_and_saveexec_b32 s1, s0
	s_cbranch_execz .LBB7_134
.LBB7_133:                              ;   in Loop: Header=BB7_62 Depth=1
	v_lshrrev_b16 v194, 3, v115
	s_delay_alu instid0(VALU_DEP_1) | instskip(NEXT) | instid1(VALU_DEP_1)
	v_and_b32_e32 v194, 15, v194
	v_cmp_eq_u16_e64 vcc_lo, 0, v194
	v_and_b32_e32 v113, 7, v115
	v_lshrrev_b16 v115, 7, v115
	s_delay_alu instid0(VALU_DEP_2) | instskip(NEXT) | instid1(VALU_DEP_2)
	v_clz_i32_u32_e32 v192, v113
	v_lshlrev_b32_e32 v115, 31, v115
	s_delay_alu instid0(VALU_DEP_2) | instskip(NEXT) | instid1(VALU_DEP_1)
	v_min_u32_e32 v192, 32, v192
	v_subrev_nc_u32_e32 v193, 28, v192
	v_sub_nc_u32_e32 v192, 29, v192
	s_wait_alu 0xfffd
	s_delay_alu instid0(VALU_DEP_1) | instskip(NEXT) | instid1(VALU_DEP_1)
	v_dual_cndmask_b32 v192, v194, v192 :: v_dual_lshlrev_b32 v193, v193, v113
	v_lshl_add_u32 v192, v192, 23, 0x3b800000
	s_delay_alu instid0(VALU_DEP_2) | instskip(NEXT) | instid1(VALU_DEP_1)
	v_and_b32_e32 v193, 7, v193
	v_cndmask_b32_e32 v113, v113, v193, vcc_lo
	s_delay_alu instid0(VALU_DEP_1) | instskip(NEXT) | instid1(VALU_DEP_1)
	v_lshlrev_b32_e32 v113, 20, v113
	v_or3_b32 v113, v115, v192, v113
.LBB7_134:                              ;   in Loop: Header=BB7_62 Depth=1
	s_wait_alu 0xfffe
	s_or_b32 exec_lo, exec_lo, s1
	s_mov_b32 s0, 0
	s_mov_b32 s1, exec_lo
	v_cmpx_lt_i16_e32 0x7f, v117
	s_wait_alu 0xfffe
	s_xor_b32 s1, exec_lo, s1
	s_cbranch_execnz .LBB7_1157
; %bb.135:                              ;   in Loop: Header=BB7_62 Depth=1
	s_wait_alu 0xfffe
	s_or_saveexec_b32 s1, s1
	v_mov_b32_e32 v115, 0x7f800001
	s_wait_alu 0xfffe
	s_xor_b32 exec_lo, exec_lo, s1
	s_cbranch_execnz .LBB7_1160
.LBB7_136:                              ;   in Loop: Header=BB7_62 Depth=1
	s_or_b32 exec_lo, exec_lo, s1
	s_and_saveexec_b32 s1, s0
	s_cbranch_execz .LBB7_138
.LBB7_137:                              ;   in Loop: Header=BB7_62 Depth=1
	v_lshrrev_b16 v194, 3, v117
	s_delay_alu instid0(VALU_DEP_1) | instskip(NEXT) | instid1(VALU_DEP_1)
	v_and_b32_e32 v194, 15, v194
	v_cmp_eq_u16_e64 vcc_lo, 0, v194
	v_and_b32_e32 v115, 7, v117
	v_lshrrev_b16 v117, 7, v117
	s_delay_alu instid0(VALU_DEP_2) | instskip(NEXT) | instid1(VALU_DEP_2)
	v_clz_i32_u32_e32 v192, v115
	v_lshlrev_b32_e32 v117, 31, v117
	s_delay_alu instid0(VALU_DEP_2) | instskip(NEXT) | instid1(VALU_DEP_1)
	v_min_u32_e32 v192, 32, v192
	v_subrev_nc_u32_e32 v193, 28, v192
	v_sub_nc_u32_e32 v192, 29, v192
	s_wait_alu 0xfffd
	s_delay_alu instid0(VALU_DEP_1) | instskip(NEXT) | instid1(VALU_DEP_1)
	v_dual_cndmask_b32 v192, v194, v192 :: v_dual_lshlrev_b32 v193, v193, v115
	v_lshl_add_u32 v192, v192, 23, 0x3b800000
	s_delay_alu instid0(VALU_DEP_2) | instskip(NEXT) | instid1(VALU_DEP_1)
	v_and_b32_e32 v193, 7, v193
	v_cndmask_b32_e32 v115, v115, v193, vcc_lo
	s_delay_alu instid0(VALU_DEP_1) | instskip(NEXT) | instid1(VALU_DEP_1)
	v_lshlrev_b32_e32 v115, 20, v115
	v_or3_b32 v115, v117, v192, v115
.LBB7_138:                              ;   in Loop: Header=BB7_62 Depth=1
	s_wait_alu 0xfffe
	s_or_b32 exec_lo, exec_lo, s1
	v_and_b32_e32 v192, 0xff, v97
	s_mov_b32 s0, 0
	s_mov_b32 s1, exec_lo
	s_delay_alu instid0(VALU_DEP_1)
	v_cmpx_lt_i16_e64 0x7f, v192
	s_wait_alu 0xfffe
	s_xor_b32 s1, exec_lo, s1
	s_cbranch_execnz .LBB7_1161
; %bb.139:                              ;   in Loop: Header=BB7_62 Depth=1
	s_wait_alu 0xfffe
	s_or_saveexec_b32 s1, s1
	v_mov_b32_e32 v117, 0x7f800001
	s_wait_alu 0xfffe
	s_xor_b32 exec_lo, exec_lo, s1
	s_cbranch_execnz .LBB7_1164
.LBB7_140:                              ;   in Loop: Header=BB7_62 Depth=1
	s_or_b32 exec_lo, exec_lo, s1
	s_and_saveexec_b32 s1, s0
	s_cbranch_execz .LBB7_142
.LBB7_141:                              ;   in Loop: Header=BB7_62 Depth=1
	v_lshrrev_b16 v194, 3, v97
	s_delay_alu instid0(VALU_DEP_1) | instskip(NEXT) | instid1(VALU_DEP_1)
	v_and_b32_e32 v194, 15, v194
	v_cmp_eq_u16_e64 vcc_lo, 0, v194
	v_and_b32_e32 v117, 7, v97
	v_lshrrev_b16 v97, 7, v97
	s_delay_alu instid0(VALU_DEP_2) | instskip(NEXT) | instid1(VALU_DEP_2)
	v_clz_i32_u32_e32 v192, v117
	v_lshlrev_b32_e32 v97, 31, v97
	s_delay_alu instid0(VALU_DEP_2) | instskip(NEXT) | instid1(VALU_DEP_1)
	v_min_u32_e32 v192, 32, v192
	v_subrev_nc_u32_e32 v193, 28, v192
	v_sub_nc_u32_e32 v192, 29, v192
	s_wait_alu 0xfffd
	s_delay_alu instid0(VALU_DEP_1) | instskip(NEXT) | instid1(VALU_DEP_1)
	v_dual_cndmask_b32 v192, v194, v192 :: v_dual_lshlrev_b32 v193, v193, v117
	v_lshl_add_u32 v192, v192, 23, 0x3b800000
	s_delay_alu instid0(VALU_DEP_2) | instskip(NEXT) | instid1(VALU_DEP_1)
	v_and_b32_e32 v193, 7, v193
	v_cndmask_b32_e32 v117, v117, v193, vcc_lo
	s_delay_alu instid0(VALU_DEP_1) | instskip(NEXT) | instid1(VALU_DEP_1)
	v_lshlrev_b32_e32 v117, 20, v117
	v_or3_b32 v117, v97, v192, v117
.LBB7_142:                              ;   in Loop: Header=BB7_62 Depth=1
	s_wait_alu 0xfffe
	s_or_b32 exec_lo, exec_lo, s1
	v_and_b32_e32 v192, 0xff, v128
	s_mov_b32 s0, 0
	s_mov_b32 s1, exec_lo
	s_delay_alu instid0(VALU_DEP_1)
	v_cmpx_lt_i16_e64 0x7f, v192
	s_wait_alu 0xfffe
	s_xor_b32 s1, exec_lo, s1
	s_cbranch_execnz .LBB7_1165
; %bb.143:                              ;   in Loop: Header=BB7_62 Depth=1
	s_wait_alu 0xfffe
	s_or_saveexec_b32 s1, s1
	v_mov_b32_e32 v97, 0x7f800001
	s_wait_alu 0xfffe
	s_xor_b32 exec_lo, exec_lo, s1
	s_cbranch_execnz .LBB7_1168
.LBB7_144:                              ;   in Loop: Header=BB7_62 Depth=1
	s_or_b32 exec_lo, exec_lo, s1
	s_and_saveexec_b32 s1, s0
	s_cbranch_execz .LBB7_146
.LBB7_145:                              ;   in Loop: Header=BB7_62 Depth=1
	v_and_b32_e32 v97, 7, v128
	v_lshrrev_b16 v194, 3, v128
	v_lshrrev_b16 v128, 7, v128
	s_delay_alu instid0(VALU_DEP_3) | instskip(NEXT) | instid1(VALU_DEP_3)
	v_clz_i32_u32_e32 v192, v97
	v_and_b32_e32 v194, 15, v194
	s_delay_alu instid0(VALU_DEP_3) | instskip(NEXT) | instid1(VALU_DEP_3)
	v_lshlrev_b32_e32 v128, 31, v128
	v_min_u32_e32 v192, 32, v192
	s_delay_alu instid0(VALU_DEP_3) | instskip(NEXT) | instid1(VALU_DEP_2)
	v_cmp_eq_u16_e64 vcc_lo, 0, v194
	v_subrev_nc_u32_e32 v193, 28, v192
	v_sub_nc_u32_e32 v192, 29, v192
	s_wait_alu 0xfffd
	s_delay_alu instid0(VALU_DEP_1) | instskip(NEXT) | instid1(VALU_DEP_1)
	v_dual_cndmask_b32 v192, v194, v192 :: v_dual_lshlrev_b32 v193, v193, v97
	v_and_b32_e32 v193, 7, v193
	s_delay_alu instid0(VALU_DEP_2) | instskip(NEXT) | instid1(VALU_DEP_2)
	v_lshl_add_u32 v192, v192, 23, 0x3b800000
	v_cndmask_b32_e32 v97, v97, v193, vcc_lo
	s_delay_alu instid0(VALU_DEP_1) | instskip(NEXT) | instid1(VALU_DEP_1)
	v_lshlrev_b32_e32 v97, 20, v97
	v_or3_b32 v97, v128, v192, v97
.LBB7_146:                              ;   in Loop: Header=BB7_62 Depth=1
	s_wait_alu 0xfffe
	s_or_b32 exec_lo, exec_lo, s1
	v_and_b32_e32 v192, 0xff, v130
	s_mov_b32 s0, 0
	s_mov_b32 s1, exec_lo
	s_delay_alu instid0(VALU_DEP_1)
	v_cmpx_lt_i16_e64 0x7f, v192
	s_wait_alu 0xfffe
	s_xor_b32 s1, exec_lo, s1
	s_cbranch_execnz .LBB7_1169
; %bb.147:                              ;   in Loop: Header=BB7_62 Depth=1
	s_wait_alu 0xfffe
	s_or_saveexec_b32 s1, s1
	v_mov_b32_e32 v128, 0x7f800001
	s_wait_alu 0xfffe
	s_xor_b32 exec_lo, exec_lo, s1
	s_cbranch_execnz .LBB7_1172
.LBB7_148:                              ;   in Loop: Header=BB7_62 Depth=1
	s_or_b32 exec_lo, exec_lo, s1
	s_and_saveexec_b32 s1, s0
	s_cbranch_execz .LBB7_150
.LBB7_149:                              ;   in Loop: Header=BB7_62 Depth=1
	v_and_b32_e32 v128, 7, v130
	v_lshrrev_b16 v194, 3, v130
	v_lshrrev_b16 v130, 7, v130
	s_delay_alu instid0(VALU_DEP_3) | instskip(NEXT) | instid1(VALU_DEP_3)
	v_clz_i32_u32_e32 v192, v128
	v_and_b32_e32 v194, 15, v194
	s_delay_alu instid0(VALU_DEP_3) | instskip(NEXT) | instid1(VALU_DEP_3)
	v_lshlrev_b32_e32 v130, 31, v130
	v_min_u32_e32 v192, 32, v192
	s_delay_alu instid0(VALU_DEP_3) | instskip(NEXT) | instid1(VALU_DEP_2)
	v_cmp_eq_u16_e64 vcc_lo, 0, v194
	v_subrev_nc_u32_e32 v193, 28, v192
	v_sub_nc_u32_e32 v192, 29, v192
	s_delay_alu instid0(VALU_DEP_2) | instskip(SKIP_1) | instid1(VALU_DEP_1)
	v_lshlrev_b32_e32 v193, v193, v128
	s_wait_alu 0xfffd
	v_dual_cndmask_b32 v192, v194, v192 :: v_dual_and_b32 v193, 7, v193
	s_delay_alu instid0(VALU_DEP_1) | instskip(NEXT) | instid1(VALU_DEP_2)
	v_lshl_add_u32 v192, v192, 23, 0x3b800000
	v_cndmask_b32_e32 v128, v128, v193, vcc_lo
	s_delay_alu instid0(VALU_DEP_1) | instskip(NEXT) | instid1(VALU_DEP_1)
	v_lshlrev_b32_e32 v128, 20, v128
	v_or3_b32 v128, v130, v192, v128
.LBB7_150:                              ;   in Loop: Header=BB7_62 Depth=1
	s_wait_alu 0xfffe
	s_or_b32 exec_lo, exec_lo, s1
	s_mov_b32 s0, 0
	s_mov_b32 s1, exec_lo
	v_cmpx_lt_i16_e64 0x7f, v131
	s_wait_alu 0xfffe
	s_xor_b32 s1, exec_lo, s1
	s_cbranch_execnz .LBB7_1173
; %bb.151:                              ;   in Loop: Header=BB7_62 Depth=1
	s_wait_alu 0xfffe
	s_or_saveexec_b32 s1, s1
	v_mov_b32_e32 v130, 0x7f800001
	s_wait_alu 0xfffe
	s_xor_b32 exec_lo, exec_lo, s1
	s_cbranch_execnz .LBB7_1176
.LBB7_152:                              ;   in Loop: Header=BB7_62 Depth=1
	s_or_b32 exec_lo, exec_lo, s1
	s_and_saveexec_b32 s1, s0
	s_cbranch_execz .LBB7_154
.LBB7_153:                              ;   in Loop: Header=BB7_62 Depth=1
	v_and_b32_e32 v130, 7, v131
	v_lshrrev_b16 v194, 3, v131
	v_lshrrev_b16 v131, 7, v131
	s_delay_alu instid0(VALU_DEP_3) | instskip(NEXT) | instid1(VALU_DEP_3)
	v_clz_i32_u32_e32 v192, v130
	v_and_b32_e32 v194, 15, v194
	s_delay_alu instid0(VALU_DEP_3) | instskip(NEXT) | instid1(VALU_DEP_3)
	v_lshlrev_b32_e32 v131, 31, v131
	v_min_u32_e32 v192, 32, v192
	s_delay_alu instid0(VALU_DEP_3) | instskip(NEXT) | instid1(VALU_DEP_2)
	v_cmp_eq_u16_e64 vcc_lo, 0, v194
	v_subrev_nc_u32_e32 v193, 28, v192
	v_sub_nc_u32_e32 v192, 29, v192
	s_wait_alu 0xfffd
	s_delay_alu instid0(VALU_DEP_1) | instskip(NEXT) | instid1(VALU_DEP_1)
	v_dual_cndmask_b32 v192, v194, v192 :: v_dual_lshlrev_b32 v193, v193, v130
	v_and_b32_e32 v193, 7, v193
	s_delay_alu instid0(VALU_DEP_2) | instskip(NEXT) | instid1(VALU_DEP_2)
	v_lshl_add_u32 v192, v192, 23, 0x3b800000
	v_cndmask_b32_e32 v130, v130, v193, vcc_lo
	s_delay_alu instid0(VALU_DEP_1) | instskip(NEXT) | instid1(VALU_DEP_1)
	v_lshlrev_b32_e32 v130, 20, v130
	v_or3_b32 v130, v131, v192, v130
.LBB7_154:                              ;   in Loop: Header=BB7_62 Depth=1
	s_wait_alu 0xfffe
	s_or_b32 exec_lo, exec_lo, s1
	v_and_b32_e32 v192, 0xff, v98
	s_mov_b32 s0, 0
	s_mov_b32 s1, exec_lo
	s_delay_alu instid0(VALU_DEP_1)
	v_cmpx_lt_i16_e64 0x7f, v192
	s_wait_alu 0xfffe
	s_xor_b32 s1, exec_lo, s1
	s_cbranch_execnz .LBB7_1177
; %bb.155:                              ;   in Loop: Header=BB7_62 Depth=1
	s_wait_alu 0xfffe
	s_or_saveexec_b32 s1, s1
	v_mov_b32_e32 v131, 0x7f800001
	s_wait_alu 0xfffe
	s_xor_b32 exec_lo, exec_lo, s1
	s_cbranch_execnz .LBB7_1180
.LBB7_156:                              ;   in Loop: Header=BB7_62 Depth=1
	s_or_b32 exec_lo, exec_lo, s1
	s_and_saveexec_b32 s1, s0
	s_cbranch_execz .LBB7_158
.LBB7_157:                              ;   in Loop: Header=BB7_62 Depth=1
	v_lshrrev_b16 v194, 3, v98
	s_delay_alu instid0(VALU_DEP_1) | instskip(NEXT) | instid1(VALU_DEP_1)
	v_and_b32_e32 v194, 15, v194
	v_cmp_eq_u16_e64 vcc_lo, 0, v194
	v_and_b32_e32 v131, 7, v98
	v_lshrrev_b16 v98, 7, v98
	s_delay_alu instid0(VALU_DEP_2) | instskip(NEXT) | instid1(VALU_DEP_2)
	v_clz_i32_u32_e32 v192, v131
	v_lshlrev_b32_e32 v98, 31, v98
	s_delay_alu instid0(VALU_DEP_2) | instskip(NEXT) | instid1(VALU_DEP_1)
	v_min_u32_e32 v192, 32, v192
	v_subrev_nc_u32_e32 v193, 28, v192
	v_sub_nc_u32_e32 v192, 29, v192
	s_wait_alu 0xfffd
	s_delay_alu instid0(VALU_DEP_1) | instskip(NEXT) | instid1(VALU_DEP_1)
	v_dual_cndmask_b32 v192, v194, v192 :: v_dual_lshlrev_b32 v193, v193, v131
	v_lshl_add_u32 v192, v192, 23, 0x3b800000
	s_delay_alu instid0(VALU_DEP_2) | instskip(NEXT) | instid1(VALU_DEP_1)
	v_and_b32_e32 v193, 7, v193
	v_cndmask_b32_e32 v131, v131, v193, vcc_lo
	s_delay_alu instid0(VALU_DEP_1) | instskip(NEXT) | instid1(VALU_DEP_1)
	v_lshlrev_b32_e32 v131, 20, v131
	v_or3_b32 v131, v98, v192, v131
.LBB7_158:                              ;   in Loop: Header=BB7_62 Depth=1
	s_wait_alu 0xfffe
	s_or_b32 exec_lo, exec_lo, s1
	v_and_b32_e32 v192, 0xff, v129
	s_mov_b32 s0, 0
	s_mov_b32 s1, exec_lo
	s_delay_alu instid0(VALU_DEP_1)
	v_cmpx_lt_i16_e64 0x7f, v192
	s_wait_alu 0xfffe
	s_xor_b32 s1, exec_lo, s1
	s_cbranch_execnz .LBB7_1181
; %bb.159:                              ;   in Loop: Header=BB7_62 Depth=1
	s_wait_alu 0xfffe
	s_or_saveexec_b32 s1, s1
	v_mov_b32_e32 v98, 0x7f800001
	s_wait_alu 0xfffe
	s_xor_b32 exec_lo, exec_lo, s1
	s_cbranch_execnz .LBB7_1184
.LBB7_160:                              ;   in Loop: Header=BB7_62 Depth=1
	s_or_b32 exec_lo, exec_lo, s1
	s_and_saveexec_b32 s1, s0
	s_cbranch_execz .LBB7_162
.LBB7_161:                              ;   in Loop: Header=BB7_62 Depth=1
	v_and_b32_e32 v98, 7, v129
	v_lshrrev_b16 v194, 3, v129
	v_lshrrev_b16 v129, 7, v129
	s_delay_alu instid0(VALU_DEP_3) | instskip(NEXT) | instid1(VALU_DEP_3)
	v_clz_i32_u32_e32 v192, v98
	v_and_b32_e32 v194, 15, v194
	s_delay_alu instid0(VALU_DEP_3) | instskip(NEXT) | instid1(VALU_DEP_3)
	v_lshlrev_b32_e32 v129, 31, v129
	v_min_u32_e32 v192, 32, v192
	s_delay_alu instid0(VALU_DEP_3) | instskip(NEXT) | instid1(VALU_DEP_2)
	v_cmp_eq_u16_e64 vcc_lo, 0, v194
	v_subrev_nc_u32_e32 v193, 28, v192
	v_sub_nc_u32_e32 v192, 29, v192
	s_wait_alu 0xfffd
	s_delay_alu instid0(VALU_DEP_1) | instskip(NEXT) | instid1(VALU_DEP_1)
	v_dual_cndmask_b32 v192, v194, v192 :: v_dual_lshlrev_b32 v193, v193, v98
	v_and_b32_e32 v193, 7, v193
	s_delay_alu instid0(VALU_DEP_2) | instskip(NEXT) | instid1(VALU_DEP_2)
	v_lshl_add_u32 v192, v192, 23, 0x3b800000
	v_cndmask_b32_e32 v98, v98, v193, vcc_lo
	s_delay_alu instid0(VALU_DEP_1) | instskip(NEXT) | instid1(VALU_DEP_1)
	v_lshlrev_b32_e32 v98, 20, v98
	v_or3_b32 v98, v129, v192, v98
.LBB7_162:                              ;   in Loop: Header=BB7_62 Depth=1
	s_wait_alu 0xfffe
	s_or_b32 exec_lo, exec_lo, s1
	v_and_b32_e32 v192, 0xff, v119
	s_mov_b32 s0, 0
	s_mov_b32 s1, exec_lo
	s_delay_alu instid0(VALU_DEP_1)
	v_cmpx_lt_i16_e64 0x7f, v192
	s_wait_alu 0xfffe
	s_xor_b32 s1, exec_lo, s1
	s_cbranch_execnz .LBB7_1185
; %bb.163:                              ;   in Loop: Header=BB7_62 Depth=1
	s_wait_alu 0xfffe
	s_or_saveexec_b32 s1, s1
	v_mov_b32_e32 v129, 0x7f800001
	s_wait_alu 0xfffe
	s_xor_b32 exec_lo, exec_lo, s1
	s_cbranch_execnz .LBB7_1188
.LBB7_164:                              ;   in Loop: Header=BB7_62 Depth=1
	s_or_b32 exec_lo, exec_lo, s1
	s_and_saveexec_b32 s1, s0
	s_cbranch_execz .LBB7_166
.LBB7_165:                              ;   in Loop: Header=BB7_62 Depth=1
	v_lshrrev_b16 v194, 3, v119
	s_delay_alu instid0(VALU_DEP_1) | instskip(NEXT) | instid1(VALU_DEP_1)
	v_and_b32_e32 v194, 15, v194
	v_cmp_eq_u16_e64 vcc_lo, 0, v194
	v_and_b32_e32 v129, 7, v119
	v_lshrrev_b16 v119, 7, v119
	s_delay_alu instid0(VALU_DEP_2) | instskip(NEXT) | instid1(VALU_DEP_2)
	v_clz_i32_u32_e32 v192, v129
	v_lshlrev_b32_e32 v119, 31, v119
	s_delay_alu instid0(VALU_DEP_2) | instskip(NEXT) | instid1(VALU_DEP_1)
	v_min_u32_e32 v192, 32, v192
	v_subrev_nc_u32_e32 v193, 28, v192
	v_sub_nc_u32_e32 v192, 29, v192
	s_wait_alu 0xfffd
	s_delay_alu instid0(VALU_DEP_1) | instskip(NEXT) | instid1(VALU_DEP_1)
	v_dual_cndmask_b32 v192, v194, v192 :: v_dual_lshlrev_b32 v193, v193, v129
	v_lshl_add_u32 v192, v192, 23, 0x3b800000
	s_delay_alu instid0(VALU_DEP_2) | instskip(NEXT) | instid1(VALU_DEP_1)
	v_and_b32_e32 v193, 7, v193
	v_cndmask_b32_e32 v129, v129, v193, vcc_lo
	s_delay_alu instid0(VALU_DEP_1) | instskip(NEXT) | instid1(VALU_DEP_1)
	v_lshlrev_b32_e32 v129, 20, v129
	v_or3_b32 v129, v119, v192, v129
.LBB7_166:                              ;   in Loop: Header=BB7_62 Depth=1
	s_wait_alu 0xfffe
	s_or_b32 exec_lo, exec_lo, s1
	s_mov_b32 s0, 0
	s_mov_b32 s1, exec_lo
	v_cmpx_lt_i16_e32 0x7f, v118
	s_wait_alu 0xfffe
	s_xor_b32 s1, exec_lo, s1
	s_cbranch_execnz .LBB7_1189
; %bb.167:                              ;   in Loop: Header=BB7_62 Depth=1
	s_wait_alu 0xfffe
	s_or_saveexec_b32 s1, s1
	v_mov_b32_e32 v119, 0x7f800001
	s_wait_alu 0xfffe
	s_xor_b32 exec_lo, exec_lo, s1
	s_cbranch_execnz .LBB7_1192
.LBB7_168:                              ;   in Loop: Header=BB7_62 Depth=1
	s_or_b32 exec_lo, exec_lo, s1
	s_and_saveexec_b32 s1, s0
	s_cbranch_execz .LBB7_170
.LBB7_169:                              ;   in Loop: Header=BB7_62 Depth=1
	v_lshrrev_b16 v194, 3, v118
	s_delay_alu instid0(VALU_DEP_1) | instskip(NEXT) | instid1(VALU_DEP_1)
	v_and_b32_e32 v194, 15, v194
	v_cmp_eq_u16_e64 vcc_lo, 0, v194
	v_and_b32_e32 v119, 7, v118
	v_lshrrev_b16 v118, 7, v118
	s_delay_alu instid0(VALU_DEP_2) | instskip(NEXT) | instid1(VALU_DEP_2)
	v_clz_i32_u32_e32 v192, v119
	v_lshlrev_b32_e32 v118, 31, v118
	s_delay_alu instid0(VALU_DEP_2) | instskip(NEXT) | instid1(VALU_DEP_1)
	v_min_u32_e32 v192, 32, v192
	v_subrev_nc_u32_e32 v193, 28, v192
	v_sub_nc_u32_e32 v192, 29, v192
	s_wait_alu 0xfffd
	s_delay_alu instid0(VALU_DEP_1) | instskip(NEXT) | instid1(VALU_DEP_1)
	v_dual_cndmask_b32 v192, v194, v192 :: v_dual_lshlrev_b32 v193, v193, v119
	v_lshl_add_u32 v192, v192, 23, 0x3b800000
	s_delay_alu instid0(VALU_DEP_2) | instskip(NEXT) | instid1(VALU_DEP_1)
	v_and_b32_e32 v193, 7, v193
	v_cndmask_b32_e32 v119, v119, v193, vcc_lo
	s_delay_alu instid0(VALU_DEP_1) | instskip(NEXT) | instid1(VALU_DEP_1)
	v_lshlrev_b32_e32 v119, 20, v119
	v_or3_b32 v119, v118, v192, v119
.LBB7_170:                              ;   in Loop: Header=BB7_62 Depth=1
	s_wait_alu 0xfffe
	s_or_b32 exec_lo, exec_lo, s1
	v_and_b32_e32 v192, 0xff, v99
	s_mov_b32 s0, 0
	s_mov_b32 s1, exec_lo
	s_delay_alu instid0(VALU_DEP_1)
	v_cmpx_lt_i16_e64 0x7f, v192
	s_wait_alu 0xfffe
	s_xor_b32 s1, exec_lo, s1
	s_cbranch_execnz .LBB7_1193
; %bb.171:                              ;   in Loop: Header=BB7_62 Depth=1
	s_wait_alu 0xfffe
	s_or_saveexec_b32 s1, s1
	v_mov_b32_e32 v118, 0x7f800001
	s_wait_alu 0xfffe
	s_xor_b32 exec_lo, exec_lo, s1
	s_cbranch_execnz .LBB7_1196
.LBB7_172:                              ;   in Loop: Header=BB7_62 Depth=1
	s_or_b32 exec_lo, exec_lo, s1
	s_and_saveexec_b32 s1, s0
	s_cbranch_execz .LBB7_174
.LBB7_173:                              ;   in Loop: Header=BB7_62 Depth=1
	v_and_b32_e32 v118, 7, v99
	v_lshrrev_b16 v194, 3, v99
	v_lshrrev_b16 v99, 7, v99
	s_delay_alu instid0(VALU_DEP_3) | instskip(NEXT) | instid1(VALU_DEP_3)
	v_clz_i32_u32_e32 v192, v118
	v_and_b32_e32 v194, 15, v194
	s_delay_alu instid0(VALU_DEP_3) | instskip(NEXT) | instid1(VALU_DEP_3)
	v_lshlrev_b32_e32 v99, 31, v99
	v_min_u32_e32 v192, 32, v192
	s_delay_alu instid0(VALU_DEP_3) | instskip(NEXT) | instid1(VALU_DEP_2)
	v_cmp_eq_u16_e64 vcc_lo, 0, v194
	v_subrev_nc_u32_e32 v193, 28, v192
	v_sub_nc_u32_e32 v192, 29, v192
	s_wait_alu 0xfffd
	s_delay_alu instid0(VALU_DEP_1) | instskip(NEXT) | instid1(VALU_DEP_1)
	v_dual_cndmask_b32 v192, v194, v192 :: v_dual_lshlrev_b32 v193, v193, v118
	v_and_b32_e32 v193, 7, v193
	s_delay_alu instid0(VALU_DEP_2) | instskip(NEXT) | instid1(VALU_DEP_2)
	v_lshl_add_u32 v192, v192, 23, 0x3b800000
	v_cndmask_b32_e32 v118, v118, v193, vcc_lo
	s_delay_alu instid0(VALU_DEP_1) | instskip(NEXT) | instid1(VALU_DEP_1)
	v_lshlrev_b32_e32 v118, 20, v118
	v_or3_b32 v118, v99, v192, v118
.LBB7_174:                              ;   in Loop: Header=BB7_62 Depth=1
	s_wait_alu 0xfffe
	s_or_b32 exec_lo, exec_lo, s1
	v_and_b32_e32 v192, 0xff, v114
	s_mov_b32 s0, 0
	s_mov_b32 s1, exec_lo
	s_delay_alu instid0(VALU_DEP_1)
	v_cmpx_lt_i16_e64 0x7f, v192
	s_wait_alu 0xfffe
	s_xor_b32 s1, exec_lo, s1
	s_cbranch_execnz .LBB7_1197
; %bb.175:                              ;   in Loop: Header=BB7_62 Depth=1
	s_wait_alu 0xfffe
	s_or_saveexec_b32 s1, s1
	v_mov_b32_e32 v99, 0x7f800001
	s_wait_alu 0xfffe
	s_xor_b32 exec_lo, exec_lo, s1
	s_cbranch_execnz .LBB7_1200
.LBB7_176:                              ;   in Loop: Header=BB7_62 Depth=1
	s_or_b32 exec_lo, exec_lo, s1
	s_and_saveexec_b32 s1, s0
	s_cbranch_execz .LBB7_178
.LBB7_177:                              ;   in Loop: Header=BB7_62 Depth=1
	v_lshrrev_b16 v194, 3, v114
	s_delay_alu instid0(VALU_DEP_1) | instskip(NEXT) | instid1(VALU_DEP_1)
	v_and_b32_e32 v194, 15, v194
	v_cmp_eq_u16_e64 vcc_lo, 0, v194
	v_and_b32_e32 v99, 7, v114
	v_lshrrev_b16 v114, 7, v114
	s_delay_alu instid0(VALU_DEP_2) | instskip(NEXT) | instid1(VALU_DEP_2)
	v_clz_i32_u32_e32 v192, v99
	v_lshlrev_b32_e32 v114, 31, v114
	s_delay_alu instid0(VALU_DEP_2) | instskip(NEXT) | instid1(VALU_DEP_1)
	v_min_u32_e32 v192, 32, v192
	v_subrev_nc_u32_e32 v193, 28, v192
	v_sub_nc_u32_e32 v192, 29, v192
	s_wait_alu 0xfffd
	s_delay_alu instid0(VALU_DEP_1) | instskip(NEXT) | instid1(VALU_DEP_1)
	v_dual_cndmask_b32 v192, v194, v192 :: v_dual_lshlrev_b32 v193, v193, v99
	v_lshl_add_u32 v192, v192, 23, 0x3b800000
	s_delay_alu instid0(VALU_DEP_2) | instskip(NEXT) | instid1(VALU_DEP_1)
	v_and_b32_e32 v193, 7, v193
	v_cndmask_b32_e32 v99, v99, v193, vcc_lo
	s_delay_alu instid0(VALU_DEP_1) | instskip(NEXT) | instid1(VALU_DEP_1)
	v_lshlrev_b32_e32 v99, 20, v99
	v_or3_b32 v99, v114, v192, v99
.LBB7_178:                              ;   in Loop: Header=BB7_62 Depth=1
	s_wait_alu 0xfffe
	s_or_b32 exec_lo, exec_lo, s1
	v_and_b32_e32 v192, 0xff, v112
	s_mov_b32 s0, 0
	s_mov_b32 s1, exec_lo
	s_delay_alu instid0(VALU_DEP_1)
	v_cmpx_lt_i16_e64 0x7f, v192
	s_wait_alu 0xfffe
	s_xor_b32 s1, exec_lo, s1
	s_cbranch_execnz .LBB7_1201
; %bb.179:                              ;   in Loop: Header=BB7_62 Depth=1
	s_wait_alu 0xfffe
	s_or_saveexec_b32 s1, s1
	v_mov_b32_e32 v114, 0x7f800001
	s_wait_alu 0xfffe
	s_xor_b32 exec_lo, exec_lo, s1
	s_cbranch_execnz .LBB7_1204
.LBB7_180:                              ;   in Loop: Header=BB7_62 Depth=1
	s_or_b32 exec_lo, exec_lo, s1
	s_and_saveexec_b32 s1, s0
	s_cbranch_execz .LBB7_182
.LBB7_181:                              ;   in Loop: Header=BB7_62 Depth=1
	v_and_b32_e32 v114, 7, v112
	v_lshrrev_b16 v194, 3, v112
	v_lshrrev_b16 v112, 7, v112
	s_delay_alu instid0(VALU_DEP_3) | instskip(NEXT) | instid1(VALU_DEP_3)
	v_clz_i32_u32_e32 v192, v114
	v_and_b32_e32 v194, 15, v194
	s_delay_alu instid0(VALU_DEP_3) | instskip(NEXT) | instid1(VALU_DEP_3)
	v_lshlrev_b32_e32 v112, 31, v112
	v_min_u32_e32 v192, 32, v192
	s_delay_alu instid0(VALU_DEP_3) | instskip(NEXT) | instid1(VALU_DEP_2)
	v_cmp_eq_u16_e64 vcc_lo, 0, v194
	v_subrev_nc_u32_e32 v193, 28, v192
	v_sub_nc_u32_e32 v192, 29, v192
	s_wait_alu 0xfffd
	s_delay_alu instid0(VALU_DEP_1) | instskip(NEXT) | instid1(VALU_DEP_1)
	v_dual_cndmask_b32 v192, v194, v192 :: v_dual_lshlrev_b32 v193, v193, v114
	v_and_b32_e32 v193, 7, v193
	s_delay_alu instid0(VALU_DEP_2) | instskip(NEXT) | instid1(VALU_DEP_2)
	v_lshl_add_u32 v192, v192, 23, 0x3b800000
	v_cndmask_b32_e32 v114, v114, v193, vcc_lo
	s_delay_alu instid0(VALU_DEP_1) | instskip(NEXT) | instid1(VALU_DEP_1)
	v_lshlrev_b32_e32 v114, 20, v114
	v_or3_b32 v114, v112, v192, v114
.LBB7_182:                              ;   in Loop: Header=BB7_62 Depth=1
	s_wait_alu 0xfffe
	s_or_b32 exec_lo, exec_lo, s1
	s_mov_b32 s0, 0
	s_mov_b32 s1, exec_lo
	v_cmpx_lt_i16_e32 0x7f, v103
	s_wait_alu 0xfffe
	s_xor_b32 s1, exec_lo, s1
	s_cbranch_execnz .LBB7_1205
; %bb.183:                              ;   in Loop: Header=BB7_62 Depth=1
	s_wait_alu 0xfffe
	s_or_saveexec_b32 s1, s1
	v_mov_b32_e32 v112, 0x7f800001
	s_wait_alu 0xfffe
	s_xor_b32 exec_lo, exec_lo, s1
	s_cbranch_execnz .LBB7_1208
.LBB7_184:                              ;   in Loop: Header=BB7_62 Depth=1
	s_or_b32 exec_lo, exec_lo, s1
	s_and_saveexec_b32 s1, s0
	s_cbranch_execz .LBB7_186
.LBB7_185:                              ;   in Loop: Header=BB7_62 Depth=1
	v_and_b32_e32 v112, 7, v103
	v_lshrrev_b16 v194, 3, v103
	v_lshrrev_b16 v103, 7, v103
	s_delay_alu instid0(VALU_DEP_3) | instskip(NEXT) | instid1(VALU_DEP_3)
	v_clz_i32_u32_e32 v192, v112
	v_and_b32_e32 v194, 15, v194
	s_delay_alu instid0(VALU_DEP_3) | instskip(NEXT) | instid1(VALU_DEP_3)
	v_lshlrev_b32_e32 v103, 31, v103
	v_min_u32_e32 v192, 32, v192
	s_delay_alu instid0(VALU_DEP_3) | instskip(NEXT) | instid1(VALU_DEP_2)
	v_cmp_eq_u16_e64 vcc_lo, 0, v194
	v_subrev_nc_u32_e32 v193, 28, v192
	v_sub_nc_u32_e32 v192, 29, v192
	s_delay_alu instid0(VALU_DEP_2) | instskip(SKIP_1) | instid1(VALU_DEP_1)
	v_lshlrev_b32_e32 v193, v193, v112
	s_wait_alu 0xfffd
	v_dual_cndmask_b32 v192, v194, v192 :: v_dual_and_b32 v193, 7, v193
	s_delay_alu instid0(VALU_DEP_1) | instskip(NEXT) | instid1(VALU_DEP_2)
	v_lshl_add_u32 v192, v192, 23, 0x3b800000
	v_cndmask_b32_e32 v112, v112, v193, vcc_lo
	s_delay_alu instid0(VALU_DEP_1) | instskip(NEXT) | instid1(VALU_DEP_1)
	v_lshlrev_b32_e32 v112, 20, v112
	v_or3_b32 v112, v103, v192, v112
.LBB7_186:                              ;   in Loop: Header=BB7_62 Depth=1
	s_wait_alu 0xfffe
	s_or_b32 exec_lo, exec_lo, s1
	v_cvt_pk_rtz_f16_f32_e32 v196, v102, v96
	v_cvt_pk_rtz_f16_f32_e32 v197, v113, v115
	;; [unrolled: 1-line block ×8, first 2 shown]
	s_clause 0x1
	scratch_store_b128 off, v[196:199], s33
	scratch_store_b128 off, v[192:195], s33 offset:16
	s_clause 0x3
	flat_load_b64 v[102:103], v[146:147] offset:332
	flat_load_b64 v[96:97], v[146:147] offset:296
	flat_load_b32 v98, v[146:147] offset:324
	flat_load_b64 v[112:113], v[146:147] offset:284
	s_mov_b32 s0, 0
	s_mov_b32 s1, exec_lo
	s_wait_loadcnt_dscnt 0x303
	v_add_nc_u32_e32 v99, 16, v103
	s_wait_loadcnt_dscnt 0x202
	v_ashrrev_i32_e32 v114, 31, v96
	s_delay_alu instid0(VALU_DEP_2) | instskip(NEXT) | instid1(VALU_DEP_2)
	v_ashrrev_i32_e32 v115, 31, v99
	v_lshrrev_b32_e32 v114, 28, v114
	s_delay_alu instid0(VALU_DEP_2) | instskip(NEXT) | instid1(VALU_DEP_2)
	v_lshrrev_b32_e32 v115, 28, v115
	v_add_nc_u32_e32 v117, v96, v114
	s_wait_loadcnt_dscnt 0x101
	v_sub_nc_u32_e32 v114, v97, v98
	s_delay_alu instid0(VALU_DEP_3) | instskip(NEXT) | instid1(VALU_DEP_3)
	v_add_nc_u32_e32 v118, v99, v115
	v_and_b32_e32 v97, -16, v117
	s_delay_alu instid0(VALU_DEP_2) | instskip(NEXT) | instid1(VALU_DEP_2)
	v_lshrrev_b32_e32 v98, 4, v118
	v_sub_nc_u32_e32 v115, v96, v97
	s_wait_loadcnt_dscnt 0x0
	v_sub_nc_u32_e32 v96, v96, v113
	s_delay_alu instid0(VALU_DEP_3) | instskip(NEXT) | instid1(VALU_DEP_2)
	v_add_nc_u32_e32 v97, v98, v114
	v_lshlrev_b32_e32 v113, 8, v96
	v_and_b32_e32 v96, -16, v118
	s_delay_alu instid0(VALU_DEP_3) | instskip(NEXT) | instid1(VALU_DEP_3)
	v_xor_b32_e32 v97, v97, v115
	v_add_nc_u32_e32 v98, v113, v116
	s_delay_alu instid0(VALU_DEP_3) | instskip(NEXT) | instid1(VALU_DEP_3)
	v_sub_nc_u32_e32 v96, v99, v96
	v_sub_nc_u32_e32 v97, v97, v112
	s_delay_alu instid0(VALU_DEP_3) | instskip(NEXT) | instid1(VALU_DEP_2)
	v_sub_nc_u32_e32 v116, v98, v102
	v_lshlrev_b32_e32 v97, 4, v97
	s_delay_alu instid0(VALU_DEP_1) | instskip(NEXT) | instid1(VALU_DEP_1)
	v_add3_u32 v96, v96, v116, v97
	v_ashrrev_i32_e32 v97, 31, v96
	v_add_co_u32 v96, vcc_lo, v100, v96
	s_wait_alu 0xfffd
	s_delay_alu instid0(VALU_DEP_2) | instskip(SKIP_3) | instid1(VALU_DEP_1)
	v_add_co_ci_u32_e64 v97, null, v101, v97, vcc_lo
	flat_load_b128 v[96:99], v[96:97]
	s_wait_loadcnt_dscnt 0x0
	v_and_b32_e32 v118, 0xff, v96
	v_cmpx_lt_i16_e32 0x7f, v118
	s_wait_alu 0xfffe
	s_xor_b32 s1, exec_lo, s1
	s_cbranch_execnz .LBB7_1209
; %bb.187:                              ;   in Loop: Header=BB7_62 Depth=1
	s_wait_alu 0xfffe
	s_or_saveexec_b32 s1, s1
	v_mov_b32_e32 v117, 0x7f800001
	s_wait_alu 0xfffe
	s_xor_b32 exec_lo, exec_lo, s1
	s_cbranch_execnz .LBB7_1212
.LBB7_188:                              ;   in Loop: Header=BB7_62 Depth=1
	s_or_b32 exec_lo, exec_lo, s1
	s_and_saveexec_b32 s1, s0
	s_cbranch_execz .LBB7_190
.LBB7_189:                              ;   in Loop: Header=BB7_62 Depth=1
	v_lshrrev_b16 v128, 3, v96
	v_lshrrev_b16 v129, 7, v96
	s_delay_alu instid0(VALU_DEP_2) | instskip(NEXT) | instid1(VALU_DEP_1)
	v_and_b32_e32 v128, 15, v128
	v_cmp_eq_u16_e64 vcc_lo, 0, v128
	v_and_b32_e32 v117, 7, v96
	s_delay_alu instid0(VALU_DEP_1) | instskip(NEXT) | instid1(VALU_DEP_1)
	v_clz_i32_u32_e32 v118, v117
	v_min_u32_e32 v118, 32, v118
	s_delay_alu instid0(VALU_DEP_1) | instskip(SKIP_2) | instid1(VALU_DEP_1)
	v_subrev_nc_u32_e32 v119, 28, v118
	v_sub_nc_u32_e32 v118, 29, v118
	s_wait_alu 0xfffd
	v_dual_cndmask_b32 v118, v128, v118 :: v_dual_lshlrev_b32 v119, v119, v117
	s_delay_alu instid0(VALU_DEP_1) | instskip(NEXT) | instid1(VALU_DEP_2)
	v_lshl_add_u32 v118, v118, 23, 0x3b800000
	v_and_b32_e32 v119, 7, v119
	s_delay_alu instid0(VALU_DEP_1) | instskip(SKIP_1) | instid1(VALU_DEP_2)
	v_cndmask_b32_e32 v117, v117, v119, vcc_lo
	v_lshlrev_b32_e32 v119, 31, v129
	v_lshlrev_b32_e32 v117, 20, v117
	s_delay_alu instid0(VALU_DEP_1)
	v_or3_b32 v117, v119, v118, v117
.LBB7_190:                              ;   in Loop: Header=BB7_62 Depth=1
	s_wait_alu 0xfffe
	s_or_b32 exec_lo, exec_lo, s1
	v_lshrrev_b32_e32 v128, 8, v96
	v_lshrrev_b32_e32 v118, 24, v99
	;; [unrolled: 1-line block ×12, first 2 shown]
	v_and_b32_e32 v198, 0xff, v128
	s_mov_b32 s0, 0
	s_mov_b32 s1, exec_lo
	s_delay_alu instid0(VALU_DEP_1)
	v_cmpx_lt_i16_e64 0x7f, v198
	s_wait_alu 0xfffe
	s_xor_b32 s1, exec_lo, s1
	s_cbranch_execnz .LBB7_1213
; %bb.191:                              ;   in Loop: Header=BB7_62 Depth=1
	s_wait_alu 0xfffe
	s_or_saveexec_b32 s1, s1
	v_mov_b32_e32 v96, 0x7f800001
	s_wait_alu 0xfffe
	s_xor_b32 exec_lo, exec_lo, s1
	s_cbranch_execnz .LBB7_1216
.LBB7_192:                              ;   in Loop: Header=BB7_62 Depth=1
	s_or_b32 exec_lo, exec_lo, s1
	s_and_saveexec_b32 s1, s0
	s_cbranch_execz .LBB7_194
.LBB7_193:                              ;   in Loop: Header=BB7_62 Depth=1
	v_and_b32_e32 v96, 7, v128
	v_lshrrev_b16 v208, 3, v128
	v_lshrrev_b16 v128, 7, v128
	s_delay_alu instid0(VALU_DEP_3) | instskip(NEXT) | instid1(VALU_DEP_3)
	v_clz_i32_u32_e32 v198, v96
	v_and_b32_e32 v208, 15, v208
	s_delay_alu instid0(VALU_DEP_3) | instskip(NEXT) | instid1(VALU_DEP_3)
	v_lshlrev_b32_e32 v128, 31, v128
	v_min_u32_e32 v198, 32, v198
	s_delay_alu instid0(VALU_DEP_3) | instskip(NEXT) | instid1(VALU_DEP_2)
	v_cmp_eq_u16_e64 vcc_lo, 0, v208
	v_subrev_nc_u32_e32 v199, 28, v198
	v_sub_nc_u32_e32 v198, 29, v198
	s_wait_alu 0xfffd
	s_delay_alu instid0(VALU_DEP_1) | instskip(NEXT) | instid1(VALU_DEP_1)
	v_dual_cndmask_b32 v198, v208, v198 :: v_dual_lshlrev_b32 v199, v199, v96
	v_and_b32_e32 v199, 7, v199
	s_delay_alu instid0(VALU_DEP_2) | instskip(NEXT) | instid1(VALU_DEP_2)
	v_lshl_add_u32 v198, v198, 23, 0x3b800000
	v_cndmask_b32_e32 v96, v96, v199, vcc_lo
	s_delay_alu instid0(VALU_DEP_1) | instskip(NEXT) | instid1(VALU_DEP_1)
	v_lshlrev_b32_e32 v96, 20, v96
	v_or3_b32 v96, v128, v198, v96
.LBB7_194:                              ;   in Loop: Header=BB7_62 Depth=1
	s_wait_alu 0xfffe
	s_or_b32 exec_lo, exec_lo, s1
	v_and_b32_e32 v198, 0xff, v130
	s_mov_b32 s0, 0
	s_mov_b32 s1, exec_lo
	s_delay_alu instid0(VALU_DEP_1)
	v_cmpx_lt_i16_e64 0x7f, v198
	s_wait_alu 0xfffe
	s_xor_b32 s1, exec_lo, s1
	s_cbranch_execnz .LBB7_1217
; %bb.195:                              ;   in Loop: Header=BB7_62 Depth=1
	s_wait_alu 0xfffe
	s_or_saveexec_b32 s1, s1
	v_mov_b32_e32 v128, 0x7f800001
	s_wait_alu 0xfffe
	s_xor_b32 exec_lo, exec_lo, s1
	s_cbranch_execnz .LBB7_1220
.LBB7_196:                              ;   in Loop: Header=BB7_62 Depth=1
	s_or_b32 exec_lo, exec_lo, s1
	s_and_saveexec_b32 s1, s0
	s_cbranch_execz .LBB7_198
.LBB7_197:                              ;   in Loop: Header=BB7_62 Depth=1
	v_and_b32_e32 v128, 7, v130
	v_lshrrev_b16 v208, 3, v130
	v_lshrrev_b16 v130, 7, v130
	s_delay_alu instid0(VALU_DEP_3) | instskip(NEXT) | instid1(VALU_DEP_3)
	v_clz_i32_u32_e32 v198, v128
	v_and_b32_e32 v208, 15, v208
	s_delay_alu instid0(VALU_DEP_3) | instskip(NEXT) | instid1(VALU_DEP_3)
	v_lshlrev_b32_e32 v130, 31, v130
	v_min_u32_e32 v198, 32, v198
	s_delay_alu instid0(VALU_DEP_3) | instskip(NEXT) | instid1(VALU_DEP_2)
	v_cmp_eq_u16_e64 vcc_lo, 0, v208
	v_subrev_nc_u32_e32 v199, 28, v198
	v_sub_nc_u32_e32 v198, 29, v198
	s_wait_alu 0xfffd
	s_delay_alu instid0(VALU_DEP_1) | instskip(NEXT) | instid1(VALU_DEP_1)
	v_dual_cndmask_b32 v198, v208, v198 :: v_dual_lshlrev_b32 v199, v199, v128
	v_and_b32_e32 v199, 7, v199
	s_delay_alu instid0(VALU_DEP_2) | instskip(NEXT) | instid1(VALU_DEP_2)
	v_lshl_add_u32 v198, v198, 23, 0x3b800000
	v_cndmask_b32_e32 v128, v128, v199, vcc_lo
	s_delay_alu instid0(VALU_DEP_1) | instskip(NEXT) | instid1(VALU_DEP_1)
	v_lshlrev_b32_e32 v128, 20, v128
	v_or3_b32 v128, v130, v198, v128
.LBB7_198:                              ;   in Loop: Header=BB7_62 Depth=1
	s_wait_alu 0xfffe
	s_or_b32 exec_lo, exec_lo, s1
	s_mov_b32 s0, 0
	s_mov_b32 s1, exec_lo
	v_cmpx_lt_i16_e64 0x7f, v131
	s_wait_alu 0xfffe
	s_xor_b32 s1, exec_lo, s1
	s_cbranch_execnz .LBB7_1221
; %bb.199:                              ;   in Loop: Header=BB7_62 Depth=1
	s_wait_alu 0xfffe
	s_or_saveexec_b32 s1, s1
	v_mov_b32_e32 v130, 0x7f800001
	s_wait_alu 0xfffe
	s_xor_b32 exec_lo, exec_lo, s1
	s_cbranch_execnz .LBB7_1224
.LBB7_200:                              ;   in Loop: Header=BB7_62 Depth=1
	s_or_b32 exec_lo, exec_lo, s1
	s_and_saveexec_b32 s1, s0
	s_cbranch_execz .LBB7_202
.LBB7_201:                              ;   in Loop: Header=BB7_62 Depth=1
	v_and_b32_e32 v130, 7, v131
	v_lshrrev_b16 v208, 3, v131
	v_lshrrev_b16 v131, 7, v131
	s_delay_alu instid0(VALU_DEP_3) | instskip(NEXT) | instid1(VALU_DEP_3)
	v_clz_i32_u32_e32 v198, v130
	v_and_b32_e32 v208, 15, v208
	s_delay_alu instid0(VALU_DEP_3) | instskip(NEXT) | instid1(VALU_DEP_3)
	v_lshlrev_b32_e32 v131, 31, v131
	v_min_u32_e32 v198, 32, v198
	s_delay_alu instid0(VALU_DEP_3) | instskip(NEXT) | instid1(VALU_DEP_2)
	v_cmp_eq_u16_e64 vcc_lo, 0, v208
	v_subrev_nc_u32_e32 v199, 28, v198
	v_sub_nc_u32_e32 v198, 29, v198
	s_delay_alu instid0(VALU_DEP_2) | instskip(SKIP_1) | instid1(VALU_DEP_1)
	v_lshlrev_b32_e32 v199, v199, v130
	s_wait_alu 0xfffd
	v_dual_cndmask_b32 v198, v208, v198 :: v_dual_and_b32 v199, 7, v199
	s_delay_alu instid0(VALU_DEP_1) | instskip(NEXT) | instid1(VALU_DEP_2)
	v_lshl_add_u32 v198, v198, 23, 0x3b800000
	v_cndmask_b32_e32 v130, v130, v199, vcc_lo
	s_delay_alu instid0(VALU_DEP_1) | instskip(NEXT) | instid1(VALU_DEP_1)
	v_lshlrev_b32_e32 v130, 20, v130
	v_or3_b32 v130, v131, v198, v130
.LBB7_202:                              ;   in Loop: Header=BB7_62 Depth=1
	s_wait_alu 0xfffe
	s_or_b32 exec_lo, exec_lo, s1
	v_and_b32_e32 v198, 0xff, v97
	s_mov_b32 s0, 0
	s_mov_b32 s1, exec_lo
	s_delay_alu instid0(VALU_DEP_1)
	v_cmpx_lt_i16_e64 0x7f, v198
	s_wait_alu 0xfffe
	s_xor_b32 s1, exec_lo, s1
	s_cbranch_execnz .LBB7_1225
; %bb.203:                              ;   in Loop: Header=BB7_62 Depth=1
	s_wait_alu 0xfffe
	s_or_saveexec_b32 s1, s1
	v_mov_b32_e32 v131, 0x7f800001
	s_wait_alu 0xfffe
	s_xor_b32 exec_lo, exec_lo, s1
	s_cbranch_execnz .LBB7_1228
.LBB7_204:                              ;   in Loop: Header=BB7_62 Depth=1
	s_or_b32 exec_lo, exec_lo, s1
	s_and_saveexec_b32 s1, s0
	s_cbranch_execz .LBB7_206
.LBB7_205:                              ;   in Loop: Header=BB7_62 Depth=1
	v_lshrrev_b16 v208, 3, v97
	s_delay_alu instid0(VALU_DEP_1) | instskip(NEXT) | instid1(VALU_DEP_1)
	v_and_b32_e32 v208, 15, v208
	v_cmp_eq_u16_e64 vcc_lo, 0, v208
	v_and_b32_e32 v131, 7, v97
	v_lshrrev_b16 v97, 7, v97
	s_delay_alu instid0(VALU_DEP_2) | instskip(NEXT) | instid1(VALU_DEP_2)
	v_clz_i32_u32_e32 v198, v131
	v_lshlrev_b32_e32 v97, 31, v97
	s_delay_alu instid0(VALU_DEP_2) | instskip(NEXT) | instid1(VALU_DEP_1)
	v_min_u32_e32 v198, 32, v198
	v_subrev_nc_u32_e32 v199, 28, v198
	v_sub_nc_u32_e32 v198, 29, v198
	s_wait_alu 0xfffd
	s_delay_alu instid0(VALU_DEP_1) | instskip(NEXT) | instid1(VALU_DEP_1)
	v_dual_cndmask_b32 v198, v208, v198 :: v_dual_lshlrev_b32 v199, v199, v131
	v_lshl_add_u32 v198, v198, 23, 0x3b800000
	s_delay_alu instid0(VALU_DEP_2) | instskip(NEXT) | instid1(VALU_DEP_1)
	v_and_b32_e32 v199, 7, v199
	v_cndmask_b32_e32 v131, v131, v199, vcc_lo
	s_delay_alu instid0(VALU_DEP_1) | instskip(NEXT) | instid1(VALU_DEP_1)
	v_lshlrev_b32_e32 v131, 20, v131
	v_or3_b32 v131, v97, v198, v131
.LBB7_206:                              ;   in Loop: Header=BB7_62 Depth=1
	s_wait_alu 0xfffe
	s_or_b32 exec_lo, exec_lo, s1
	v_and_b32_e32 v198, 0xff, v194
	s_mov_b32 s0, 0
	s_mov_b32 s1, exec_lo
	s_delay_alu instid0(VALU_DEP_1)
	v_cmpx_lt_i16_e64 0x7f, v198
	s_wait_alu 0xfffe
	s_xor_b32 s1, exec_lo, s1
	s_cbranch_execnz .LBB7_1229
; %bb.207:                              ;   in Loop: Header=BB7_62 Depth=1
	s_wait_alu 0xfffe
	s_or_saveexec_b32 s1, s1
	v_mov_b32_e32 v97, 0x7f800001
	s_wait_alu 0xfffe
	s_xor_b32 exec_lo, exec_lo, s1
	s_cbranch_execnz .LBB7_1232
.LBB7_208:                              ;   in Loop: Header=BB7_62 Depth=1
	s_or_b32 exec_lo, exec_lo, s1
	s_and_saveexec_b32 s1, s0
	s_cbranch_execz .LBB7_210
.LBB7_209:                              ;   in Loop: Header=BB7_62 Depth=1
	v_and_b32_e32 v97, 7, v194
	v_lshrrev_b16 v208, 3, v194
	v_lshrrev_b16 v194, 7, v194
	s_delay_alu instid0(VALU_DEP_3) | instskip(NEXT) | instid1(VALU_DEP_3)
	v_clz_i32_u32_e32 v198, v97
	v_and_b32_e32 v208, 15, v208
	s_delay_alu instid0(VALU_DEP_3) | instskip(NEXT) | instid1(VALU_DEP_3)
	v_lshlrev_b32_e32 v194, 31, v194
	v_min_u32_e32 v198, 32, v198
	s_delay_alu instid0(VALU_DEP_3) | instskip(NEXT) | instid1(VALU_DEP_2)
	v_cmp_eq_u16_e64 vcc_lo, 0, v208
	v_subrev_nc_u32_e32 v199, 28, v198
	v_sub_nc_u32_e32 v198, 29, v198
	s_wait_alu 0xfffd
	s_delay_alu instid0(VALU_DEP_1) | instskip(NEXT) | instid1(VALU_DEP_1)
	v_dual_cndmask_b32 v198, v208, v198 :: v_dual_lshlrev_b32 v199, v199, v97
	v_and_b32_e32 v199, 7, v199
	s_delay_alu instid0(VALU_DEP_2) | instskip(NEXT) | instid1(VALU_DEP_2)
	v_lshl_add_u32 v198, v198, 23, 0x3b800000
	v_cndmask_b32_e32 v97, v97, v199, vcc_lo
	s_delay_alu instid0(VALU_DEP_1) | instskip(NEXT) | instid1(VALU_DEP_1)
	v_lshlrev_b32_e32 v97, 20, v97
	v_or3_b32 v97, v194, v198, v97
.LBB7_210:                              ;   in Loop: Header=BB7_62 Depth=1
	s_wait_alu 0xfffe
	s_or_b32 exec_lo, exec_lo, s1
	v_and_b32_e32 v198, 0xff, v196
	s_mov_b32 s0, 0
	s_mov_b32 s1, exec_lo
	s_delay_alu instid0(VALU_DEP_1)
	v_cmpx_lt_i16_e64 0x7f, v198
	s_wait_alu 0xfffe
	s_xor_b32 s1, exec_lo, s1
	s_cbranch_execnz .LBB7_1233
; %bb.211:                              ;   in Loop: Header=BB7_62 Depth=1
	s_wait_alu 0xfffe
	s_or_saveexec_b32 s1, s1
	v_mov_b32_e32 v194, 0x7f800001
	s_wait_alu 0xfffe
	s_xor_b32 exec_lo, exec_lo, s1
	s_cbranch_execnz .LBB7_1236
.LBB7_212:                              ;   in Loop: Header=BB7_62 Depth=1
	s_or_b32 exec_lo, exec_lo, s1
	s_and_saveexec_b32 s1, s0
	s_cbranch_execz .LBB7_214
.LBB7_213:                              ;   in Loop: Header=BB7_62 Depth=1
	v_and_b32_e32 v194, 7, v196
	v_lshrrev_b16 v208, 3, v196
	v_lshrrev_b16 v196, 7, v196
	s_delay_alu instid0(VALU_DEP_3) | instskip(NEXT) | instid1(VALU_DEP_3)
	v_clz_i32_u32_e32 v198, v194
	v_and_b32_e32 v208, 15, v208
	s_delay_alu instid0(VALU_DEP_3) | instskip(NEXT) | instid1(VALU_DEP_3)
	v_lshlrev_b32_e32 v196, 31, v196
	v_min_u32_e32 v198, 32, v198
	s_delay_alu instid0(VALU_DEP_3) | instskip(NEXT) | instid1(VALU_DEP_2)
	v_cmp_eq_u16_e64 vcc_lo, 0, v208
	v_subrev_nc_u32_e32 v199, 28, v198
	v_sub_nc_u32_e32 v198, 29, v198
	s_delay_alu instid0(VALU_DEP_2) | instskip(SKIP_1) | instid1(VALU_DEP_1)
	v_lshlrev_b32_e32 v199, v199, v194
	s_wait_alu 0xfffd
	v_dual_cndmask_b32 v198, v208, v198 :: v_dual_and_b32 v199, 7, v199
	s_delay_alu instid0(VALU_DEP_1) | instskip(NEXT) | instid1(VALU_DEP_2)
	v_lshl_add_u32 v198, v198, 23, 0x3b800000
	v_cndmask_b32_e32 v194, v194, v199, vcc_lo
	s_delay_alu instid0(VALU_DEP_1) | instskip(NEXT) | instid1(VALU_DEP_1)
	v_lshlrev_b32_e32 v194, 20, v194
	v_or3_b32 v194, v196, v198, v194
.LBB7_214:                              ;   in Loop: Header=BB7_62 Depth=1
	s_wait_alu 0xfffe
	s_or_b32 exec_lo, exec_lo, s1
	s_mov_b32 s0, 0
	s_mov_b32 s1, exec_lo
	v_cmpx_lt_i16_e64 0x7f, v197
	s_wait_alu 0xfffe
	s_xor_b32 s1, exec_lo, s1
	s_cbranch_execnz .LBB7_1237
; %bb.215:                              ;   in Loop: Header=BB7_62 Depth=1
	s_wait_alu 0xfffe
	s_or_saveexec_b32 s1, s1
	v_mov_b32_e32 v196, 0x7f800001
	s_wait_alu 0xfffe
	s_xor_b32 exec_lo, exec_lo, s1
	s_cbranch_execnz .LBB7_1240
.LBB7_216:                              ;   in Loop: Header=BB7_62 Depth=1
	s_or_b32 exec_lo, exec_lo, s1
	s_and_saveexec_b32 s1, s0
	s_cbranch_execz .LBB7_218
.LBB7_217:                              ;   in Loop: Header=BB7_62 Depth=1
	v_and_b32_e32 v196, 7, v197
	v_lshrrev_b16 v208, 3, v197
	v_lshrrev_b16 v197, 7, v197
	s_delay_alu instid0(VALU_DEP_3) | instskip(NEXT) | instid1(VALU_DEP_3)
	v_clz_i32_u32_e32 v198, v196
	v_and_b32_e32 v208, 15, v208
	s_delay_alu instid0(VALU_DEP_3) | instskip(NEXT) | instid1(VALU_DEP_3)
	v_lshlrev_b32_e32 v197, 31, v197
	v_min_u32_e32 v198, 32, v198
	s_delay_alu instid0(VALU_DEP_3) | instskip(NEXT) | instid1(VALU_DEP_2)
	v_cmp_eq_u16_e64 vcc_lo, 0, v208
	v_subrev_nc_u32_e32 v199, 28, v198
	v_sub_nc_u32_e32 v198, 29, v198
	s_wait_alu 0xfffd
	s_delay_alu instid0(VALU_DEP_1) | instskip(NEXT) | instid1(VALU_DEP_1)
	v_dual_cndmask_b32 v198, v208, v198 :: v_dual_lshlrev_b32 v199, v199, v196
	v_and_b32_e32 v199, 7, v199
	s_delay_alu instid0(VALU_DEP_2) | instskip(NEXT) | instid1(VALU_DEP_2)
	v_lshl_add_u32 v198, v198, 23, 0x3b800000
	v_cndmask_b32_e32 v196, v196, v199, vcc_lo
	s_delay_alu instid0(VALU_DEP_1) | instskip(NEXT) | instid1(VALU_DEP_1)
	v_lshlrev_b32_e32 v196, 20, v196
	v_or3_b32 v196, v197, v198, v196
.LBB7_218:                              ;   in Loop: Header=BB7_62 Depth=1
	s_wait_alu 0xfffe
	s_or_b32 exec_lo, exec_lo, s1
	v_and_b32_e32 v198, 0xff, v98
	s_mov_b32 s0, 0
	s_mov_b32 s1, exec_lo
	s_delay_alu instid0(VALU_DEP_1)
	v_cmpx_lt_i16_e64 0x7f, v198
	s_wait_alu 0xfffe
	s_xor_b32 s1, exec_lo, s1
	s_cbranch_execnz .LBB7_1241
; %bb.219:                              ;   in Loop: Header=BB7_62 Depth=1
	s_wait_alu 0xfffe
	s_or_saveexec_b32 s1, s1
	v_mov_b32_e32 v197, 0x7f800001
	s_wait_alu 0xfffe
	s_xor_b32 exec_lo, exec_lo, s1
	s_cbranch_execnz .LBB7_1244
.LBB7_220:                              ;   in Loop: Header=BB7_62 Depth=1
	s_or_b32 exec_lo, exec_lo, s1
	s_and_saveexec_b32 s1, s0
	s_cbranch_execz .LBB7_222
.LBB7_221:                              ;   in Loop: Header=BB7_62 Depth=1
	v_and_b32_e32 v197, 7, v98
	v_lshrrev_b16 v208, 3, v98
	v_lshrrev_b16 v98, 7, v98
	s_delay_alu instid0(VALU_DEP_3) | instskip(NEXT) | instid1(VALU_DEP_3)
	v_clz_i32_u32_e32 v198, v197
	v_and_b32_e32 v208, 15, v208
	s_delay_alu instid0(VALU_DEP_3) | instskip(NEXT) | instid1(VALU_DEP_3)
	v_lshlrev_b32_e32 v98, 31, v98
	v_min_u32_e32 v198, 32, v198
	s_delay_alu instid0(VALU_DEP_3) | instskip(NEXT) | instid1(VALU_DEP_2)
	v_cmp_eq_u16_e64 vcc_lo, 0, v208
	v_subrev_nc_u32_e32 v199, 28, v198
	v_sub_nc_u32_e32 v198, 29, v198
	s_wait_alu 0xfffd
	s_delay_alu instid0(VALU_DEP_1) | instskip(NEXT) | instid1(VALU_DEP_1)
	v_dual_cndmask_b32 v198, v208, v198 :: v_dual_lshlrev_b32 v199, v199, v197
	v_and_b32_e32 v199, 7, v199
	s_delay_alu instid0(VALU_DEP_2) | instskip(NEXT) | instid1(VALU_DEP_2)
	v_lshl_add_u32 v198, v198, 23, 0x3b800000
	v_cndmask_b32_e32 v197, v197, v199, vcc_lo
	s_delay_alu instid0(VALU_DEP_1) | instskip(NEXT) | instid1(VALU_DEP_1)
	v_lshlrev_b32_e32 v197, 20, v197
	v_or3_b32 v197, v98, v198, v197
.LBB7_222:                              ;   in Loop: Header=BB7_62 Depth=1
	s_wait_alu 0xfffe
	s_or_b32 exec_lo, exec_lo, s1
	v_and_b32_e32 v198, 0xff, v195
	s_mov_b32 s0, 0
	s_mov_b32 s1, exec_lo
	s_delay_alu instid0(VALU_DEP_1)
	v_cmpx_lt_i16_e64 0x7f, v198
	s_wait_alu 0xfffe
	s_xor_b32 s1, exec_lo, s1
	s_cbranch_execnz .LBB7_1245
; %bb.223:                              ;   in Loop: Header=BB7_62 Depth=1
	s_wait_alu 0xfffe
	s_or_saveexec_b32 s1, s1
	v_mov_b32_e32 v98, 0x7f800001
	s_wait_alu 0xfffe
	s_xor_b32 exec_lo, exec_lo, s1
	s_cbranch_execnz .LBB7_1248
.LBB7_224:                              ;   in Loop: Header=BB7_62 Depth=1
	s_or_b32 exec_lo, exec_lo, s1
	s_and_saveexec_b32 s1, s0
	s_cbranch_execz .LBB7_226
.LBB7_225:                              ;   in Loop: Header=BB7_62 Depth=1
	v_and_b32_e32 v98, 7, v195
	v_lshrrev_b16 v208, 3, v195
	v_lshrrev_b16 v195, 7, v195
	s_delay_alu instid0(VALU_DEP_3) | instskip(NEXT) | instid1(VALU_DEP_3)
	v_clz_i32_u32_e32 v198, v98
	v_and_b32_e32 v208, 15, v208
	s_delay_alu instid0(VALU_DEP_3) | instskip(NEXT) | instid1(VALU_DEP_3)
	v_lshlrev_b32_e32 v195, 31, v195
	v_min_u32_e32 v198, 32, v198
	s_delay_alu instid0(VALU_DEP_3) | instskip(NEXT) | instid1(VALU_DEP_2)
	v_cmp_eq_u16_e64 vcc_lo, 0, v208
	v_subrev_nc_u32_e32 v199, 28, v198
	v_sub_nc_u32_e32 v198, 29, v198
	s_delay_alu instid0(VALU_DEP_2) | instskip(SKIP_1) | instid1(VALU_DEP_1)
	v_lshlrev_b32_e32 v199, v199, v98
	s_wait_alu 0xfffd
	v_dual_cndmask_b32 v198, v208, v198 :: v_dual_and_b32 v199, 7, v199
	s_delay_alu instid0(VALU_DEP_1) | instskip(NEXT) | instid1(VALU_DEP_2)
	v_lshl_add_u32 v198, v198, 23, 0x3b800000
	v_cndmask_b32_e32 v98, v98, v199, vcc_lo
	s_delay_alu instid0(VALU_DEP_1) | instskip(NEXT) | instid1(VALU_DEP_1)
	v_lshlrev_b32_e32 v98, 20, v98
	v_or3_b32 v98, v195, v198, v98
.LBB7_226:                              ;   in Loop: Header=BB7_62 Depth=1
	s_wait_alu 0xfffe
	s_or_b32 exec_lo, exec_lo, s1
	v_and_b32_e32 v198, 0xff, v193
	s_mov_b32 s0, 0
	s_mov_b32 s1, exec_lo
	s_delay_alu instid0(VALU_DEP_1)
	v_cmpx_lt_i16_e64 0x7f, v198
	s_wait_alu 0xfffe
	s_xor_b32 s1, exec_lo, s1
	s_cbranch_execnz .LBB7_1249
; %bb.227:                              ;   in Loop: Header=BB7_62 Depth=1
	s_wait_alu 0xfffe
	s_or_saveexec_b32 s1, s1
	v_mov_b32_e32 v195, 0x7f800001
	s_wait_alu 0xfffe
	s_xor_b32 exec_lo, exec_lo, s1
	s_cbranch_execnz .LBB7_1252
.LBB7_228:                              ;   in Loop: Header=BB7_62 Depth=1
	s_or_b32 exec_lo, exec_lo, s1
	s_and_saveexec_b32 s1, s0
	s_cbranch_execz .LBB7_230
.LBB7_229:                              ;   in Loop: Header=BB7_62 Depth=1
	v_lshrrev_b16 v208, 3, v193
	s_delay_alu instid0(VALU_DEP_1) | instskip(NEXT) | instid1(VALU_DEP_1)
	v_and_b32_e32 v208, 15, v208
	v_cmp_eq_u16_e64 vcc_lo, 0, v208
	v_and_b32_e32 v195, 7, v193
	v_lshrrev_b16 v193, 7, v193
	s_delay_alu instid0(VALU_DEP_2) | instskip(NEXT) | instid1(VALU_DEP_2)
	v_clz_i32_u32_e32 v198, v195
	v_lshlrev_b32_e32 v193, 31, v193
	s_delay_alu instid0(VALU_DEP_2) | instskip(NEXT) | instid1(VALU_DEP_1)
	v_min_u32_e32 v198, 32, v198
	v_subrev_nc_u32_e32 v199, 28, v198
	v_sub_nc_u32_e32 v198, 29, v198
	s_wait_alu 0xfffd
	s_delay_alu instid0(VALU_DEP_1) | instskip(NEXT) | instid1(VALU_DEP_1)
	v_dual_cndmask_b32 v198, v208, v198 :: v_dual_lshlrev_b32 v199, v199, v195
	v_lshl_add_u32 v198, v198, 23, 0x3b800000
	s_delay_alu instid0(VALU_DEP_2) | instskip(NEXT) | instid1(VALU_DEP_1)
	v_and_b32_e32 v199, 7, v199
	v_cndmask_b32_e32 v195, v195, v199, vcc_lo
	s_delay_alu instid0(VALU_DEP_1) | instskip(NEXT) | instid1(VALU_DEP_1)
	v_lshlrev_b32_e32 v195, 20, v195
	v_or3_b32 v195, v193, v198, v195
.LBB7_230:                              ;   in Loop: Header=BB7_62 Depth=1
	s_wait_alu 0xfffe
	s_or_b32 exec_lo, exec_lo, s1
	s_mov_b32 s0, 0
	s_mov_b32 s1, exec_lo
	v_cmpx_lt_i16_e64 0x7f, v192
	s_wait_alu 0xfffe
	s_xor_b32 s1, exec_lo, s1
	s_cbranch_execnz .LBB7_1253
; %bb.231:                              ;   in Loop: Header=BB7_62 Depth=1
	s_wait_alu 0xfffe
	s_or_saveexec_b32 s1, s1
	v_mov_b32_e32 v193, 0x7f800001
	s_wait_alu 0xfffe
	s_xor_b32 exec_lo, exec_lo, s1
	s_cbranch_execnz .LBB7_1256
.LBB7_232:                              ;   in Loop: Header=BB7_62 Depth=1
	s_or_b32 exec_lo, exec_lo, s1
	s_and_saveexec_b32 s1, s0
	s_cbranch_execz .LBB7_234
.LBB7_233:                              ;   in Loop: Header=BB7_62 Depth=1
	v_lshrrev_b16 v208, 3, v192
	s_delay_alu instid0(VALU_DEP_1) | instskip(NEXT) | instid1(VALU_DEP_1)
	v_and_b32_e32 v208, 15, v208
	v_cmp_eq_u16_e64 vcc_lo, 0, v208
	v_and_b32_e32 v193, 7, v192
	v_lshrrev_b16 v192, 7, v192
	s_delay_alu instid0(VALU_DEP_2) | instskip(NEXT) | instid1(VALU_DEP_2)
	v_clz_i32_u32_e32 v198, v193
	v_lshlrev_b32_e32 v192, 31, v192
	s_delay_alu instid0(VALU_DEP_2) | instskip(NEXT) | instid1(VALU_DEP_1)
	v_min_u32_e32 v198, 32, v198
	v_subrev_nc_u32_e32 v199, 28, v198
	v_sub_nc_u32_e32 v198, 29, v198
	s_wait_alu 0xfffd
	s_delay_alu instid0(VALU_DEP_1) | instskip(NEXT) | instid1(VALU_DEP_1)
	v_dual_cndmask_b32 v198, v208, v198 :: v_dual_lshlrev_b32 v199, v199, v193
	v_lshl_add_u32 v198, v198, 23, 0x3b800000
	s_delay_alu instid0(VALU_DEP_2) | instskip(NEXT) | instid1(VALU_DEP_1)
	v_and_b32_e32 v199, 7, v199
	v_cndmask_b32_e32 v193, v193, v199, vcc_lo
	s_delay_alu instid0(VALU_DEP_1) | instskip(NEXT) | instid1(VALU_DEP_1)
	v_lshlrev_b32_e32 v193, 20, v193
	v_or3_b32 v193, v192, v198, v193
.LBB7_234:                              ;   in Loop: Header=BB7_62 Depth=1
	s_wait_alu 0xfffe
	s_or_b32 exec_lo, exec_lo, s1
	v_and_b32_e32 v198, 0xff, v99
	s_mov_b32 s0, 0
	s_mov_b32 s1, exec_lo
	s_delay_alu instid0(VALU_DEP_1)
	v_cmpx_lt_i16_e64 0x7f, v198
	s_wait_alu 0xfffe
	s_xor_b32 s1, exec_lo, s1
	s_cbranch_execnz .LBB7_1257
; %bb.235:                              ;   in Loop: Header=BB7_62 Depth=1
	s_wait_alu 0xfffe
	s_or_saveexec_b32 s1, s1
	v_mov_b32_e32 v192, 0x7f800001
	s_wait_alu 0xfffe
	s_xor_b32 exec_lo, exec_lo, s1
	s_cbranch_execnz .LBB7_1260
.LBB7_236:                              ;   in Loop: Header=BB7_62 Depth=1
	s_or_b32 exec_lo, exec_lo, s1
	s_and_saveexec_b32 s1, s0
	s_cbranch_execz .LBB7_238
.LBB7_237:                              ;   in Loop: Header=BB7_62 Depth=1
	v_and_b32_e32 v192, 7, v99
	v_lshrrev_b16 v208, 3, v99
	v_lshrrev_b16 v99, 7, v99
	s_delay_alu instid0(VALU_DEP_3) | instskip(NEXT) | instid1(VALU_DEP_3)
	v_clz_i32_u32_e32 v198, v192
	v_and_b32_e32 v208, 15, v208
	s_delay_alu instid0(VALU_DEP_3) | instskip(NEXT) | instid1(VALU_DEP_3)
	v_lshlrev_b32_e32 v99, 31, v99
	v_min_u32_e32 v198, 32, v198
	s_delay_alu instid0(VALU_DEP_3) | instskip(NEXT) | instid1(VALU_DEP_2)
	v_cmp_eq_u16_e64 vcc_lo, 0, v208
	v_subrev_nc_u32_e32 v199, 28, v198
	v_sub_nc_u32_e32 v198, 29, v198
	s_wait_alu 0xfffd
	s_delay_alu instid0(VALU_DEP_1) | instskip(NEXT) | instid1(VALU_DEP_1)
	v_dual_cndmask_b32 v198, v208, v198 :: v_dual_lshlrev_b32 v199, v199, v192
	v_and_b32_e32 v199, 7, v199
	s_delay_alu instid0(VALU_DEP_2) | instskip(NEXT) | instid1(VALU_DEP_2)
	v_lshl_add_u32 v198, v198, 23, 0x3b800000
	v_cndmask_b32_e32 v192, v192, v199, vcc_lo
	s_delay_alu instid0(VALU_DEP_1) | instskip(NEXT) | instid1(VALU_DEP_1)
	v_lshlrev_b32_e32 v192, 20, v192
	v_or3_b32 v192, v99, v198, v192
.LBB7_238:                              ;   in Loop: Header=BB7_62 Depth=1
	s_wait_alu 0xfffe
	s_or_b32 exec_lo, exec_lo, s1
	v_and_b32_e32 v198, 0xff, v129
	s_mov_b32 s0, 0
	s_mov_b32 s1, exec_lo
	s_delay_alu instid0(VALU_DEP_1)
	v_cmpx_lt_i16_e64 0x7f, v198
	s_wait_alu 0xfffe
	s_xor_b32 s1, exec_lo, s1
	s_cbranch_execnz .LBB7_1261
; %bb.239:                              ;   in Loop: Header=BB7_62 Depth=1
	s_wait_alu 0xfffe
	s_or_saveexec_b32 s1, s1
	v_mov_b32_e32 v99, 0x7f800001
	s_wait_alu 0xfffe
	s_xor_b32 exec_lo, exec_lo, s1
	s_cbranch_execnz .LBB7_1264
.LBB7_240:                              ;   in Loop: Header=BB7_62 Depth=1
	s_or_b32 exec_lo, exec_lo, s1
	s_and_saveexec_b32 s1, s0
	s_cbranch_execz .LBB7_242
.LBB7_241:                              ;   in Loop: Header=BB7_62 Depth=1
	v_lshrrev_b16 v208, 3, v129
	s_delay_alu instid0(VALU_DEP_1) | instskip(NEXT) | instid1(VALU_DEP_1)
	v_and_b32_e32 v208, 15, v208
	v_cmp_eq_u16_e64 vcc_lo, 0, v208
	v_and_b32_e32 v99, 7, v129
	v_lshrrev_b16 v129, 7, v129
	s_delay_alu instid0(VALU_DEP_2) | instskip(NEXT) | instid1(VALU_DEP_2)
	v_clz_i32_u32_e32 v198, v99
	v_lshlrev_b32_e32 v129, 31, v129
	s_delay_alu instid0(VALU_DEP_2) | instskip(NEXT) | instid1(VALU_DEP_1)
	v_min_u32_e32 v198, 32, v198
	v_subrev_nc_u32_e32 v199, 28, v198
	v_sub_nc_u32_e32 v198, 29, v198
	s_wait_alu 0xfffd
	s_delay_alu instid0(VALU_DEP_1) | instskip(NEXT) | instid1(VALU_DEP_1)
	v_dual_cndmask_b32 v198, v208, v198 :: v_dual_lshlrev_b32 v199, v199, v99
	v_lshl_add_u32 v198, v198, 23, 0x3b800000
	s_delay_alu instid0(VALU_DEP_2) | instskip(NEXT) | instid1(VALU_DEP_1)
	v_and_b32_e32 v199, 7, v199
	v_cndmask_b32_e32 v99, v99, v199, vcc_lo
	s_delay_alu instid0(VALU_DEP_1) | instskip(NEXT) | instid1(VALU_DEP_1)
	v_lshlrev_b32_e32 v99, 20, v99
	v_or3_b32 v99, v129, v198, v99
.LBB7_242:                              ;   in Loop: Header=BB7_62 Depth=1
	s_wait_alu 0xfffe
	s_or_b32 exec_lo, exec_lo, s1
	v_and_b32_e32 v198, 0xff, v119
	s_mov_b32 s0, 0
	s_mov_b32 s1, exec_lo
	s_delay_alu instid0(VALU_DEP_1)
	v_cmpx_lt_i16_e64 0x7f, v198
	s_wait_alu 0xfffe
	s_xor_b32 s1, exec_lo, s1
	s_cbranch_execnz .LBB7_1265
; %bb.243:                              ;   in Loop: Header=BB7_62 Depth=1
	s_wait_alu 0xfffe
	s_or_saveexec_b32 s1, s1
	v_mov_b32_e32 v129, 0x7f800001
	s_wait_alu 0xfffe
	s_xor_b32 exec_lo, exec_lo, s1
	s_cbranch_execnz .LBB7_1268
.LBB7_244:                              ;   in Loop: Header=BB7_62 Depth=1
	s_or_b32 exec_lo, exec_lo, s1
	s_and_saveexec_b32 s1, s0
	s_cbranch_execz .LBB7_246
.LBB7_245:                              ;   in Loop: Header=BB7_62 Depth=1
	v_lshrrev_b16 v208, 3, v119
	s_delay_alu instid0(VALU_DEP_1) | instskip(NEXT) | instid1(VALU_DEP_1)
	v_and_b32_e32 v208, 15, v208
	v_cmp_eq_u16_e64 vcc_lo, 0, v208
	v_and_b32_e32 v129, 7, v119
	v_lshrrev_b16 v119, 7, v119
	s_delay_alu instid0(VALU_DEP_2) | instskip(NEXT) | instid1(VALU_DEP_2)
	v_clz_i32_u32_e32 v198, v129
	v_lshlrev_b32_e32 v119, 31, v119
	s_delay_alu instid0(VALU_DEP_2) | instskip(NEXT) | instid1(VALU_DEP_1)
	v_min_u32_e32 v198, 32, v198
	v_subrev_nc_u32_e32 v199, 28, v198
	v_sub_nc_u32_e32 v198, 29, v198
	s_wait_alu 0xfffd
	s_delay_alu instid0(VALU_DEP_1) | instskip(NEXT) | instid1(VALU_DEP_1)
	v_dual_cndmask_b32 v198, v208, v198 :: v_dual_lshlrev_b32 v199, v199, v129
	v_lshl_add_u32 v198, v198, 23, 0x3b800000
	s_delay_alu instid0(VALU_DEP_2) | instskip(NEXT) | instid1(VALU_DEP_1)
	v_and_b32_e32 v199, 7, v199
	v_cndmask_b32_e32 v129, v129, v199, vcc_lo
	s_delay_alu instid0(VALU_DEP_1) | instskip(NEXT) | instid1(VALU_DEP_1)
	v_lshlrev_b32_e32 v129, 20, v129
	v_or3_b32 v129, v119, v198, v129
.LBB7_246:                              ;   in Loop: Header=BB7_62 Depth=1
	s_wait_alu 0xfffe
	s_or_b32 exec_lo, exec_lo, s1
	s_mov_b32 s0, 0
	s_mov_b32 s1, exec_lo
	v_cmpx_lt_i16_e32 0x7f, v118
	s_wait_alu 0xfffe
	s_xor_b32 s1, exec_lo, s1
	s_cbranch_execnz .LBB7_1269
; %bb.247:                              ;   in Loop: Header=BB7_62 Depth=1
	s_wait_alu 0xfffe
	s_or_saveexec_b32 s1, s1
	v_mov_b32_e32 v119, 0x7f800001
	s_wait_alu 0xfffe
	s_xor_b32 exec_lo, exec_lo, s1
	s_cbranch_execnz .LBB7_1272
.LBB7_248:                              ;   in Loop: Header=BB7_62 Depth=1
	s_or_b32 exec_lo, exec_lo, s1
	s_and_saveexec_b32 s1, s0
	s_cbranch_execz .LBB7_250
.LBB7_249:                              ;   in Loop: Header=BB7_62 Depth=1
	v_and_b32_e32 v119, 7, v118
	v_lshrrev_b16 v208, 3, v118
	v_lshrrev_b16 v118, 7, v118
	s_delay_alu instid0(VALU_DEP_3) | instskip(NEXT) | instid1(VALU_DEP_3)
	v_clz_i32_u32_e32 v198, v119
	v_and_b32_e32 v208, 15, v208
	s_delay_alu instid0(VALU_DEP_3) | instskip(NEXT) | instid1(VALU_DEP_3)
	v_lshlrev_b32_e32 v118, 31, v118
	v_min_u32_e32 v198, 32, v198
	s_delay_alu instid0(VALU_DEP_3) | instskip(NEXT) | instid1(VALU_DEP_2)
	v_cmp_eq_u16_e64 vcc_lo, 0, v208
	v_subrev_nc_u32_e32 v199, 28, v198
	v_sub_nc_u32_e32 v198, 29, v198
	s_wait_alu 0xfffd
	s_delay_alu instid0(VALU_DEP_1) | instskip(NEXT) | instid1(VALU_DEP_1)
	v_dual_cndmask_b32 v198, v208, v198 :: v_dual_lshlrev_b32 v199, v199, v119
	v_and_b32_e32 v199, 7, v199
	s_delay_alu instid0(VALU_DEP_2) | instskip(NEXT) | instid1(VALU_DEP_2)
	v_lshl_add_u32 v198, v198, 23, 0x3b800000
	v_cndmask_b32_e32 v119, v119, v199, vcc_lo
	s_delay_alu instid0(VALU_DEP_1) | instskip(NEXT) | instid1(VALU_DEP_1)
	v_lshlrev_b32_e32 v119, 20, v119
	v_or3_b32 v119, v118, v198, v119
.LBB7_250:                              ;   in Loop: Header=BB7_62 Depth=1
	s_wait_alu 0xfffe
	s_or_b32 exec_lo, exec_lo, s1
	v_cvt_pk_rtz_f16_f32_e32 v208, v117, v96
	v_add_nc_u32_e32 v96, 32, v103
	v_cvt_pk_rtz_f16_f32_e32 v210, v131, v97
	v_cvt_pk_rtz_f16_f32_e32 v211, v194, v196
	;; [unrolled: 1-line block ×4, first 2 shown]
	v_ashrrev_i32_e32 v97, 31, v96
	v_cvt_pk_rtz_f16_f32_e32 v198, v192, v99
	v_cvt_pk_rtz_f16_f32_e32 v197, v195, v193
	;; [unrolled: 1-line block ×3, first 2 shown]
	s_clause 0x1
	scratch_store_b128 off, v[208:211], s33 offset:32
	scratch_store_b128 off, v[196:199], s33 offset:48
	v_lshrrev_b32_e32 v97, 28, v97
	s_mov_b32 s0, 0
	s_mov_b32 s1, exec_lo
	s_delay_alu instid0(VALU_DEP_1) | instskip(NEXT) | instid1(VALU_DEP_1)
	v_add_nc_u32_e32 v97, v96, v97
	v_lshrrev_b32_e32 v98, 4, v97
	v_and_b32_e32 v97, -16, v97
	s_delay_alu instid0(VALU_DEP_2) | instskip(NEXT) | instid1(VALU_DEP_2)
	v_add_nc_u32_e32 v98, v98, v114
	v_sub_nc_u32_e32 v96, v96, v97
	s_delay_alu instid0(VALU_DEP_2) | instskip(NEXT) | instid1(VALU_DEP_1)
	v_xor_b32_e32 v98, v98, v115
	v_sub_nc_u32_e32 v98, v98, v112
	s_delay_alu instid0(VALU_DEP_1) | instskip(NEXT) | instid1(VALU_DEP_1)
	v_lshlrev_b32_e32 v97, 4, v98
	v_add3_u32 v96, v96, v116, v97
	s_delay_alu instid0(VALU_DEP_1) | instskip(SKIP_2) | instid1(VALU_DEP_2)
	v_ashrrev_i32_e32 v97, 31, v96
	v_add_co_u32 v96, vcc_lo, v100, v96
	s_wait_alu 0xfffd
	v_add_co_ci_u32_e64 v97, null, v101, v97, vcc_lo
	flat_load_b128 v[96:99], v[96:97]
	s_wait_loadcnt_dscnt 0x0
	v_and_b32_e32 v118, 0xff, v96
	s_delay_alu instid0(VALU_DEP_1)
	v_cmpx_lt_i16_e32 0x7f, v118
	s_wait_alu 0xfffe
	s_xor_b32 s1, exec_lo, s1
	s_cbranch_execnz .LBB7_1273
; %bb.251:                              ;   in Loop: Header=BB7_62 Depth=1
	s_wait_alu 0xfffe
	s_or_saveexec_b32 s1, s1
	v_mov_b32_e32 v117, 0x7f800001
	s_wait_alu 0xfffe
	s_xor_b32 exec_lo, exec_lo, s1
	s_cbranch_execnz .LBB7_1276
.LBB7_252:                              ;   in Loop: Header=BB7_62 Depth=1
	s_or_b32 exec_lo, exec_lo, s1
	s_and_saveexec_b32 s1, s0
	s_cbranch_execz .LBB7_254
.LBB7_253:                              ;   in Loop: Header=BB7_62 Depth=1
	v_lshrrev_b16 v128, 3, v96
	v_lshrrev_b16 v129, 7, v96
	s_delay_alu instid0(VALU_DEP_2) | instskip(NEXT) | instid1(VALU_DEP_1)
	v_and_b32_e32 v128, 15, v128
	v_cmp_eq_u16_e64 vcc_lo, 0, v128
	v_and_b32_e32 v117, 7, v96
	s_delay_alu instid0(VALU_DEP_1) | instskip(NEXT) | instid1(VALU_DEP_1)
	v_clz_i32_u32_e32 v118, v117
	v_min_u32_e32 v118, 32, v118
	s_delay_alu instid0(VALU_DEP_1) | instskip(SKIP_2) | instid1(VALU_DEP_1)
	v_subrev_nc_u32_e32 v119, 28, v118
	v_sub_nc_u32_e32 v118, 29, v118
	s_wait_alu 0xfffd
	v_dual_cndmask_b32 v118, v128, v118 :: v_dual_lshlrev_b32 v119, v119, v117
	s_delay_alu instid0(VALU_DEP_1) | instskip(NEXT) | instid1(VALU_DEP_2)
	v_lshl_add_u32 v118, v118, 23, 0x3b800000
	v_and_b32_e32 v119, 7, v119
	s_delay_alu instid0(VALU_DEP_1) | instskip(SKIP_1) | instid1(VALU_DEP_2)
	v_cndmask_b32_e32 v117, v117, v119, vcc_lo
	v_lshlrev_b32_e32 v119, 31, v129
	v_lshlrev_b32_e32 v117, 20, v117
	s_delay_alu instid0(VALU_DEP_1)
	v_or3_b32 v117, v119, v118, v117
.LBB7_254:                              ;   in Loop: Header=BB7_62 Depth=1
	s_wait_alu 0xfffe
	s_or_b32 exec_lo, exec_lo, s1
	v_lshrrev_b32_e32 v128, 8, v96
	v_lshrrev_b32_e32 v118, 24, v99
	v_lshrrev_b32_e32 v119, 16, v99
	v_lshrrev_b32_e32 v129, 8, v99
	v_lshrrev_b32_e32 v192, 24, v98
	v_lshrrev_b32_e32 v193, 16, v98
	v_lshrrev_b32_e32 v195, 8, v98
	v_lshrrev_b32_e32 v197, 24, v97
	v_lshrrev_b32_e32 v196, 16, v97
	v_lshrrev_b32_e32 v194, 8, v97
	v_lshrrev_b32_e32 v131, 24, v96
	v_lshrrev_b32_e32 v130, 16, v96
	v_and_b32_e32 v198, 0xff, v128
	s_mov_b32 s0, 0
	s_mov_b32 s1, exec_lo
	s_delay_alu instid0(VALU_DEP_1)
	v_cmpx_lt_i16_e64 0x7f, v198
	s_wait_alu 0xfffe
	s_xor_b32 s1, exec_lo, s1
	s_cbranch_execnz .LBB7_1277
; %bb.255:                              ;   in Loop: Header=BB7_62 Depth=1
	s_wait_alu 0xfffe
	s_or_saveexec_b32 s1, s1
	v_mov_b32_e32 v96, 0x7f800001
	s_wait_alu 0xfffe
	s_xor_b32 exec_lo, exec_lo, s1
	s_cbranch_execnz .LBB7_1280
.LBB7_256:                              ;   in Loop: Header=BB7_62 Depth=1
	s_or_b32 exec_lo, exec_lo, s1
	s_and_saveexec_b32 s1, s0
	s_cbranch_execz .LBB7_258
.LBB7_257:                              ;   in Loop: Header=BB7_62 Depth=1
	v_and_b32_e32 v96, 7, v128
	v_lshrrev_b16 v208, 3, v128
	v_lshrrev_b16 v128, 7, v128
	s_delay_alu instid0(VALU_DEP_3) | instskip(NEXT) | instid1(VALU_DEP_3)
	v_clz_i32_u32_e32 v198, v96
	v_and_b32_e32 v208, 15, v208
	s_delay_alu instid0(VALU_DEP_3) | instskip(NEXT) | instid1(VALU_DEP_3)
	v_lshlrev_b32_e32 v128, 31, v128
	v_min_u32_e32 v198, 32, v198
	s_delay_alu instid0(VALU_DEP_3) | instskip(NEXT) | instid1(VALU_DEP_2)
	v_cmp_eq_u16_e64 vcc_lo, 0, v208
	v_subrev_nc_u32_e32 v199, 28, v198
	v_sub_nc_u32_e32 v198, 29, v198
	s_wait_alu 0xfffd
	s_delay_alu instid0(VALU_DEP_1) | instskip(NEXT) | instid1(VALU_DEP_1)
	v_dual_cndmask_b32 v198, v208, v198 :: v_dual_lshlrev_b32 v199, v199, v96
	v_and_b32_e32 v199, 7, v199
	s_delay_alu instid0(VALU_DEP_2) | instskip(NEXT) | instid1(VALU_DEP_2)
	v_lshl_add_u32 v198, v198, 23, 0x3b800000
	v_cndmask_b32_e32 v96, v96, v199, vcc_lo
	s_delay_alu instid0(VALU_DEP_1) | instskip(NEXT) | instid1(VALU_DEP_1)
	v_lshlrev_b32_e32 v96, 20, v96
	v_or3_b32 v96, v128, v198, v96
.LBB7_258:                              ;   in Loop: Header=BB7_62 Depth=1
	s_wait_alu 0xfffe
	s_or_b32 exec_lo, exec_lo, s1
	v_and_b32_e32 v198, 0xff, v130
	s_mov_b32 s0, 0
	s_mov_b32 s1, exec_lo
	s_delay_alu instid0(VALU_DEP_1)
	v_cmpx_lt_i16_e64 0x7f, v198
	s_wait_alu 0xfffe
	s_xor_b32 s1, exec_lo, s1
	s_cbranch_execnz .LBB7_1281
; %bb.259:                              ;   in Loop: Header=BB7_62 Depth=1
	s_wait_alu 0xfffe
	s_or_saveexec_b32 s1, s1
	v_mov_b32_e32 v128, 0x7f800001
	s_wait_alu 0xfffe
	s_xor_b32 exec_lo, exec_lo, s1
	s_cbranch_execnz .LBB7_1284
.LBB7_260:                              ;   in Loop: Header=BB7_62 Depth=1
	s_or_b32 exec_lo, exec_lo, s1
	s_and_saveexec_b32 s1, s0
	s_cbranch_execz .LBB7_262
.LBB7_261:                              ;   in Loop: Header=BB7_62 Depth=1
	v_and_b32_e32 v128, 7, v130
	v_lshrrev_b16 v208, 3, v130
	v_lshrrev_b16 v130, 7, v130
	s_delay_alu instid0(VALU_DEP_3) | instskip(NEXT) | instid1(VALU_DEP_3)
	v_clz_i32_u32_e32 v198, v128
	v_and_b32_e32 v208, 15, v208
	s_delay_alu instid0(VALU_DEP_3) | instskip(NEXT) | instid1(VALU_DEP_3)
	v_lshlrev_b32_e32 v130, 31, v130
	v_min_u32_e32 v198, 32, v198
	s_delay_alu instid0(VALU_DEP_3) | instskip(NEXT) | instid1(VALU_DEP_2)
	v_cmp_eq_u16_e64 vcc_lo, 0, v208
	v_subrev_nc_u32_e32 v199, 28, v198
	v_sub_nc_u32_e32 v198, 29, v198
	s_wait_alu 0xfffd
	s_delay_alu instid0(VALU_DEP_1) | instskip(NEXT) | instid1(VALU_DEP_1)
	v_dual_cndmask_b32 v198, v208, v198 :: v_dual_lshlrev_b32 v199, v199, v128
	v_and_b32_e32 v199, 7, v199
	s_delay_alu instid0(VALU_DEP_2) | instskip(NEXT) | instid1(VALU_DEP_2)
	v_lshl_add_u32 v198, v198, 23, 0x3b800000
	v_cndmask_b32_e32 v128, v128, v199, vcc_lo
	s_delay_alu instid0(VALU_DEP_1) | instskip(NEXT) | instid1(VALU_DEP_1)
	v_lshlrev_b32_e32 v128, 20, v128
	v_or3_b32 v128, v130, v198, v128
.LBB7_262:                              ;   in Loop: Header=BB7_62 Depth=1
	s_wait_alu 0xfffe
	s_or_b32 exec_lo, exec_lo, s1
	s_mov_b32 s0, 0
	s_mov_b32 s1, exec_lo
	v_cmpx_lt_i16_e64 0x7f, v131
	s_wait_alu 0xfffe
	s_xor_b32 s1, exec_lo, s1
	s_cbranch_execnz .LBB7_1285
; %bb.263:                              ;   in Loop: Header=BB7_62 Depth=1
	s_wait_alu 0xfffe
	s_or_saveexec_b32 s1, s1
	v_mov_b32_e32 v130, 0x7f800001
	s_wait_alu 0xfffe
	s_xor_b32 exec_lo, exec_lo, s1
	s_cbranch_execnz .LBB7_1288
.LBB7_264:                              ;   in Loop: Header=BB7_62 Depth=1
	s_or_b32 exec_lo, exec_lo, s1
	s_and_saveexec_b32 s1, s0
	s_cbranch_execz .LBB7_266
.LBB7_265:                              ;   in Loop: Header=BB7_62 Depth=1
	v_and_b32_e32 v130, 7, v131
	v_lshrrev_b16 v208, 3, v131
	v_lshrrev_b16 v131, 7, v131
	s_delay_alu instid0(VALU_DEP_3) | instskip(NEXT) | instid1(VALU_DEP_3)
	v_clz_i32_u32_e32 v198, v130
	v_and_b32_e32 v208, 15, v208
	s_delay_alu instid0(VALU_DEP_3) | instskip(NEXT) | instid1(VALU_DEP_3)
	v_lshlrev_b32_e32 v131, 31, v131
	v_min_u32_e32 v198, 32, v198
	s_delay_alu instid0(VALU_DEP_3) | instskip(NEXT) | instid1(VALU_DEP_2)
	v_cmp_eq_u16_e64 vcc_lo, 0, v208
	v_subrev_nc_u32_e32 v199, 28, v198
	v_sub_nc_u32_e32 v198, 29, v198
	s_delay_alu instid0(VALU_DEP_2) | instskip(SKIP_1) | instid1(VALU_DEP_1)
	v_lshlrev_b32_e32 v199, v199, v130
	s_wait_alu 0xfffd
	v_dual_cndmask_b32 v198, v208, v198 :: v_dual_and_b32 v199, 7, v199
	s_delay_alu instid0(VALU_DEP_1) | instskip(NEXT) | instid1(VALU_DEP_2)
	v_lshl_add_u32 v198, v198, 23, 0x3b800000
	v_cndmask_b32_e32 v130, v130, v199, vcc_lo
	s_delay_alu instid0(VALU_DEP_1) | instskip(NEXT) | instid1(VALU_DEP_1)
	v_lshlrev_b32_e32 v130, 20, v130
	v_or3_b32 v130, v131, v198, v130
.LBB7_266:                              ;   in Loop: Header=BB7_62 Depth=1
	s_wait_alu 0xfffe
	s_or_b32 exec_lo, exec_lo, s1
	v_and_b32_e32 v198, 0xff, v97
	s_mov_b32 s0, 0
	s_mov_b32 s1, exec_lo
	s_delay_alu instid0(VALU_DEP_1)
	v_cmpx_lt_i16_e64 0x7f, v198
	s_wait_alu 0xfffe
	s_xor_b32 s1, exec_lo, s1
	s_cbranch_execnz .LBB7_1289
; %bb.267:                              ;   in Loop: Header=BB7_62 Depth=1
	s_wait_alu 0xfffe
	s_or_saveexec_b32 s1, s1
	v_mov_b32_e32 v131, 0x7f800001
	s_wait_alu 0xfffe
	s_xor_b32 exec_lo, exec_lo, s1
	s_cbranch_execnz .LBB7_1292
.LBB7_268:                              ;   in Loop: Header=BB7_62 Depth=1
	s_or_b32 exec_lo, exec_lo, s1
	s_and_saveexec_b32 s1, s0
	s_cbranch_execz .LBB7_270
.LBB7_269:                              ;   in Loop: Header=BB7_62 Depth=1
	v_lshrrev_b16 v208, 3, v97
	s_delay_alu instid0(VALU_DEP_1) | instskip(NEXT) | instid1(VALU_DEP_1)
	v_and_b32_e32 v208, 15, v208
	v_cmp_eq_u16_e64 vcc_lo, 0, v208
	v_and_b32_e32 v131, 7, v97
	v_lshrrev_b16 v97, 7, v97
	s_delay_alu instid0(VALU_DEP_2) | instskip(NEXT) | instid1(VALU_DEP_2)
	v_clz_i32_u32_e32 v198, v131
	v_lshlrev_b32_e32 v97, 31, v97
	s_delay_alu instid0(VALU_DEP_2) | instskip(NEXT) | instid1(VALU_DEP_1)
	v_min_u32_e32 v198, 32, v198
	v_subrev_nc_u32_e32 v199, 28, v198
	v_sub_nc_u32_e32 v198, 29, v198
	s_wait_alu 0xfffd
	s_delay_alu instid0(VALU_DEP_1) | instskip(NEXT) | instid1(VALU_DEP_1)
	v_dual_cndmask_b32 v198, v208, v198 :: v_dual_lshlrev_b32 v199, v199, v131
	v_lshl_add_u32 v198, v198, 23, 0x3b800000
	s_delay_alu instid0(VALU_DEP_2) | instskip(NEXT) | instid1(VALU_DEP_1)
	v_and_b32_e32 v199, 7, v199
	v_cndmask_b32_e32 v131, v131, v199, vcc_lo
	s_delay_alu instid0(VALU_DEP_1) | instskip(NEXT) | instid1(VALU_DEP_1)
	v_lshlrev_b32_e32 v131, 20, v131
	v_or3_b32 v131, v97, v198, v131
.LBB7_270:                              ;   in Loop: Header=BB7_62 Depth=1
	s_wait_alu 0xfffe
	s_or_b32 exec_lo, exec_lo, s1
	v_and_b32_e32 v198, 0xff, v194
	s_mov_b32 s0, 0
	s_mov_b32 s1, exec_lo
	s_delay_alu instid0(VALU_DEP_1)
	v_cmpx_lt_i16_e64 0x7f, v198
	s_wait_alu 0xfffe
	s_xor_b32 s1, exec_lo, s1
	s_cbranch_execnz .LBB7_1293
; %bb.271:                              ;   in Loop: Header=BB7_62 Depth=1
	s_wait_alu 0xfffe
	s_or_saveexec_b32 s1, s1
	v_mov_b32_e32 v97, 0x7f800001
	s_wait_alu 0xfffe
	s_xor_b32 exec_lo, exec_lo, s1
	s_cbranch_execnz .LBB7_1296
.LBB7_272:                              ;   in Loop: Header=BB7_62 Depth=1
	s_or_b32 exec_lo, exec_lo, s1
	s_and_saveexec_b32 s1, s0
	s_cbranch_execz .LBB7_274
.LBB7_273:                              ;   in Loop: Header=BB7_62 Depth=1
	v_and_b32_e32 v97, 7, v194
	v_lshrrev_b16 v208, 3, v194
	v_lshrrev_b16 v194, 7, v194
	s_delay_alu instid0(VALU_DEP_3) | instskip(NEXT) | instid1(VALU_DEP_3)
	v_clz_i32_u32_e32 v198, v97
	v_and_b32_e32 v208, 15, v208
	s_delay_alu instid0(VALU_DEP_3) | instskip(NEXT) | instid1(VALU_DEP_3)
	v_lshlrev_b32_e32 v194, 31, v194
	v_min_u32_e32 v198, 32, v198
	s_delay_alu instid0(VALU_DEP_3) | instskip(NEXT) | instid1(VALU_DEP_2)
	v_cmp_eq_u16_e64 vcc_lo, 0, v208
	v_subrev_nc_u32_e32 v199, 28, v198
	v_sub_nc_u32_e32 v198, 29, v198
	s_wait_alu 0xfffd
	s_delay_alu instid0(VALU_DEP_1) | instskip(NEXT) | instid1(VALU_DEP_1)
	v_dual_cndmask_b32 v198, v208, v198 :: v_dual_lshlrev_b32 v199, v199, v97
	v_and_b32_e32 v199, 7, v199
	s_delay_alu instid0(VALU_DEP_2) | instskip(NEXT) | instid1(VALU_DEP_2)
	v_lshl_add_u32 v198, v198, 23, 0x3b800000
	v_cndmask_b32_e32 v97, v97, v199, vcc_lo
	s_delay_alu instid0(VALU_DEP_1) | instskip(NEXT) | instid1(VALU_DEP_1)
	v_lshlrev_b32_e32 v97, 20, v97
	v_or3_b32 v97, v194, v198, v97
.LBB7_274:                              ;   in Loop: Header=BB7_62 Depth=1
	s_wait_alu 0xfffe
	s_or_b32 exec_lo, exec_lo, s1
	v_and_b32_e32 v198, 0xff, v196
	s_mov_b32 s0, 0
	s_mov_b32 s1, exec_lo
	s_delay_alu instid0(VALU_DEP_1)
	v_cmpx_lt_i16_e64 0x7f, v198
	s_wait_alu 0xfffe
	s_xor_b32 s1, exec_lo, s1
	s_cbranch_execnz .LBB7_1297
; %bb.275:                              ;   in Loop: Header=BB7_62 Depth=1
	s_wait_alu 0xfffe
	s_or_saveexec_b32 s1, s1
	v_mov_b32_e32 v194, 0x7f800001
	s_wait_alu 0xfffe
	s_xor_b32 exec_lo, exec_lo, s1
	s_cbranch_execnz .LBB7_1300
.LBB7_276:                              ;   in Loop: Header=BB7_62 Depth=1
	s_or_b32 exec_lo, exec_lo, s1
	s_and_saveexec_b32 s1, s0
	s_cbranch_execz .LBB7_278
.LBB7_277:                              ;   in Loop: Header=BB7_62 Depth=1
	v_and_b32_e32 v194, 7, v196
	v_lshrrev_b16 v208, 3, v196
	v_lshrrev_b16 v196, 7, v196
	s_delay_alu instid0(VALU_DEP_3) | instskip(NEXT) | instid1(VALU_DEP_3)
	v_clz_i32_u32_e32 v198, v194
	v_and_b32_e32 v208, 15, v208
	s_delay_alu instid0(VALU_DEP_3) | instskip(NEXT) | instid1(VALU_DEP_3)
	v_lshlrev_b32_e32 v196, 31, v196
	v_min_u32_e32 v198, 32, v198
	s_delay_alu instid0(VALU_DEP_3) | instskip(NEXT) | instid1(VALU_DEP_2)
	v_cmp_eq_u16_e64 vcc_lo, 0, v208
	v_subrev_nc_u32_e32 v199, 28, v198
	v_sub_nc_u32_e32 v198, 29, v198
	s_delay_alu instid0(VALU_DEP_2) | instskip(SKIP_1) | instid1(VALU_DEP_1)
	v_lshlrev_b32_e32 v199, v199, v194
	s_wait_alu 0xfffd
	v_dual_cndmask_b32 v198, v208, v198 :: v_dual_and_b32 v199, 7, v199
	s_delay_alu instid0(VALU_DEP_1) | instskip(NEXT) | instid1(VALU_DEP_2)
	v_lshl_add_u32 v198, v198, 23, 0x3b800000
	v_cndmask_b32_e32 v194, v194, v199, vcc_lo
	s_delay_alu instid0(VALU_DEP_1) | instskip(NEXT) | instid1(VALU_DEP_1)
	v_lshlrev_b32_e32 v194, 20, v194
	v_or3_b32 v194, v196, v198, v194
.LBB7_278:                              ;   in Loop: Header=BB7_62 Depth=1
	s_wait_alu 0xfffe
	s_or_b32 exec_lo, exec_lo, s1
	s_mov_b32 s0, 0
	s_mov_b32 s1, exec_lo
	v_cmpx_lt_i16_e64 0x7f, v197
	s_wait_alu 0xfffe
	s_xor_b32 s1, exec_lo, s1
	s_cbranch_execnz .LBB7_1301
; %bb.279:                              ;   in Loop: Header=BB7_62 Depth=1
	s_wait_alu 0xfffe
	s_or_saveexec_b32 s1, s1
	v_mov_b32_e32 v196, 0x7f800001
	s_wait_alu 0xfffe
	s_xor_b32 exec_lo, exec_lo, s1
	s_cbranch_execnz .LBB7_1304
.LBB7_280:                              ;   in Loop: Header=BB7_62 Depth=1
	s_or_b32 exec_lo, exec_lo, s1
	s_and_saveexec_b32 s1, s0
	s_cbranch_execz .LBB7_282
.LBB7_281:                              ;   in Loop: Header=BB7_62 Depth=1
	v_and_b32_e32 v196, 7, v197
	v_lshrrev_b16 v208, 3, v197
	v_lshrrev_b16 v197, 7, v197
	s_delay_alu instid0(VALU_DEP_3) | instskip(NEXT) | instid1(VALU_DEP_3)
	v_clz_i32_u32_e32 v198, v196
	v_and_b32_e32 v208, 15, v208
	s_delay_alu instid0(VALU_DEP_3) | instskip(NEXT) | instid1(VALU_DEP_3)
	v_lshlrev_b32_e32 v197, 31, v197
	v_min_u32_e32 v198, 32, v198
	s_delay_alu instid0(VALU_DEP_3) | instskip(NEXT) | instid1(VALU_DEP_2)
	v_cmp_eq_u16_e64 vcc_lo, 0, v208
	v_subrev_nc_u32_e32 v199, 28, v198
	v_sub_nc_u32_e32 v198, 29, v198
	s_wait_alu 0xfffd
	s_delay_alu instid0(VALU_DEP_1) | instskip(NEXT) | instid1(VALU_DEP_1)
	v_dual_cndmask_b32 v198, v208, v198 :: v_dual_lshlrev_b32 v199, v199, v196
	v_and_b32_e32 v199, 7, v199
	s_delay_alu instid0(VALU_DEP_2) | instskip(NEXT) | instid1(VALU_DEP_2)
	v_lshl_add_u32 v198, v198, 23, 0x3b800000
	v_cndmask_b32_e32 v196, v196, v199, vcc_lo
	s_delay_alu instid0(VALU_DEP_1) | instskip(NEXT) | instid1(VALU_DEP_1)
	v_lshlrev_b32_e32 v196, 20, v196
	v_or3_b32 v196, v197, v198, v196
.LBB7_282:                              ;   in Loop: Header=BB7_62 Depth=1
	s_wait_alu 0xfffe
	s_or_b32 exec_lo, exec_lo, s1
	v_and_b32_e32 v198, 0xff, v98
	s_mov_b32 s0, 0
	s_mov_b32 s1, exec_lo
	s_delay_alu instid0(VALU_DEP_1)
	v_cmpx_lt_i16_e64 0x7f, v198
	s_wait_alu 0xfffe
	s_xor_b32 s1, exec_lo, s1
	s_cbranch_execnz .LBB7_1305
; %bb.283:                              ;   in Loop: Header=BB7_62 Depth=1
	s_wait_alu 0xfffe
	s_or_saveexec_b32 s1, s1
	v_mov_b32_e32 v197, 0x7f800001
	s_wait_alu 0xfffe
	s_xor_b32 exec_lo, exec_lo, s1
	s_cbranch_execnz .LBB7_1308
.LBB7_284:                              ;   in Loop: Header=BB7_62 Depth=1
	s_or_b32 exec_lo, exec_lo, s1
	s_and_saveexec_b32 s1, s0
	s_cbranch_execz .LBB7_286
.LBB7_285:                              ;   in Loop: Header=BB7_62 Depth=1
	v_and_b32_e32 v197, 7, v98
	v_lshrrev_b16 v208, 3, v98
	v_lshrrev_b16 v98, 7, v98
	s_delay_alu instid0(VALU_DEP_3) | instskip(NEXT) | instid1(VALU_DEP_3)
	v_clz_i32_u32_e32 v198, v197
	v_and_b32_e32 v208, 15, v208
	s_delay_alu instid0(VALU_DEP_3) | instskip(NEXT) | instid1(VALU_DEP_3)
	v_lshlrev_b32_e32 v98, 31, v98
	v_min_u32_e32 v198, 32, v198
	s_delay_alu instid0(VALU_DEP_3) | instskip(NEXT) | instid1(VALU_DEP_2)
	v_cmp_eq_u16_e64 vcc_lo, 0, v208
	v_subrev_nc_u32_e32 v199, 28, v198
	v_sub_nc_u32_e32 v198, 29, v198
	s_wait_alu 0xfffd
	s_delay_alu instid0(VALU_DEP_1) | instskip(NEXT) | instid1(VALU_DEP_1)
	v_dual_cndmask_b32 v198, v208, v198 :: v_dual_lshlrev_b32 v199, v199, v197
	v_and_b32_e32 v199, 7, v199
	s_delay_alu instid0(VALU_DEP_2) | instskip(NEXT) | instid1(VALU_DEP_2)
	v_lshl_add_u32 v198, v198, 23, 0x3b800000
	v_cndmask_b32_e32 v197, v197, v199, vcc_lo
	s_delay_alu instid0(VALU_DEP_1) | instskip(NEXT) | instid1(VALU_DEP_1)
	v_lshlrev_b32_e32 v197, 20, v197
	v_or3_b32 v197, v98, v198, v197
.LBB7_286:                              ;   in Loop: Header=BB7_62 Depth=1
	s_wait_alu 0xfffe
	s_or_b32 exec_lo, exec_lo, s1
	v_and_b32_e32 v198, 0xff, v195
	s_mov_b32 s0, 0
	s_mov_b32 s1, exec_lo
	s_delay_alu instid0(VALU_DEP_1)
	v_cmpx_lt_i16_e64 0x7f, v198
	s_wait_alu 0xfffe
	s_xor_b32 s1, exec_lo, s1
	s_cbranch_execnz .LBB7_1309
; %bb.287:                              ;   in Loop: Header=BB7_62 Depth=1
	s_wait_alu 0xfffe
	s_or_saveexec_b32 s1, s1
	v_mov_b32_e32 v98, 0x7f800001
	s_wait_alu 0xfffe
	s_xor_b32 exec_lo, exec_lo, s1
	s_cbranch_execnz .LBB7_1312
.LBB7_288:                              ;   in Loop: Header=BB7_62 Depth=1
	s_or_b32 exec_lo, exec_lo, s1
	s_and_saveexec_b32 s1, s0
	s_cbranch_execz .LBB7_290
.LBB7_289:                              ;   in Loop: Header=BB7_62 Depth=1
	v_and_b32_e32 v98, 7, v195
	v_lshrrev_b16 v208, 3, v195
	v_lshrrev_b16 v195, 7, v195
	s_delay_alu instid0(VALU_DEP_3) | instskip(NEXT) | instid1(VALU_DEP_3)
	v_clz_i32_u32_e32 v198, v98
	v_and_b32_e32 v208, 15, v208
	s_delay_alu instid0(VALU_DEP_3) | instskip(NEXT) | instid1(VALU_DEP_3)
	v_lshlrev_b32_e32 v195, 31, v195
	v_min_u32_e32 v198, 32, v198
	s_delay_alu instid0(VALU_DEP_3) | instskip(NEXT) | instid1(VALU_DEP_2)
	v_cmp_eq_u16_e64 vcc_lo, 0, v208
	v_subrev_nc_u32_e32 v199, 28, v198
	v_sub_nc_u32_e32 v198, 29, v198
	s_delay_alu instid0(VALU_DEP_2) | instskip(SKIP_1) | instid1(VALU_DEP_1)
	v_lshlrev_b32_e32 v199, v199, v98
	s_wait_alu 0xfffd
	v_dual_cndmask_b32 v198, v208, v198 :: v_dual_and_b32 v199, 7, v199
	s_delay_alu instid0(VALU_DEP_1) | instskip(NEXT) | instid1(VALU_DEP_2)
	v_lshl_add_u32 v198, v198, 23, 0x3b800000
	v_cndmask_b32_e32 v98, v98, v199, vcc_lo
	s_delay_alu instid0(VALU_DEP_1) | instskip(NEXT) | instid1(VALU_DEP_1)
	v_lshlrev_b32_e32 v98, 20, v98
	v_or3_b32 v98, v195, v198, v98
.LBB7_290:                              ;   in Loop: Header=BB7_62 Depth=1
	s_wait_alu 0xfffe
	s_or_b32 exec_lo, exec_lo, s1
	v_and_b32_e32 v198, 0xff, v193
	s_mov_b32 s0, 0
	s_mov_b32 s1, exec_lo
	s_delay_alu instid0(VALU_DEP_1)
	v_cmpx_lt_i16_e64 0x7f, v198
	s_wait_alu 0xfffe
	s_xor_b32 s1, exec_lo, s1
	s_cbranch_execnz .LBB7_1313
; %bb.291:                              ;   in Loop: Header=BB7_62 Depth=1
	s_wait_alu 0xfffe
	s_or_saveexec_b32 s1, s1
	v_mov_b32_e32 v195, 0x7f800001
	s_wait_alu 0xfffe
	s_xor_b32 exec_lo, exec_lo, s1
	s_cbranch_execnz .LBB7_1316
.LBB7_292:                              ;   in Loop: Header=BB7_62 Depth=1
	s_or_b32 exec_lo, exec_lo, s1
	s_and_saveexec_b32 s1, s0
	s_cbranch_execz .LBB7_294
.LBB7_293:                              ;   in Loop: Header=BB7_62 Depth=1
	v_lshrrev_b16 v208, 3, v193
	s_delay_alu instid0(VALU_DEP_1) | instskip(NEXT) | instid1(VALU_DEP_1)
	v_and_b32_e32 v208, 15, v208
	v_cmp_eq_u16_e64 vcc_lo, 0, v208
	v_and_b32_e32 v195, 7, v193
	v_lshrrev_b16 v193, 7, v193
	s_delay_alu instid0(VALU_DEP_2) | instskip(NEXT) | instid1(VALU_DEP_2)
	v_clz_i32_u32_e32 v198, v195
	v_lshlrev_b32_e32 v193, 31, v193
	s_delay_alu instid0(VALU_DEP_2) | instskip(NEXT) | instid1(VALU_DEP_1)
	v_min_u32_e32 v198, 32, v198
	v_subrev_nc_u32_e32 v199, 28, v198
	v_sub_nc_u32_e32 v198, 29, v198
	s_wait_alu 0xfffd
	s_delay_alu instid0(VALU_DEP_1) | instskip(NEXT) | instid1(VALU_DEP_1)
	v_dual_cndmask_b32 v198, v208, v198 :: v_dual_lshlrev_b32 v199, v199, v195
	v_lshl_add_u32 v198, v198, 23, 0x3b800000
	s_delay_alu instid0(VALU_DEP_2) | instskip(NEXT) | instid1(VALU_DEP_1)
	v_and_b32_e32 v199, 7, v199
	v_cndmask_b32_e32 v195, v195, v199, vcc_lo
	s_delay_alu instid0(VALU_DEP_1) | instskip(NEXT) | instid1(VALU_DEP_1)
	v_lshlrev_b32_e32 v195, 20, v195
	v_or3_b32 v195, v193, v198, v195
.LBB7_294:                              ;   in Loop: Header=BB7_62 Depth=1
	s_wait_alu 0xfffe
	s_or_b32 exec_lo, exec_lo, s1
	s_mov_b32 s0, 0
	s_mov_b32 s1, exec_lo
	v_cmpx_lt_i16_e64 0x7f, v192
	s_wait_alu 0xfffe
	s_xor_b32 s1, exec_lo, s1
	s_cbranch_execnz .LBB7_1317
; %bb.295:                              ;   in Loop: Header=BB7_62 Depth=1
	s_wait_alu 0xfffe
	s_or_saveexec_b32 s1, s1
	v_mov_b32_e32 v193, 0x7f800001
	s_wait_alu 0xfffe
	s_xor_b32 exec_lo, exec_lo, s1
	s_cbranch_execnz .LBB7_1320
.LBB7_296:                              ;   in Loop: Header=BB7_62 Depth=1
	s_or_b32 exec_lo, exec_lo, s1
	s_and_saveexec_b32 s1, s0
	s_cbranch_execz .LBB7_298
.LBB7_297:                              ;   in Loop: Header=BB7_62 Depth=1
	v_lshrrev_b16 v208, 3, v192
	s_delay_alu instid0(VALU_DEP_1) | instskip(NEXT) | instid1(VALU_DEP_1)
	v_and_b32_e32 v208, 15, v208
	v_cmp_eq_u16_e64 vcc_lo, 0, v208
	v_and_b32_e32 v193, 7, v192
	v_lshrrev_b16 v192, 7, v192
	s_delay_alu instid0(VALU_DEP_2) | instskip(NEXT) | instid1(VALU_DEP_2)
	v_clz_i32_u32_e32 v198, v193
	v_lshlrev_b32_e32 v192, 31, v192
	s_delay_alu instid0(VALU_DEP_2) | instskip(NEXT) | instid1(VALU_DEP_1)
	v_min_u32_e32 v198, 32, v198
	v_subrev_nc_u32_e32 v199, 28, v198
	v_sub_nc_u32_e32 v198, 29, v198
	s_wait_alu 0xfffd
	s_delay_alu instid0(VALU_DEP_1) | instskip(NEXT) | instid1(VALU_DEP_1)
	v_dual_cndmask_b32 v198, v208, v198 :: v_dual_lshlrev_b32 v199, v199, v193
	v_lshl_add_u32 v198, v198, 23, 0x3b800000
	s_delay_alu instid0(VALU_DEP_2) | instskip(NEXT) | instid1(VALU_DEP_1)
	v_and_b32_e32 v199, 7, v199
	v_cndmask_b32_e32 v193, v193, v199, vcc_lo
	s_delay_alu instid0(VALU_DEP_1) | instskip(NEXT) | instid1(VALU_DEP_1)
	v_lshlrev_b32_e32 v193, 20, v193
	v_or3_b32 v193, v192, v198, v193
.LBB7_298:                              ;   in Loop: Header=BB7_62 Depth=1
	s_wait_alu 0xfffe
	s_or_b32 exec_lo, exec_lo, s1
	v_and_b32_e32 v198, 0xff, v99
	s_mov_b32 s0, 0
	s_mov_b32 s1, exec_lo
	s_delay_alu instid0(VALU_DEP_1)
	v_cmpx_lt_i16_e64 0x7f, v198
	s_wait_alu 0xfffe
	s_xor_b32 s1, exec_lo, s1
	s_cbranch_execnz .LBB7_1321
; %bb.299:                              ;   in Loop: Header=BB7_62 Depth=1
	s_wait_alu 0xfffe
	s_or_saveexec_b32 s1, s1
	v_mov_b32_e32 v192, 0x7f800001
	s_wait_alu 0xfffe
	s_xor_b32 exec_lo, exec_lo, s1
	s_cbranch_execnz .LBB7_1324
.LBB7_300:                              ;   in Loop: Header=BB7_62 Depth=1
	s_or_b32 exec_lo, exec_lo, s1
	s_and_saveexec_b32 s1, s0
	s_cbranch_execz .LBB7_302
.LBB7_301:                              ;   in Loop: Header=BB7_62 Depth=1
	v_and_b32_e32 v192, 7, v99
	v_lshrrev_b16 v208, 3, v99
	v_lshrrev_b16 v99, 7, v99
	s_delay_alu instid0(VALU_DEP_3) | instskip(NEXT) | instid1(VALU_DEP_3)
	v_clz_i32_u32_e32 v198, v192
	v_and_b32_e32 v208, 15, v208
	s_delay_alu instid0(VALU_DEP_3) | instskip(NEXT) | instid1(VALU_DEP_3)
	v_lshlrev_b32_e32 v99, 31, v99
	v_min_u32_e32 v198, 32, v198
	s_delay_alu instid0(VALU_DEP_3) | instskip(NEXT) | instid1(VALU_DEP_2)
	v_cmp_eq_u16_e64 vcc_lo, 0, v208
	v_subrev_nc_u32_e32 v199, 28, v198
	v_sub_nc_u32_e32 v198, 29, v198
	s_wait_alu 0xfffd
	s_delay_alu instid0(VALU_DEP_1) | instskip(NEXT) | instid1(VALU_DEP_1)
	v_dual_cndmask_b32 v198, v208, v198 :: v_dual_lshlrev_b32 v199, v199, v192
	v_and_b32_e32 v199, 7, v199
	s_delay_alu instid0(VALU_DEP_2) | instskip(NEXT) | instid1(VALU_DEP_2)
	v_lshl_add_u32 v198, v198, 23, 0x3b800000
	v_cndmask_b32_e32 v192, v192, v199, vcc_lo
	s_delay_alu instid0(VALU_DEP_1) | instskip(NEXT) | instid1(VALU_DEP_1)
	v_lshlrev_b32_e32 v192, 20, v192
	v_or3_b32 v192, v99, v198, v192
.LBB7_302:                              ;   in Loop: Header=BB7_62 Depth=1
	s_wait_alu 0xfffe
	s_or_b32 exec_lo, exec_lo, s1
	v_and_b32_e32 v198, 0xff, v129
	s_mov_b32 s0, 0
	s_mov_b32 s1, exec_lo
	s_delay_alu instid0(VALU_DEP_1)
	v_cmpx_lt_i16_e64 0x7f, v198
	s_wait_alu 0xfffe
	s_xor_b32 s1, exec_lo, s1
	s_cbranch_execnz .LBB7_1325
; %bb.303:                              ;   in Loop: Header=BB7_62 Depth=1
	s_wait_alu 0xfffe
	s_or_saveexec_b32 s1, s1
	v_mov_b32_e32 v99, 0x7f800001
	s_wait_alu 0xfffe
	s_xor_b32 exec_lo, exec_lo, s1
	s_cbranch_execnz .LBB7_1328
.LBB7_304:                              ;   in Loop: Header=BB7_62 Depth=1
	s_or_b32 exec_lo, exec_lo, s1
	s_and_saveexec_b32 s1, s0
	s_cbranch_execz .LBB7_306
.LBB7_305:                              ;   in Loop: Header=BB7_62 Depth=1
	v_lshrrev_b16 v208, 3, v129
	s_delay_alu instid0(VALU_DEP_1) | instskip(NEXT) | instid1(VALU_DEP_1)
	v_and_b32_e32 v208, 15, v208
	v_cmp_eq_u16_e64 vcc_lo, 0, v208
	v_and_b32_e32 v99, 7, v129
	v_lshrrev_b16 v129, 7, v129
	s_delay_alu instid0(VALU_DEP_2) | instskip(NEXT) | instid1(VALU_DEP_2)
	v_clz_i32_u32_e32 v198, v99
	v_lshlrev_b32_e32 v129, 31, v129
	s_delay_alu instid0(VALU_DEP_2) | instskip(NEXT) | instid1(VALU_DEP_1)
	v_min_u32_e32 v198, 32, v198
	v_subrev_nc_u32_e32 v199, 28, v198
	v_sub_nc_u32_e32 v198, 29, v198
	s_wait_alu 0xfffd
	s_delay_alu instid0(VALU_DEP_1) | instskip(NEXT) | instid1(VALU_DEP_1)
	v_dual_cndmask_b32 v198, v208, v198 :: v_dual_lshlrev_b32 v199, v199, v99
	v_lshl_add_u32 v198, v198, 23, 0x3b800000
	s_delay_alu instid0(VALU_DEP_2) | instskip(NEXT) | instid1(VALU_DEP_1)
	v_and_b32_e32 v199, 7, v199
	v_cndmask_b32_e32 v99, v99, v199, vcc_lo
	s_delay_alu instid0(VALU_DEP_1) | instskip(NEXT) | instid1(VALU_DEP_1)
	v_lshlrev_b32_e32 v99, 20, v99
	v_or3_b32 v99, v129, v198, v99
.LBB7_306:                              ;   in Loop: Header=BB7_62 Depth=1
	s_wait_alu 0xfffe
	s_or_b32 exec_lo, exec_lo, s1
	v_and_b32_e32 v198, 0xff, v119
	s_mov_b32 s0, 0
	s_mov_b32 s1, exec_lo
	s_delay_alu instid0(VALU_DEP_1)
	v_cmpx_lt_i16_e64 0x7f, v198
	s_wait_alu 0xfffe
	s_xor_b32 s1, exec_lo, s1
	s_cbranch_execnz .LBB7_1329
; %bb.307:                              ;   in Loop: Header=BB7_62 Depth=1
	s_wait_alu 0xfffe
	s_or_saveexec_b32 s1, s1
	v_mov_b32_e32 v129, 0x7f800001
	s_wait_alu 0xfffe
	s_xor_b32 exec_lo, exec_lo, s1
	s_cbranch_execnz .LBB7_1332
.LBB7_308:                              ;   in Loop: Header=BB7_62 Depth=1
	s_or_b32 exec_lo, exec_lo, s1
	s_and_saveexec_b32 s1, s0
	s_cbranch_execz .LBB7_310
.LBB7_309:                              ;   in Loop: Header=BB7_62 Depth=1
	v_lshrrev_b16 v208, 3, v119
	s_delay_alu instid0(VALU_DEP_1) | instskip(NEXT) | instid1(VALU_DEP_1)
	v_and_b32_e32 v208, 15, v208
	v_cmp_eq_u16_e64 vcc_lo, 0, v208
	v_and_b32_e32 v129, 7, v119
	v_lshrrev_b16 v119, 7, v119
	s_delay_alu instid0(VALU_DEP_2) | instskip(NEXT) | instid1(VALU_DEP_2)
	v_clz_i32_u32_e32 v198, v129
	v_lshlrev_b32_e32 v119, 31, v119
	s_delay_alu instid0(VALU_DEP_2) | instskip(NEXT) | instid1(VALU_DEP_1)
	v_min_u32_e32 v198, 32, v198
	v_subrev_nc_u32_e32 v199, 28, v198
	v_sub_nc_u32_e32 v198, 29, v198
	s_wait_alu 0xfffd
	s_delay_alu instid0(VALU_DEP_1) | instskip(NEXT) | instid1(VALU_DEP_1)
	v_dual_cndmask_b32 v198, v208, v198 :: v_dual_lshlrev_b32 v199, v199, v129
	v_lshl_add_u32 v198, v198, 23, 0x3b800000
	s_delay_alu instid0(VALU_DEP_2) | instskip(NEXT) | instid1(VALU_DEP_1)
	v_and_b32_e32 v199, 7, v199
	v_cndmask_b32_e32 v129, v129, v199, vcc_lo
	s_delay_alu instid0(VALU_DEP_1) | instskip(NEXT) | instid1(VALU_DEP_1)
	v_lshlrev_b32_e32 v129, 20, v129
	v_or3_b32 v129, v119, v198, v129
.LBB7_310:                              ;   in Loop: Header=BB7_62 Depth=1
	s_wait_alu 0xfffe
	s_or_b32 exec_lo, exec_lo, s1
	s_mov_b32 s0, 0
	s_mov_b32 s1, exec_lo
	v_cmpx_lt_i16_e32 0x7f, v118
	s_wait_alu 0xfffe
	s_xor_b32 s1, exec_lo, s1
	s_cbranch_execnz .LBB7_1333
; %bb.311:                              ;   in Loop: Header=BB7_62 Depth=1
	s_wait_alu 0xfffe
	s_or_saveexec_b32 s1, s1
	v_mov_b32_e32 v119, 0x7f800001
	s_wait_alu 0xfffe
	s_xor_b32 exec_lo, exec_lo, s1
	s_cbranch_execnz .LBB7_1336
.LBB7_312:                              ;   in Loop: Header=BB7_62 Depth=1
	s_or_b32 exec_lo, exec_lo, s1
	s_and_saveexec_b32 s1, s0
	s_cbranch_execz .LBB7_314
.LBB7_313:                              ;   in Loop: Header=BB7_62 Depth=1
	v_and_b32_e32 v119, 7, v118
	v_lshrrev_b16 v208, 3, v118
	v_lshrrev_b16 v118, 7, v118
	s_delay_alu instid0(VALU_DEP_3) | instskip(NEXT) | instid1(VALU_DEP_3)
	v_clz_i32_u32_e32 v198, v119
	v_and_b32_e32 v208, 15, v208
	s_delay_alu instid0(VALU_DEP_3) | instskip(NEXT) | instid1(VALU_DEP_3)
	v_lshlrev_b32_e32 v118, 31, v118
	v_min_u32_e32 v198, 32, v198
	s_delay_alu instid0(VALU_DEP_3) | instskip(NEXT) | instid1(VALU_DEP_2)
	v_cmp_eq_u16_e64 vcc_lo, 0, v208
	v_subrev_nc_u32_e32 v199, 28, v198
	v_sub_nc_u32_e32 v198, 29, v198
	s_wait_alu 0xfffd
	s_delay_alu instid0(VALU_DEP_1) | instskip(NEXT) | instid1(VALU_DEP_1)
	v_dual_cndmask_b32 v198, v208, v198 :: v_dual_lshlrev_b32 v199, v199, v119
	v_and_b32_e32 v199, 7, v199
	s_delay_alu instid0(VALU_DEP_2) | instskip(NEXT) | instid1(VALU_DEP_2)
	v_lshl_add_u32 v198, v198, 23, 0x3b800000
	v_cndmask_b32_e32 v119, v119, v199, vcc_lo
	s_delay_alu instid0(VALU_DEP_1) | instskip(NEXT) | instid1(VALU_DEP_1)
	v_lshlrev_b32_e32 v119, 20, v119
	v_or3_b32 v119, v118, v198, v119
.LBB7_314:                              ;   in Loop: Header=BB7_62 Depth=1
	s_wait_alu 0xfffe
	s_or_b32 exec_lo, exec_lo, s1
	v_cvt_pk_rtz_f16_f32_e32 v208, v117, v96
	v_add_nc_u32_e32 v96, 48, v103
	v_cvt_pk_rtz_f16_f32_e32 v210, v131, v97
	v_cvt_pk_rtz_f16_f32_e32 v211, v194, v196
	v_cvt_pk_rtz_f16_f32_e32 v196, v197, v98
	v_cvt_pk_rtz_f16_f32_e32 v209, v128, v130
	v_ashrrev_i32_e32 v97, 31, v96
	v_cvt_pk_rtz_f16_f32_e32 v198, v192, v99
	v_cvt_pk_rtz_f16_f32_e32 v197, v195, v193
	;; [unrolled: 1-line block ×3, first 2 shown]
	s_clause 0x1
	scratch_store_b128 off, v[208:211], s33 offset:64
	scratch_store_b128 off, v[196:199], s33 offset:80
	v_lshrrev_b32_e32 v97, 28, v97
	s_mov_b32 s0, 0
	s_mov_b32 s1, exec_lo
	s_delay_alu instid0(VALU_DEP_1) | instskip(NEXT) | instid1(VALU_DEP_1)
	v_add_nc_u32_e32 v97, v96, v97
	v_lshrrev_b32_e32 v98, 4, v97
	v_and_b32_e32 v97, -16, v97
	s_delay_alu instid0(VALU_DEP_2) | instskip(NEXT) | instid1(VALU_DEP_2)
	v_add_nc_u32_e32 v98, v98, v114
	v_sub_nc_u32_e32 v96, v96, v97
	s_delay_alu instid0(VALU_DEP_2) | instskip(NEXT) | instid1(VALU_DEP_1)
	v_xor_b32_e32 v98, v98, v115
	v_sub_nc_u32_e32 v98, v98, v112
	s_delay_alu instid0(VALU_DEP_1) | instskip(NEXT) | instid1(VALU_DEP_1)
	v_lshlrev_b32_e32 v97, 4, v98
	v_add3_u32 v96, v96, v116, v97
	s_delay_alu instid0(VALU_DEP_1) | instskip(SKIP_2) | instid1(VALU_DEP_2)
	v_ashrrev_i32_e32 v97, 31, v96
	v_add_co_u32 v96, vcc_lo, v100, v96
	s_wait_alu 0xfffd
	v_add_co_ci_u32_e64 v97, null, v101, v97, vcc_lo
	flat_load_b128 v[96:99], v[96:97]
	s_wait_loadcnt_dscnt 0x0
	v_and_b32_e32 v118, 0xff, v96
	s_delay_alu instid0(VALU_DEP_1)
	v_cmpx_lt_i16_e32 0x7f, v118
	s_wait_alu 0xfffe
	s_xor_b32 s1, exec_lo, s1
	s_cbranch_execnz .LBB7_1337
; %bb.315:                              ;   in Loop: Header=BB7_62 Depth=1
	s_wait_alu 0xfffe
	s_or_saveexec_b32 s1, s1
	v_mov_b32_e32 v117, 0x7f800001
	s_wait_alu 0xfffe
	s_xor_b32 exec_lo, exec_lo, s1
	s_cbranch_execnz .LBB7_1340
.LBB7_316:                              ;   in Loop: Header=BB7_62 Depth=1
	s_or_b32 exec_lo, exec_lo, s1
	s_and_saveexec_b32 s1, s0
	s_cbranch_execz .LBB7_318
.LBB7_317:                              ;   in Loop: Header=BB7_62 Depth=1
	v_lshrrev_b16 v128, 3, v96
	v_lshrrev_b16 v129, 7, v96
	s_delay_alu instid0(VALU_DEP_2) | instskip(NEXT) | instid1(VALU_DEP_1)
	v_and_b32_e32 v128, 15, v128
	v_cmp_eq_u16_e64 vcc_lo, 0, v128
	v_and_b32_e32 v117, 7, v96
	s_delay_alu instid0(VALU_DEP_1) | instskip(NEXT) | instid1(VALU_DEP_1)
	v_clz_i32_u32_e32 v118, v117
	v_min_u32_e32 v118, 32, v118
	s_delay_alu instid0(VALU_DEP_1) | instskip(SKIP_2) | instid1(VALU_DEP_1)
	v_subrev_nc_u32_e32 v119, 28, v118
	v_sub_nc_u32_e32 v118, 29, v118
	s_wait_alu 0xfffd
	v_dual_cndmask_b32 v118, v128, v118 :: v_dual_lshlrev_b32 v119, v119, v117
	s_delay_alu instid0(VALU_DEP_1) | instskip(NEXT) | instid1(VALU_DEP_2)
	v_lshl_add_u32 v118, v118, 23, 0x3b800000
	v_and_b32_e32 v119, 7, v119
	s_delay_alu instid0(VALU_DEP_1) | instskip(SKIP_1) | instid1(VALU_DEP_2)
	v_cndmask_b32_e32 v117, v117, v119, vcc_lo
	v_lshlrev_b32_e32 v119, 31, v129
	v_lshlrev_b32_e32 v117, 20, v117
	s_delay_alu instid0(VALU_DEP_1)
	v_or3_b32 v117, v119, v118, v117
.LBB7_318:                              ;   in Loop: Header=BB7_62 Depth=1
	s_wait_alu 0xfffe
	s_or_b32 exec_lo, exec_lo, s1
	v_lshrrev_b32_e32 v128, 8, v96
	v_lshrrev_b32_e32 v118, 24, v99
	;; [unrolled: 1-line block ×12, first 2 shown]
	v_and_b32_e32 v198, 0xff, v128
	s_mov_b32 s0, 0
	s_mov_b32 s1, exec_lo
	s_delay_alu instid0(VALU_DEP_1)
	v_cmpx_lt_i16_e64 0x7f, v198
	s_wait_alu 0xfffe
	s_xor_b32 s1, exec_lo, s1
	s_cbranch_execnz .LBB7_1341
; %bb.319:                              ;   in Loop: Header=BB7_62 Depth=1
	s_wait_alu 0xfffe
	s_or_saveexec_b32 s1, s1
	v_mov_b32_e32 v96, 0x7f800001
	s_wait_alu 0xfffe
	s_xor_b32 exec_lo, exec_lo, s1
	s_cbranch_execnz .LBB7_1344
.LBB7_320:                              ;   in Loop: Header=BB7_62 Depth=1
	s_or_b32 exec_lo, exec_lo, s1
	s_and_saveexec_b32 s1, s0
	s_cbranch_execz .LBB7_322
.LBB7_321:                              ;   in Loop: Header=BB7_62 Depth=1
	v_and_b32_e32 v96, 7, v128
	v_lshrrev_b16 v208, 3, v128
	v_lshrrev_b16 v128, 7, v128
	s_delay_alu instid0(VALU_DEP_3) | instskip(NEXT) | instid1(VALU_DEP_3)
	v_clz_i32_u32_e32 v198, v96
	v_and_b32_e32 v208, 15, v208
	s_delay_alu instid0(VALU_DEP_3) | instskip(NEXT) | instid1(VALU_DEP_3)
	v_lshlrev_b32_e32 v128, 31, v128
	v_min_u32_e32 v198, 32, v198
	s_delay_alu instid0(VALU_DEP_3) | instskip(NEXT) | instid1(VALU_DEP_2)
	v_cmp_eq_u16_e64 vcc_lo, 0, v208
	v_subrev_nc_u32_e32 v199, 28, v198
	v_sub_nc_u32_e32 v198, 29, v198
	s_wait_alu 0xfffd
	s_delay_alu instid0(VALU_DEP_1) | instskip(NEXT) | instid1(VALU_DEP_1)
	v_dual_cndmask_b32 v198, v208, v198 :: v_dual_lshlrev_b32 v199, v199, v96
	v_and_b32_e32 v199, 7, v199
	s_delay_alu instid0(VALU_DEP_2) | instskip(NEXT) | instid1(VALU_DEP_2)
	v_lshl_add_u32 v198, v198, 23, 0x3b800000
	v_cndmask_b32_e32 v96, v96, v199, vcc_lo
	s_delay_alu instid0(VALU_DEP_1) | instskip(NEXT) | instid1(VALU_DEP_1)
	v_lshlrev_b32_e32 v96, 20, v96
	v_or3_b32 v96, v128, v198, v96
.LBB7_322:                              ;   in Loop: Header=BB7_62 Depth=1
	s_wait_alu 0xfffe
	s_or_b32 exec_lo, exec_lo, s1
	v_and_b32_e32 v198, 0xff, v130
	s_mov_b32 s0, 0
	s_mov_b32 s1, exec_lo
	s_delay_alu instid0(VALU_DEP_1)
	v_cmpx_lt_i16_e64 0x7f, v198
	s_wait_alu 0xfffe
	s_xor_b32 s1, exec_lo, s1
	s_cbranch_execnz .LBB7_1345
; %bb.323:                              ;   in Loop: Header=BB7_62 Depth=1
	s_wait_alu 0xfffe
	s_or_saveexec_b32 s1, s1
	v_mov_b32_e32 v128, 0x7f800001
	s_wait_alu 0xfffe
	s_xor_b32 exec_lo, exec_lo, s1
	s_cbranch_execnz .LBB7_1348
.LBB7_324:                              ;   in Loop: Header=BB7_62 Depth=1
	s_or_b32 exec_lo, exec_lo, s1
	s_and_saveexec_b32 s1, s0
	s_cbranch_execz .LBB7_326
.LBB7_325:                              ;   in Loop: Header=BB7_62 Depth=1
	v_and_b32_e32 v128, 7, v130
	v_lshrrev_b16 v208, 3, v130
	v_lshrrev_b16 v130, 7, v130
	s_delay_alu instid0(VALU_DEP_3) | instskip(NEXT) | instid1(VALU_DEP_3)
	v_clz_i32_u32_e32 v198, v128
	v_and_b32_e32 v208, 15, v208
	s_delay_alu instid0(VALU_DEP_3) | instskip(NEXT) | instid1(VALU_DEP_3)
	v_lshlrev_b32_e32 v130, 31, v130
	v_min_u32_e32 v198, 32, v198
	s_delay_alu instid0(VALU_DEP_3) | instskip(NEXT) | instid1(VALU_DEP_2)
	v_cmp_eq_u16_e64 vcc_lo, 0, v208
	v_subrev_nc_u32_e32 v199, 28, v198
	v_sub_nc_u32_e32 v198, 29, v198
	s_wait_alu 0xfffd
	s_delay_alu instid0(VALU_DEP_1) | instskip(NEXT) | instid1(VALU_DEP_1)
	v_dual_cndmask_b32 v198, v208, v198 :: v_dual_lshlrev_b32 v199, v199, v128
	v_and_b32_e32 v199, 7, v199
	s_delay_alu instid0(VALU_DEP_2) | instskip(NEXT) | instid1(VALU_DEP_2)
	v_lshl_add_u32 v198, v198, 23, 0x3b800000
	v_cndmask_b32_e32 v128, v128, v199, vcc_lo
	s_delay_alu instid0(VALU_DEP_1) | instskip(NEXT) | instid1(VALU_DEP_1)
	v_lshlrev_b32_e32 v128, 20, v128
	v_or3_b32 v128, v130, v198, v128
.LBB7_326:                              ;   in Loop: Header=BB7_62 Depth=1
	s_wait_alu 0xfffe
	s_or_b32 exec_lo, exec_lo, s1
	s_mov_b32 s0, 0
	s_mov_b32 s1, exec_lo
	v_cmpx_lt_i16_e64 0x7f, v131
	s_wait_alu 0xfffe
	s_xor_b32 s1, exec_lo, s1
	s_cbranch_execnz .LBB7_1349
; %bb.327:                              ;   in Loop: Header=BB7_62 Depth=1
	s_wait_alu 0xfffe
	s_or_saveexec_b32 s1, s1
	v_mov_b32_e32 v130, 0x7f800001
	s_wait_alu 0xfffe
	s_xor_b32 exec_lo, exec_lo, s1
	s_cbranch_execnz .LBB7_1352
.LBB7_328:                              ;   in Loop: Header=BB7_62 Depth=1
	s_or_b32 exec_lo, exec_lo, s1
	s_and_saveexec_b32 s1, s0
	s_cbranch_execz .LBB7_330
.LBB7_329:                              ;   in Loop: Header=BB7_62 Depth=1
	v_and_b32_e32 v130, 7, v131
	v_lshrrev_b16 v208, 3, v131
	v_lshrrev_b16 v131, 7, v131
	s_delay_alu instid0(VALU_DEP_3) | instskip(NEXT) | instid1(VALU_DEP_3)
	v_clz_i32_u32_e32 v198, v130
	v_and_b32_e32 v208, 15, v208
	s_delay_alu instid0(VALU_DEP_3) | instskip(NEXT) | instid1(VALU_DEP_3)
	v_lshlrev_b32_e32 v131, 31, v131
	v_min_u32_e32 v198, 32, v198
	s_delay_alu instid0(VALU_DEP_3) | instskip(NEXT) | instid1(VALU_DEP_2)
	v_cmp_eq_u16_e64 vcc_lo, 0, v208
	v_subrev_nc_u32_e32 v199, 28, v198
	v_sub_nc_u32_e32 v198, 29, v198
	s_delay_alu instid0(VALU_DEP_2) | instskip(SKIP_1) | instid1(VALU_DEP_1)
	v_lshlrev_b32_e32 v199, v199, v130
	s_wait_alu 0xfffd
	v_dual_cndmask_b32 v198, v208, v198 :: v_dual_and_b32 v199, 7, v199
	s_delay_alu instid0(VALU_DEP_1) | instskip(NEXT) | instid1(VALU_DEP_2)
	v_lshl_add_u32 v198, v198, 23, 0x3b800000
	v_cndmask_b32_e32 v130, v130, v199, vcc_lo
	s_delay_alu instid0(VALU_DEP_1) | instskip(NEXT) | instid1(VALU_DEP_1)
	v_lshlrev_b32_e32 v130, 20, v130
	v_or3_b32 v130, v131, v198, v130
.LBB7_330:                              ;   in Loop: Header=BB7_62 Depth=1
	s_wait_alu 0xfffe
	s_or_b32 exec_lo, exec_lo, s1
	v_and_b32_e32 v198, 0xff, v97
	s_mov_b32 s0, 0
	s_mov_b32 s1, exec_lo
	s_delay_alu instid0(VALU_DEP_1)
	v_cmpx_lt_i16_e64 0x7f, v198
	s_wait_alu 0xfffe
	s_xor_b32 s1, exec_lo, s1
	s_cbranch_execnz .LBB7_1353
; %bb.331:                              ;   in Loop: Header=BB7_62 Depth=1
	s_wait_alu 0xfffe
	s_or_saveexec_b32 s1, s1
	v_mov_b32_e32 v131, 0x7f800001
	s_wait_alu 0xfffe
	s_xor_b32 exec_lo, exec_lo, s1
	s_cbranch_execnz .LBB7_1356
.LBB7_332:                              ;   in Loop: Header=BB7_62 Depth=1
	s_or_b32 exec_lo, exec_lo, s1
	s_and_saveexec_b32 s1, s0
	s_cbranch_execz .LBB7_334
.LBB7_333:                              ;   in Loop: Header=BB7_62 Depth=1
	v_lshrrev_b16 v208, 3, v97
	s_delay_alu instid0(VALU_DEP_1) | instskip(NEXT) | instid1(VALU_DEP_1)
	v_and_b32_e32 v208, 15, v208
	v_cmp_eq_u16_e64 vcc_lo, 0, v208
	v_and_b32_e32 v131, 7, v97
	v_lshrrev_b16 v97, 7, v97
	s_delay_alu instid0(VALU_DEP_2) | instskip(NEXT) | instid1(VALU_DEP_2)
	v_clz_i32_u32_e32 v198, v131
	v_lshlrev_b32_e32 v97, 31, v97
	s_delay_alu instid0(VALU_DEP_2) | instskip(NEXT) | instid1(VALU_DEP_1)
	v_min_u32_e32 v198, 32, v198
	v_subrev_nc_u32_e32 v199, 28, v198
	v_sub_nc_u32_e32 v198, 29, v198
	s_wait_alu 0xfffd
	s_delay_alu instid0(VALU_DEP_1) | instskip(NEXT) | instid1(VALU_DEP_1)
	v_dual_cndmask_b32 v198, v208, v198 :: v_dual_lshlrev_b32 v199, v199, v131
	v_lshl_add_u32 v198, v198, 23, 0x3b800000
	s_delay_alu instid0(VALU_DEP_2) | instskip(NEXT) | instid1(VALU_DEP_1)
	v_and_b32_e32 v199, 7, v199
	v_cndmask_b32_e32 v131, v131, v199, vcc_lo
	s_delay_alu instid0(VALU_DEP_1) | instskip(NEXT) | instid1(VALU_DEP_1)
	v_lshlrev_b32_e32 v131, 20, v131
	v_or3_b32 v131, v97, v198, v131
.LBB7_334:                              ;   in Loop: Header=BB7_62 Depth=1
	s_wait_alu 0xfffe
	s_or_b32 exec_lo, exec_lo, s1
	v_and_b32_e32 v198, 0xff, v194
	s_mov_b32 s0, 0
	s_mov_b32 s1, exec_lo
	s_delay_alu instid0(VALU_DEP_1)
	v_cmpx_lt_i16_e64 0x7f, v198
	s_wait_alu 0xfffe
	s_xor_b32 s1, exec_lo, s1
	s_cbranch_execnz .LBB7_1357
; %bb.335:                              ;   in Loop: Header=BB7_62 Depth=1
	s_wait_alu 0xfffe
	s_or_saveexec_b32 s1, s1
	v_mov_b32_e32 v97, 0x7f800001
	s_wait_alu 0xfffe
	s_xor_b32 exec_lo, exec_lo, s1
	s_cbranch_execnz .LBB7_1360
.LBB7_336:                              ;   in Loop: Header=BB7_62 Depth=1
	s_or_b32 exec_lo, exec_lo, s1
	s_and_saveexec_b32 s1, s0
	s_cbranch_execz .LBB7_338
.LBB7_337:                              ;   in Loop: Header=BB7_62 Depth=1
	v_and_b32_e32 v97, 7, v194
	v_lshrrev_b16 v208, 3, v194
	v_lshrrev_b16 v194, 7, v194
	s_delay_alu instid0(VALU_DEP_3) | instskip(NEXT) | instid1(VALU_DEP_3)
	v_clz_i32_u32_e32 v198, v97
	v_and_b32_e32 v208, 15, v208
	s_delay_alu instid0(VALU_DEP_3) | instskip(NEXT) | instid1(VALU_DEP_3)
	v_lshlrev_b32_e32 v194, 31, v194
	v_min_u32_e32 v198, 32, v198
	s_delay_alu instid0(VALU_DEP_3) | instskip(NEXT) | instid1(VALU_DEP_2)
	v_cmp_eq_u16_e64 vcc_lo, 0, v208
	v_subrev_nc_u32_e32 v199, 28, v198
	v_sub_nc_u32_e32 v198, 29, v198
	s_wait_alu 0xfffd
	s_delay_alu instid0(VALU_DEP_1) | instskip(NEXT) | instid1(VALU_DEP_1)
	v_dual_cndmask_b32 v198, v208, v198 :: v_dual_lshlrev_b32 v199, v199, v97
	v_and_b32_e32 v199, 7, v199
	s_delay_alu instid0(VALU_DEP_2) | instskip(NEXT) | instid1(VALU_DEP_2)
	v_lshl_add_u32 v198, v198, 23, 0x3b800000
	v_cndmask_b32_e32 v97, v97, v199, vcc_lo
	s_delay_alu instid0(VALU_DEP_1) | instskip(NEXT) | instid1(VALU_DEP_1)
	v_lshlrev_b32_e32 v97, 20, v97
	v_or3_b32 v97, v194, v198, v97
.LBB7_338:                              ;   in Loop: Header=BB7_62 Depth=1
	s_wait_alu 0xfffe
	s_or_b32 exec_lo, exec_lo, s1
	v_and_b32_e32 v198, 0xff, v196
	s_mov_b32 s0, 0
	s_mov_b32 s1, exec_lo
	s_delay_alu instid0(VALU_DEP_1)
	v_cmpx_lt_i16_e64 0x7f, v198
	s_wait_alu 0xfffe
	s_xor_b32 s1, exec_lo, s1
	s_cbranch_execnz .LBB7_1361
; %bb.339:                              ;   in Loop: Header=BB7_62 Depth=1
	s_wait_alu 0xfffe
	s_or_saveexec_b32 s1, s1
	v_mov_b32_e32 v194, 0x7f800001
	s_wait_alu 0xfffe
	s_xor_b32 exec_lo, exec_lo, s1
	s_cbranch_execnz .LBB7_1364
.LBB7_340:                              ;   in Loop: Header=BB7_62 Depth=1
	s_or_b32 exec_lo, exec_lo, s1
	s_and_saveexec_b32 s1, s0
	s_cbranch_execz .LBB7_342
.LBB7_341:                              ;   in Loop: Header=BB7_62 Depth=1
	v_and_b32_e32 v194, 7, v196
	v_lshrrev_b16 v208, 3, v196
	v_lshrrev_b16 v196, 7, v196
	s_delay_alu instid0(VALU_DEP_3) | instskip(NEXT) | instid1(VALU_DEP_3)
	v_clz_i32_u32_e32 v198, v194
	v_and_b32_e32 v208, 15, v208
	s_delay_alu instid0(VALU_DEP_3) | instskip(NEXT) | instid1(VALU_DEP_3)
	v_lshlrev_b32_e32 v196, 31, v196
	v_min_u32_e32 v198, 32, v198
	s_delay_alu instid0(VALU_DEP_3) | instskip(NEXT) | instid1(VALU_DEP_2)
	v_cmp_eq_u16_e64 vcc_lo, 0, v208
	v_subrev_nc_u32_e32 v199, 28, v198
	v_sub_nc_u32_e32 v198, 29, v198
	s_delay_alu instid0(VALU_DEP_2) | instskip(SKIP_1) | instid1(VALU_DEP_1)
	v_lshlrev_b32_e32 v199, v199, v194
	s_wait_alu 0xfffd
	v_dual_cndmask_b32 v198, v208, v198 :: v_dual_and_b32 v199, 7, v199
	s_delay_alu instid0(VALU_DEP_1) | instskip(NEXT) | instid1(VALU_DEP_2)
	v_lshl_add_u32 v198, v198, 23, 0x3b800000
	v_cndmask_b32_e32 v194, v194, v199, vcc_lo
	s_delay_alu instid0(VALU_DEP_1) | instskip(NEXT) | instid1(VALU_DEP_1)
	v_lshlrev_b32_e32 v194, 20, v194
	v_or3_b32 v194, v196, v198, v194
.LBB7_342:                              ;   in Loop: Header=BB7_62 Depth=1
	s_wait_alu 0xfffe
	s_or_b32 exec_lo, exec_lo, s1
	s_mov_b32 s0, 0
	s_mov_b32 s1, exec_lo
	v_cmpx_lt_i16_e64 0x7f, v197
	s_wait_alu 0xfffe
	s_xor_b32 s1, exec_lo, s1
	s_cbranch_execnz .LBB7_1365
; %bb.343:                              ;   in Loop: Header=BB7_62 Depth=1
	s_wait_alu 0xfffe
	s_or_saveexec_b32 s1, s1
	v_mov_b32_e32 v196, 0x7f800001
	s_wait_alu 0xfffe
	s_xor_b32 exec_lo, exec_lo, s1
	s_cbranch_execnz .LBB7_1368
.LBB7_344:                              ;   in Loop: Header=BB7_62 Depth=1
	s_or_b32 exec_lo, exec_lo, s1
	s_and_saveexec_b32 s1, s0
	s_cbranch_execz .LBB7_346
.LBB7_345:                              ;   in Loop: Header=BB7_62 Depth=1
	v_and_b32_e32 v196, 7, v197
	v_lshrrev_b16 v208, 3, v197
	v_lshrrev_b16 v197, 7, v197
	s_delay_alu instid0(VALU_DEP_3) | instskip(NEXT) | instid1(VALU_DEP_3)
	v_clz_i32_u32_e32 v198, v196
	v_and_b32_e32 v208, 15, v208
	s_delay_alu instid0(VALU_DEP_3) | instskip(NEXT) | instid1(VALU_DEP_3)
	v_lshlrev_b32_e32 v197, 31, v197
	v_min_u32_e32 v198, 32, v198
	s_delay_alu instid0(VALU_DEP_3) | instskip(NEXT) | instid1(VALU_DEP_2)
	v_cmp_eq_u16_e64 vcc_lo, 0, v208
	v_subrev_nc_u32_e32 v199, 28, v198
	v_sub_nc_u32_e32 v198, 29, v198
	s_wait_alu 0xfffd
	s_delay_alu instid0(VALU_DEP_1) | instskip(NEXT) | instid1(VALU_DEP_1)
	v_dual_cndmask_b32 v198, v208, v198 :: v_dual_lshlrev_b32 v199, v199, v196
	v_and_b32_e32 v199, 7, v199
	s_delay_alu instid0(VALU_DEP_2) | instskip(NEXT) | instid1(VALU_DEP_2)
	v_lshl_add_u32 v198, v198, 23, 0x3b800000
	v_cndmask_b32_e32 v196, v196, v199, vcc_lo
	s_delay_alu instid0(VALU_DEP_1) | instskip(NEXT) | instid1(VALU_DEP_1)
	v_lshlrev_b32_e32 v196, 20, v196
	v_or3_b32 v196, v197, v198, v196
.LBB7_346:                              ;   in Loop: Header=BB7_62 Depth=1
	s_wait_alu 0xfffe
	s_or_b32 exec_lo, exec_lo, s1
	v_and_b32_e32 v198, 0xff, v98
	s_mov_b32 s0, 0
	s_mov_b32 s1, exec_lo
	s_delay_alu instid0(VALU_DEP_1)
	v_cmpx_lt_i16_e64 0x7f, v198
	s_wait_alu 0xfffe
	s_xor_b32 s1, exec_lo, s1
	s_cbranch_execnz .LBB7_1369
; %bb.347:                              ;   in Loop: Header=BB7_62 Depth=1
	s_wait_alu 0xfffe
	s_or_saveexec_b32 s1, s1
	v_mov_b32_e32 v197, 0x7f800001
	s_wait_alu 0xfffe
	s_xor_b32 exec_lo, exec_lo, s1
	s_cbranch_execnz .LBB7_1372
.LBB7_348:                              ;   in Loop: Header=BB7_62 Depth=1
	s_or_b32 exec_lo, exec_lo, s1
	s_and_saveexec_b32 s1, s0
	s_cbranch_execz .LBB7_350
.LBB7_349:                              ;   in Loop: Header=BB7_62 Depth=1
	v_and_b32_e32 v197, 7, v98
	v_lshrrev_b16 v208, 3, v98
	v_lshrrev_b16 v98, 7, v98
	s_delay_alu instid0(VALU_DEP_3) | instskip(NEXT) | instid1(VALU_DEP_3)
	v_clz_i32_u32_e32 v198, v197
	v_and_b32_e32 v208, 15, v208
	s_delay_alu instid0(VALU_DEP_3) | instskip(NEXT) | instid1(VALU_DEP_3)
	v_lshlrev_b32_e32 v98, 31, v98
	v_min_u32_e32 v198, 32, v198
	s_delay_alu instid0(VALU_DEP_3) | instskip(NEXT) | instid1(VALU_DEP_2)
	v_cmp_eq_u16_e64 vcc_lo, 0, v208
	v_subrev_nc_u32_e32 v199, 28, v198
	v_sub_nc_u32_e32 v198, 29, v198
	s_wait_alu 0xfffd
	s_delay_alu instid0(VALU_DEP_1) | instskip(NEXT) | instid1(VALU_DEP_1)
	v_dual_cndmask_b32 v198, v208, v198 :: v_dual_lshlrev_b32 v199, v199, v197
	v_and_b32_e32 v199, 7, v199
	s_delay_alu instid0(VALU_DEP_2) | instskip(NEXT) | instid1(VALU_DEP_2)
	v_lshl_add_u32 v198, v198, 23, 0x3b800000
	v_cndmask_b32_e32 v197, v197, v199, vcc_lo
	s_delay_alu instid0(VALU_DEP_1) | instskip(NEXT) | instid1(VALU_DEP_1)
	v_lshlrev_b32_e32 v197, 20, v197
	v_or3_b32 v197, v98, v198, v197
.LBB7_350:                              ;   in Loop: Header=BB7_62 Depth=1
	s_wait_alu 0xfffe
	s_or_b32 exec_lo, exec_lo, s1
	v_and_b32_e32 v198, 0xff, v195
	s_mov_b32 s0, 0
	s_mov_b32 s1, exec_lo
	s_delay_alu instid0(VALU_DEP_1)
	v_cmpx_lt_i16_e64 0x7f, v198
	s_wait_alu 0xfffe
	s_xor_b32 s1, exec_lo, s1
	s_cbranch_execnz .LBB7_1373
; %bb.351:                              ;   in Loop: Header=BB7_62 Depth=1
	s_wait_alu 0xfffe
	s_or_saveexec_b32 s1, s1
	v_mov_b32_e32 v98, 0x7f800001
	s_wait_alu 0xfffe
	s_xor_b32 exec_lo, exec_lo, s1
	s_cbranch_execnz .LBB7_1376
.LBB7_352:                              ;   in Loop: Header=BB7_62 Depth=1
	s_or_b32 exec_lo, exec_lo, s1
	s_and_saveexec_b32 s1, s0
	s_cbranch_execz .LBB7_354
.LBB7_353:                              ;   in Loop: Header=BB7_62 Depth=1
	v_and_b32_e32 v98, 7, v195
	v_lshrrev_b16 v208, 3, v195
	v_lshrrev_b16 v195, 7, v195
	s_delay_alu instid0(VALU_DEP_3) | instskip(NEXT) | instid1(VALU_DEP_3)
	v_clz_i32_u32_e32 v198, v98
	v_and_b32_e32 v208, 15, v208
	s_delay_alu instid0(VALU_DEP_3) | instskip(NEXT) | instid1(VALU_DEP_3)
	v_lshlrev_b32_e32 v195, 31, v195
	v_min_u32_e32 v198, 32, v198
	s_delay_alu instid0(VALU_DEP_3) | instskip(NEXT) | instid1(VALU_DEP_2)
	v_cmp_eq_u16_e64 vcc_lo, 0, v208
	v_subrev_nc_u32_e32 v199, 28, v198
	v_sub_nc_u32_e32 v198, 29, v198
	s_delay_alu instid0(VALU_DEP_2) | instskip(SKIP_1) | instid1(VALU_DEP_1)
	v_lshlrev_b32_e32 v199, v199, v98
	s_wait_alu 0xfffd
	v_dual_cndmask_b32 v198, v208, v198 :: v_dual_and_b32 v199, 7, v199
	s_delay_alu instid0(VALU_DEP_1) | instskip(NEXT) | instid1(VALU_DEP_2)
	v_lshl_add_u32 v198, v198, 23, 0x3b800000
	v_cndmask_b32_e32 v98, v98, v199, vcc_lo
	s_delay_alu instid0(VALU_DEP_1) | instskip(NEXT) | instid1(VALU_DEP_1)
	v_lshlrev_b32_e32 v98, 20, v98
	v_or3_b32 v98, v195, v198, v98
.LBB7_354:                              ;   in Loop: Header=BB7_62 Depth=1
	s_wait_alu 0xfffe
	s_or_b32 exec_lo, exec_lo, s1
	v_and_b32_e32 v198, 0xff, v193
	s_mov_b32 s0, 0
	s_mov_b32 s1, exec_lo
	s_delay_alu instid0(VALU_DEP_1)
	v_cmpx_lt_i16_e64 0x7f, v198
	s_wait_alu 0xfffe
	s_xor_b32 s1, exec_lo, s1
	s_cbranch_execnz .LBB7_1377
; %bb.355:                              ;   in Loop: Header=BB7_62 Depth=1
	s_wait_alu 0xfffe
	s_or_saveexec_b32 s1, s1
	v_mov_b32_e32 v195, 0x7f800001
	s_wait_alu 0xfffe
	s_xor_b32 exec_lo, exec_lo, s1
	s_cbranch_execnz .LBB7_1380
.LBB7_356:                              ;   in Loop: Header=BB7_62 Depth=1
	s_or_b32 exec_lo, exec_lo, s1
	s_and_saveexec_b32 s1, s0
	s_cbranch_execz .LBB7_358
.LBB7_357:                              ;   in Loop: Header=BB7_62 Depth=1
	v_lshrrev_b16 v208, 3, v193
	s_delay_alu instid0(VALU_DEP_1) | instskip(NEXT) | instid1(VALU_DEP_1)
	v_and_b32_e32 v208, 15, v208
	v_cmp_eq_u16_e64 vcc_lo, 0, v208
	v_and_b32_e32 v195, 7, v193
	v_lshrrev_b16 v193, 7, v193
	s_delay_alu instid0(VALU_DEP_2) | instskip(NEXT) | instid1(VALU_DEP_2)
	v_clz_i32_u32_e32 v198, v195
	v_lshlrev_b32_e32 v193, 31, v193
	s_delay_alu instid0(VALU_DEP_2) | instskip(NEXT) | instid1(VALU_DEP_1)
	v_min_u32_e32 v198, 32, v198
	v_subrev_nc_u32_e32 v199, 28, v198
	v_sub_nc_u32_e32 v198, 29, v198
	s_wait_alu 0xfffd
	s_delay_alu instid0(VALU_DEP_1) | instskip(NEXT) | instid1(VALU_DEP_1)
	v_dual_cndmask_b32 v198, v208, v198 :: v_dual_lshlrev_b32 v199, v199, v195
	v_lshl_add_u32 v198, v198, 23, 0x3b800000
	s_delay_alu instid0(VALU_DEP_2) | instskip(NEXT) | instid1(VALU_DEP_1)
	v_and_b32_e32 v199, 7, v199
	v_cndmask_b32_e32 v195, v195, v199, vcc_lo
	s_delay_alu instid0(VALU_DEP_1) | instskip(NEXT) | instid1(VALU_DEP_1)
	v_lshlrev_b32_e32 v195, 20, v195
	v_or3_b32 v195, v193, v198, v195
.LBB7_358:                              ;   in Loop: Header=BB7_62 Depth=1
	s_wait_alu 0xfffe
	s_or_b32 exec_lo, exec_lo, s1
	s_mov_b32 s0, 0
	s_mov_b32 s1, exec_lo
	v_cmpx_lt_i16_e64 0x7f, v192
	s_wait_alu 0xfffe
	s_xor_b32 s1, exec_lo, s1
	s_cbranch_execnz .LBB7_1381
; %bb.359:                              ;   in Loop: Header=BB7_62 Depth=1
	s_wait_alu 0xfffe
	s_or_saveexec_b32 s1, s1
	v_mov_b32_e32 v193, 0x7f800001
	s_wait_alu 0xfffe
	s_xor_b32 exec_lo, exec_lo, s1
	s_cbranch_execnz .LBB7_1384
.LBB7_360:                              ;   in Loop: Header=BB7_62 Depth=1
	s_or_b32 exec_lo, exec_lo, s1
	s_and_saveexec_b32 s1, s0
	s_cbranch_execz .LBB7_362
.LBB7_361:                              ;   in Loop: Header=BB7_62 Depth=1
	v_lshrrev_b16 v208, 3, v192
	s_delay_alu instid0(VALU_DEP_1) | instskip(NEXT) | instid1(VALU_DEP_1)
	v_and_b32_e32 v208, 15, v208
	v_cmp_eq_u16_e64 vcc_lo, 0, v208
	v_and_b32_e32 v193, 7, v192
	v_lshrrev_b16 v192, 7, v192
	s_delay_alu instid0(VALU_DEP_2) | instskip(NEXT) | instid1(VALU_DEP_2)
	v_clz_i32_u32_e32 v198, v193
	v_lshlrev_b32_e32 v192, 31, v192
	s_delay_alu instid0(VALU_DEP_2) | instskip(NEXT) | instid1(VALU_DEP_1)
	v_min_u32_e32 v198, 32, v198
	v_subrev_nc_u32_e32 v199, 28, v198
	v_sub_nc_u32_e32 v198, 29, v198
	s_wait_alu 0xfffd
	s_delay_alu instid0(VALU_DEP_1) | instskip(NEXT) | instid1(VALU_DEP_1)
	v_dual_cndmask_b32 v198, v208, v198 :: v_dual_lshlrev_b32 v199, v199, v193
	v_lshl_add_u32 v198, v198, 23, 0x3b800000
	s_delay_alu instid0(VALU_DEP_2) | instskip(NEXT) | instid1(VALU_DEP_1)
	v_and_b32_e32 v199, 7, v199
	v_cndmask_b32_e32 v193, v193, v199, vcc_lo
	s_delay_alu instid0(VALU_DEP_1) | instskip(NEXT) | instid1(VALU_DEP_1)
	v_lshlrev_b32_e32 v193, 20, v193
	v_or3_b32 v193, v192, v198, v193
.LBB7_362:                              ;   in Loop: Header=BB7_62 Depth=1
	s_wait_alu 0xfffe
	s_or_b32 exec_lo, exec_lo, s1
	v_and_b32_e32 v198, 0xff, v99
	s_mov_b32 s0, 0
	s_mov_b32 s1, exec_lo
	s_delay_alu instid0(VALU_DEP_1)
	v_cmpx_lt_i16_e64 0x7f, v198
	s_wait_alu 0xfffe
	s_xor_b32 s1, exec_lo, s1
	s_cbranch_execnz .LBB7_1385
; %bb.363:                              ;   in Loop: Header=BB7_62 Depth=1
	s_wait_alu 0xfffe
	s_or_saveexec_b32 s1, s1
	v_mov_b32_e32 v192, 0x7f800001
	s_wait_alu 0xfffe
	s_xor_b32 exec_lo, exec_lo, s1
	s_cbranch_execnz .LBB7_1388
.LBB7_364:                              ;   in Loop: Header=BB7_62 Depth=1
	s_or_b32 exec_lo, exec_lo, s1
	s_and_saveexec_b32 s1, s0
	s_cbranch_execz .LBB7_366
.LBB7_365:                              ;   in Loop: Header=BB7_62 Depth=1
	v_and_b32_e32 v192, 7, v99
	v_lshrrev_b16 v208, 3, v99
	v_lshrrev_b16 v99, 7, v99
	s_delay_alu instid0(VALU_DEP_3) | instskip(NEXT) | instid1(VALU_DEP_3)
	v_clz_i32_u32_e32 v198, v192
	v_and_b32_e32 v208, 15, v208
	s_delay_alu instid0(VALU_DEP_3) | instskip(NEXT) | instid1(VALU_DEP_3)
	v_lshlrev_b32_e32 v99, 31, v99
	v_min_u32_e32 v198, 32, v198
	s_delay_alu instid0(VALU_DEP_3) | instskip(NEXT) | instid1(VALU_DEP_2)
	v_cmp_eq_u16_e64 vcc_lo, 0, v208
	v_subrev_nc_u32_e32 v199, 28, v198
	v_sub_nc_u32_e32 v198, 29, v198
	s_wait_alu 0xfffd
	s_delay_alu instid0(VALU_DEP_1) | instskip(NEXT) | instid1(VALU_DEP_1)
	v_dual_cndmask_b32 v198, v208, v198 :: v_dual_lshlrev_b32 v199, v199, v192
	v_and_b32_e32 v199, 7, v199
	s_delay_alu instid0(VALU_DEP_2) | instskip(NEXT) | instid1(VALU_DEP_2)
	v_lshl_add_u32 v198, v198, 23, 0x3b800000
	v_cndmask_b32_e32 v192, v192, v199, vcc_lo
	s_delay_alu instid0(VALU_DEP_1) | instskip(NEXT) | instid1(VALU_DEP_1)
	v_lshlrev_b32_e32 v192, 20, v192
	v_or3_b32 v192, v99, v198, v192
.LBB7_366:                              ;   in Loop: Header=BB7_62 Depth=1
	s_wait_alu 0xfffe
	s_or_b32 exec_lo, exec_lo, s1
	v_and_b32_e32 v198, 0xff, v129
	s_mov_b32 s0, 0
	s_mov_b32 s1, exec_lo
	s_delay_alu instid0(VALU_DEP_1)
	v_cmpx_lt_i16_e64 0x7f, v198
	s_wait_alu 0xfffe
	s_xor_b32 s1, exec_lo, s1
	s_cbranch_execnz .LBB7_1389
; %bb.367:                              ;   in Loop: Header=BB7_62 Depth=1
	s_wait_alu 0xfffe
	s_or_saveexec_b32 s1, s1
	v_mov_b32_e32 v99, 0x7f800001
	s_wait_alu 0xfffe
	s_xor_b32 exec_lo, exec_lo, s1
	s_cbranch_execnz .LBB7_1392
.LBB7_368:                              ;   in Loop: Header=BB7_62 Depth=1
	s_or_b32 exec_lo, exec_lo, s1
	s_and_saveexec_b32 s1, s0
	s_cbranch_execz .LBB7_370
.LBB7_369:                              ;   in Loop: Header=BB7_62 Depth=1
	v_lshrrev_b16 v208, 3, v129
	s_delay_alu instid0(VALU_DEP_1) | instskip(NEXT) | instid1(VALU_DEP_1)
	v_and_b32_e32 v208, 15, v208
	v_cmp_eq_u16_e64 vcc_lo, 0, v208
	v_and_b32_e32 v99, 7, v129
	v_lshrrev_b16 v129, 7, v129
	s_delay_alu instid0(VALU_DEP_2) | instskip(NEXT) | instid1(VALU_DEP_2)
	v_clz_i32_u32_e32 v198, v99
	v_lshlrev_b32_e32 v129, 31, v129
	s_delay_alu instid0(VALU_DEP_2) | instskip(NEXT) | instid1(VALU_DEP_1)
	v_min_u32_e32 v198, 32, v198
	v_subrev_nc_u32_e32 v199, 28, v198
	v_sub_nc_u32_e32 v198, 29, v198
	s_wait_alu 0xfffd
	s_delay_alu instid0(VALU_DEP_1) | instskip(NEXT) | instid1(VALU_DEP_1)
	v_dual_cndmask_b32 v198, v208, v198 :: v_dual_lshlrev_b32 v199, v199, v99
	v_lshl_add_u32 v198, v198, 23, 0x3b800000
	s_delay_alu instid0(VALU_DEP_2) | instskip(NEXT) | instid1(VALU_DEP_1)
	v_and_b32_e32 v199, 7, v199
	v_cndmask_b32_e32 v99, v99, v199, vcc_lo
	s_delay_alu instid0(VALU_DEP_1) | instskip(NEXT) | instid1(VALU_DEP_1)
	v_lshlrev_b32_e32 v99, 20, v99
	v_or3_b32 v99, v129, v198, v99
.LBB7_370:                              ;   in Loop: Header=BB7_62 Depth=1
	s_wait_alu 0xfffe
	s_or_b32 exec_lo, exec_lo, s1
	v_and_b32_e32 v198, 0xff, v119
	s_mov_b32 s0, 0
	s_mov_b32 s1, exec_lo
	s_delay_alu instid0(VALU_DEP_1)
	v_cmpx_lt_i16_e64 0x7f, v198
	s_wait_alu 0xfffe
	s_xor_b32 s1, exec_lo, s1
	s_cbranch_execnz .LBB7_1393
; %bb.371:                              ;   in Loop: Header=BB7_62 Depth=1
	s_wait_alu 0xfffe
	s_or_saveexec_b32 s1, s1
	v_mov_b32_e32 v129, 0x7f800001
	s_wait_alu 0xfffe
	s_xor_b32 exec_lo, exec_lo, s1
	s_cbranch_execnz .LBB7_1396
.LBB7_372:                              ;   in Loop: Header=BB7_62 Depth=1
	s_or_b32 exec_lo, exec_lo, s1
	s_and_saveexec_b32 s1, s0
	s_cbranch_execz .LBB7_374
.LBB7_373:                              ;   in Loop: Header=BB7_62 Depth=1
	v_lshrrev_b16 v208, 3, v119
	s_delay_alu instid0(VALU_DEP_1) | instskip(NEXT) | instid1(VALU_DEP_1)
	v_and_b32_e32 v208, 15, v208
	v_cmp_eq_u16_e64 vcc_lo, 0, v208
	v_and_b32_e32 v129, 7, v119
	v_lshrrev_b16 v119, 7, v119
	s_delay_alu instid0(VALU_DEP_2) | instskip(NEXT) | instid1(VALU_DEP_2)
	v_clz_i32_u32_e32 v198, v129
	v_lshlrev_b32_e32 v119, 31, v119
	s_delay_alu instid0(VALU_DEP_2) | instskip(NEXT) | instid1(VALU_DEP_1)
	v_min_u32_e32 v198, 32, v198
	v_subrev_nc_u32_e32 v199, 28, v198
	v_sub_nc_u32_e32 v198, 29, v198
	s_wait_alu 0xfffd
	s_delay_alu instid0(VALU_DEP_1) | instskip(NEXT) | instid1(VALU_DEP_1)
	v_dual_cndmask_b32 v198, v208, v198 :: v_dual_lshlrev_b32 v199, v199, v129
	v_lshl_add_u32 v198, v198, 23, 0x3b800000
	s_delay_alu instid0(VALU_DEP_2) | instskip(NEXT) | instid1(VALU_DEP_1)
	v_and_b32_e32 v199, 7, v199
	v_cndmask_b32_e32 v129, v129, v199, vcc_lo
	s_delay_alu instid0(VALU_DEP_1) | instskip(NEXT) | instid1(VALU_DEP_1)
	v_lshlrev_b32_e32 v129, 20, v129
	v_or3_b32 v129, v119, v198, v129
.LBB7_374:                              ;   in Loop: Header=BB7_62 Depth=1
	s_wait_alu 0xfffe
	s_or_b32 exec_lo, exec_lo, s1
	s_mov_b32 s0, 0
	s_mov_b32 s1, exec_lo
	v_cmpx_lt_i16_e32 0x7f, v118
	s_wait_alu 0xfffe
	s_xor_b32 s1, exec_lo, s1
	s_cbranch_execnz .LBB7_1397
; %bb.375:                              ;   in Loop: Header=BB7_62 Depth=1
	s_wait_alu 0xfffe
	s_or_saveexec_b32 s1, s1
	v_mov_b32_e32 v119, 0x7f800001
	s_wait_alu 0xfffe
	s_xor_b32 exec_lo, exec_lo, s1
	s_cbranch_execnz .LBB7_1400
.LBB7_376:                              ;   in Loop: Header=BB7_62 Depth=1
	s_or_b32 exec_lo, exec_lo, s1
	s_and_saveexec_b32 s1, s0
	s_cbranch_execz .LBB7_378
.LBB7_377:                              ;   in Loop: Header=BB7_62 Depth=1
	v_and_b32_e32 v119, 7, v118
	v_lshrrev_b16 v208, 3, v118
	v_lshrrev_b16 v118, 7, v118
	s_delay_alu instid0(VALU_DEP_3) | instskip(NEXT) | instid1(VALU_DEP_3)
	v_clz_i32_u32_e32 v198, v119
	v_and_b32_e32 v208, 15, v208
	s_delay_alu instid0(VALU_DEP_3) | instskip(NEXT) | instid1(VALU_DEP_3)
	v_lshlrev_b32_e32 v118, 31, v118
	v_min_u32_e32 v198, 32, v198
	s_delay_alu instid0(VALU_DEP_3) | instskip(NEXT) | instid1(VALU_DEP_2)
	v_cmp_eq_u16_e64 vcc_lo, 0, v208
	v_subrev_nc_u32_e32 v199, 28, v198
	v_sub_nc_u32_e32 v198, 29, v198
	s_wait_alu 0xfffd
	s_delay_alu instid0(VALU_DEP_1) | instskip(NEXT) | instid1(VALU_DEP_1)
	v_dual_cndmask_b32 v198, v208, v198 :: v_dual_lshlrev_b32 v199, v199, v119
	v_and_b32_e32 v199, 7, v199
	s_delay_alu instid0(VALU_DEP_2) | instskip(NEXT) | instid1(VALU_DEP_2)
	v_lshl_add_u32 v198, v198, 23, 0x3b800000
	v_cndmask_b32_e32 v119, v119, v199, vcc_lo
	s_delay_alu instid0(VALU_DEP_1) | instskip(NEXT) | instid1(VALU_DEP_1)
	v_lshlrev_b32_e32 v119, 20, v119
	v_or3_b32 v119, v118, v198, v119
.LBB7_378:                              ;   in Loop: Header=BB7_62 Depth=1
	s_wait_alu 0xfffe
	s_or_b32 exec_lo, exec_lo, s1
	v_cvt_pk_rtz_f16_f32_e32 v208, v117, v96
	v_add_nc_u32_e32 v96, 64, v103
	v_cvt_pk_rtz_f16_f32_e32 v210, v131, v97
	v_cvt_pk_rtz_f16_f32_e32 v211, v194, v196
	;; [unrolled: 1-line block ×4, first 2 shown]
	v_ashrrev_i32_e32 v97, 31, v96
	v_cvt_pk_rtz_f16_f32_e32 v198, v192, v99
	v_cvt_pk_rtz_f16_f32_e32 v197, v195, v193
	;; [unrolled: 1-line block ×3, first 2 shown]
	s_clause 0x1
	scratch_store_b128 off, v[208:211], s33 offset:96
	scratch_store_b128 off, v[196:199], s33 offset:112
	v_lshrrev_b32_e32 v97, 28, v97
	s_mov_b32 s0, 0
	s_mov_b32 s1, exec_lo
	s_delay_alu instid0(VALU_DEP_1) | instskip(NEXT) | instid1(VALU_DEP_1)
	v_add_nc_u32_e32 v97, v96, v97
	v_lshrrev_b32_e32 v98, 4, v97
	v_and_b32_e32 v97, -16, v97
	s_delay_alu instid0(VALU_DEP_2) | instskip(NEXT) | instid1(VALU_DEP_2)
	v_add_nc_u32_e32 v98, v98, v114
	v_sub_nc_u32_e32 v96, v96, v97
	s_delay_alu instid0(VALU_DEP_2) | instskip(NEXT) | instid1(VALU_DEP_1)
	v_xor_b32_e32 v98, v98, v115
	v_sub_nc_u32_e32 v98, v98, v112
	s_delay_alu instid0(VALU_DEP_1) | instskip(NEXT) | instid1(VALU_DEP_1)
	v_lshlrev_b32_e32 v97, 4, v98
	v_add3_u32 v96, v96, v116, v97
	s_delay_alu instid0(VALU_DEP_1) | instskip(SKIP_2) | instid1(VALU_DEP_2)
	v_ashrrev_i32_e32 v97, 31, v96
	v_add_co_u32 v96, vcc_lo, v100, v96
	s_wait_alu 0xfffd
	v_add_co_ci_u32_e64 v97, null, v101, v97, vcc_lo
	flat_load_b128 v[96:99], v[96:97]
	s_wait_loadcnt_dscnt 0x0
	v_and_b32_e32 v118, 0xff, v96
	s_delay_alu instid0(VALU_DEP_1)
	v_cmpx_lt_i16_e32 0x7f, v118
	s_wait_alu 0xfffe
	s_xor_b32 s1, exec_lo, s1
	s_cbranch_execnz .LBB7_1401
; %bb.379:                              ;   in Loop: Header=BB7_62 Depth=1
	s_wait_alu 0xfffe
	s_or_saveexec_b32 s1, s1
	v_mov_b32_e32 v117, 0x7f800001
	s_wait_alu 0xfffe
	s_xor_b32 exec_lo, exec_lo, s1
	s_cbranch_execnz .LBB7_1404
.LBB7_380:                              ;   in Loop: Header=BB7_62 Depth=1
	s_or_b32 exec_lo, exec_lo, s1
	s_and_saveexec_b32 s1, s0
	s_cbranch_execz .LBB7_382
.LBB7_381:                              ;   in Loop: Header=BB7_62 Depth=1
	v_lshrrev_b16 v128, 3, v96
	v_lshrrev_b16 v129, 7, v96
	s_delay_alu instid0(VALU_DEP_2) | instskip(NEXT) | instid1(VALU_DEP_1)
	v_and_b32_e32 v128, 15, v128
	v_cmp_eq_u16_e64 vcc_lo, 0, v128
	v_and_b32_e32 v117, 7, v96
	s_delay_alu instid0(VALU_DEP_1) | instskip(NEXT) | instid1(VALU_DEP_1)
	v_clz_i32_u32_e32 v118, v117
	v_min_u32_e32 v118, 32, v118
	s_delay_alu instid0(VALU_DEP_1) | instskip(SKIP_2) | instid1(VALU_DEP_1)
	v_subrev_nc_u32_e32 v119, 28, v118
	v_sub_nc_u32_e32 v118, 29, v118
	s_wait_alu 0xfffd
	v_dual_cndmask_b32 v118, v128, v118 :: v_dual_lshlrev_b32 v119, v119, v117
	s_delay_alu instid0(VALU_DEP_1) | instskip(NEXT) | instid1(VALU_DEP_2)
	v_lshl_add_u32 v118, v118, 23, 0x3b800000
	v_and_b32_e32 v119, 7, v119
	s_delay_alu instid0(VALU_DEP_1) | instskip(SKIP_1) | instid1(VALU_DEP_2)
	v_cndmask_b32_e32 v117, v117, v119, vcc_lo
	v_lshlrev_b32_e32 v119, 31, v129
	v_lshlrev_b32_e32 v117, 20, v117
	s_delay_alu instid0(VALU_DEP_1)
	v_or3_b32 v117, v119, v118, v117
.LBB7_382:                              ;   in Loop: Header=BB7_62 Depth=1
	s_wait_alu 0xfffe
	s_or_b32 exec_lo, exec_lo, s1
	v_lshrrev_b32_e32 v128, 8, v96
	v_lshrrev_b32_e32 v118, 24, v99
	;; [unrolled: 1-line block ×12, first 2 shown]
	v_and_b32_e32 v198, 0xff, v128
	s_mov_b32 s0, 0
	s_mov_b32 s1, exec_lo
	s_delay_alu instid0(VALU_DEP_1)
	v_cmpx_lt_i16_e64 0x7f, v198
	s_wait_alu 0xfffe
	s_xor_b32 s1, exec_lo, s1
	s_cbranch_execnz .LBB7_1405
; %bb.383:                              ;   in Loop: Header=BB7_62 Depth=1
	s_wait_alu 0xfffe
	s_or_saveexec_b32 s1, s1
	v_mov_b32_e32 v96, 0x7f800001
	s_wait_alu 0xfffe
	s_xor_b32 exec_lo, exec_lo, s1
	s_cbranch_execnz .LBB7_1408
.LBB7_384:                              ;   in Loop: Header=BB7_62 Depth=1
	s_or_b32 exec_lo, exec_lo, s1
	s_and_saveexec_b32 s1, s0
	s_cbranch_execz .LBB7_386
.LBB7_385:                              ;   in Loop: Header=BB7_62 Depth=1
	v_and_b32_e32 v96, 7, v128
	v_lshrrev_b16 v208, 3, v128
	v_lshrrev_b16 v128, 7, v128
	s_delay_alu instid0(VALU_DEP_3) | instskip(NEXT) | instid1(VALU_DEP_3)
	v_clz_i32_u32_e32 v198, v96
	v_and_b32_e32 v208, 15, v208
	s_delay_alu instid0(VALU_DEP_3) | instskip(NEXT) | instid1(VALU_DEP_3)
	v_lshlrev_b32_e32 v128, 31, v128
	v_min_u32_e32 v198, 32, v198
	s_delay_alu instid0(VALU_DEP_3) | instskip(NEXT) | instid1(VALU_DEP_2)
	v_cmp_eq_u16_e64 vcc_lo, 0, v208
	v_subrev_nc_u32_e32 v199, 28, v198
	v_sub_nc_u32_e32 v198, 29, v198
	s_wait_alu 0xfffd
	s_delay_alu instid0(VALU_DEP_1) | instskip(NEXT) | instid1(VALU_DEP_1)
	v_dual_cndmask_b32 v198, v208, v198 :: v_dual_lshlrev_b32 v199, v199, v96
	v_and_b32_e32 v199, 7, v199
	s_delay_alu instid0(VALU_DEP_2) | instskip(NEXT) | instid1(VALU_DEP_2)
	v_lshl_add_u32 v198, v198, 23, 0x3b800000
	v_cndmask_b32_e32 v96, v96, v199, vcc_lo
	s_delay_alu instid0(VALU_DEP_1) | instskip(NEXT) | instid1(VALU_DEP_1)
	v_lshlrev_b32_e32 v96, 20, v96
	v_or3_b32 v96, v128, v198, v96
.LBB7_386:                              ;   in Loop: Header=BB7_62 Depth=1
	s_wait_alu 0xfffe
	s_or_b32 exec_lo, exec_lo, s1
	v_and_b32_e32 v198, 0xff, v130
	s_mov_b32 s0, 0
	s_mov_b32 s1, exec_lo
	s_delay_alu instid0(VALU_DEP_1)
	v_cmpx_lt_i16_e64 0x7f, v198
	s_wait_alu 0xfffe
	s_xor_b32 s1, exec_lo, s1
	s_cbranch_execnz .LBB7_1409
; %bb.387:                              ;   in Loop: Header=BB7_62 Depth=1
	s_wait_alu 0xfffe
	s_or_saveexec_b32 s1, s1
	v_mov_b32_e32 v128, 0x7f800001
	s_wait_alu 0xfffe
	s_xor_b32 exec_lo, exec_lo, s1
	s_cbranch_execnz .LBB7_1412
.LBB7_388:                              ;   in Loop: Header=BB7_62 Depth=1
	s_or_b32 exec_lo, exec_lo, s1
	s_and_saveexec_b32 s1, s0
	s_cbranch_execz .LBB7_390
.LBB7_389:                              ;   in Loop: Header=BB7_62 Depth=1
	v_and_b32_e32 v128, 7, v130
	v_lshrrev_b16 v208, 3, v130
	v_lshrrev_b16 v130, 7, v130
	s_delay_alu instid0(VALU_DEP_3) | instskip(NEXT) | instid1(VALU_DEP_3)
	v_clz_i32_u32_e32 v198, v128
	v_and_b32_e32 v208, 15, v208
	s_delay_alu instid0(VALU_DEP_3) | instskip(NEXT) | instid1(VALU_DEP_3)
	v_lshlrev_b32_e32 v130, 31, v130
	v_min_u32_e32 v198, 32, v198
	s_delay_alu instid0(VALU_DEP_3) | instskip(NEXT) | instid1(VALU_DEP_2)
	v_cmp_eq_u16_e64 vcc_lo, 0, v208
	v_subrev_nc_u32_e32 v199, 28, v198
	v_sub_nc_u32_e32 v198, 29, v198
	s_wait_alu 0xfffd
	s_delay_alu instid0(VALU_DEP_1) | instskip(NEXT) | instid1(VALU_DEP_1)
	v_dual_cndmask_b32 v198, v208, v198 :: v_dual_lshlrev_b32 v199, v199, v128
	v_and_b32_e32 v199, 7, v199
	s_delay_alu instid0(VALU_DEP_2) | instskip(NEXT) | instid1(VALU_DEP_2)
	v_lshl_add_u32 v198, v198, 23, 0x3b800000
	v_cndmask_b32_e32 v128, v128, v199, vcc_lo
	s_delay_alu instid0(VALU_DEP_1) | instskip(NEXT) | instid1(VALU_DEP_1)
	v_lshlrev_b32_e32 v128, 20, v128
	v_or3_b32 v128, v130, v198, v128
.LBB7_390:                              ;   in Loop: Header=BB7_62 Depth=1
	s_wait_alu 0xfffe
	s_or_b32 exec_lo, exec_lo, s1
	s_mov_b32 s0, 0
	s_mov_b32 s1, exec_lo
	v_cmpx_lt_i16_e64 0x7f, v131
	s_wait_alu 0xfffe
	s_xor_b32 s1, exec_lo, s1
	s_cbranch_execnz .LBB7_1413
; %bb.391:                              ;   in Loop: Header=BB7_62 Depth=1
	s_wait_alu 0xfffe
	s_or_saveexec_b32 s1, s1
	v_mov_b32_e32 v130, 0x7f800001
	s_wait_alu 0xfffe
	s_xor_b32 exec_lo, exec_lo, s1
	s_cbranch_execnz .LBB7_1416
.LBB7_392:                              ;   in Loop: Header=BB7_62 Depth=1
	s_or_b32 exec_lo, exec_lo, s1
	s_and_saveexec_b32 s1, s0
	s_cbranch_execz .LBB7_394
.LBB7_393:                              ;   in Loop: Header=BB7_62 Depth=1
	v_and_b32_e32 v130, 7, v131
	v_lshrrev_b16 v208, 3, v131
	v_lshrrev_b16 v131, 7, v131
	s_delay_alu instid0(VALU_DEP_3) | instskip(NEXT) | instid1(VALU_DEP_3)
	v_clz_i32_u32_e32 v198, v130
	v_and_b32_e32 v208, 15, v208
	s_delay_alu instid0(VALU_DEP_3) | instskip(NEXT) | instid1(VALU_DEP_3)
	v_lshlrev_b32_e32 v131, 31, v131
	v_min_u32_e32 v198, 32, v198
	s_delay_alu instid0(VALU_DEP_3) | instskip(NEXT) | instid1(VALU_DEP_2)
	v_cmp_eq_u16_e64 vcc_lo, 0, v208
	v_subrev_nc_u32_e32 v199, 28, v198
	v_sub_nc_u32_e32 v198, 29, v198
	s_delay_alu instid0(VALU_DEP_2) | instskip(SKIP_1) | instid1(VALU_DEP_1)
	v_lshlrev_b32_e32 v199, v199, v130
	s_wait_alu 0xfffd
	v_dual_cndmask_b32 v198, v208, v198 :: v_dual_and_b32 v199, 7, v199
	s_delay_alu instid0(VALU_DEP_1) | instskip(NEXT) | instid1(VALU_DEP_2)
	v_lshl_add_u32 v198, v198, 23, 0x3b800000
	v_cndmask_b32_e32 v130, v130, v199, vcc_lo
	s_delay_alu instid0(VALU_DEP_1) | instskip(NEXT) | instid1(VALU_DEP_1)
	v_lshlrev_b32_e32 v130, 20, v130
	v_or3_b32 v130, v131, v198, v130
.LBB7_394:                              ;   in Loop: Header=BB7_62 Depth=1
	s_wait_alu 0xfffe
	s_or_b32 exec_lo, exec_lo, s1
	v_and_b32_e32 v198, 0xff, v97
	s_mov_b32 s0, 0
	s_mov_b32 s1, exec_lo
	s_delay_alu instid0(VALU_DEP_1)
	v_cmpx_lt_i16_e64 0x7f, v198
	s_wait_alu 0xfffe
	s_xor_b32 s1, exec_lo, s1
	s_cbranch_execnz .LBB7_1417
; %bb.395:                              ;   in Loop: Header=BB7_62 Depth=1
	s_wait_alu 0xfffe
	s_or_saveexec_b32 s1, s1
	v_mov_b32_e32 v131, 0x7f800001
	s_wait_alu 0xfffe
	s_xor_b32 exec_lo, exec_lo, s1
	s_cbranch_execnz .LBB7_1420
.LBB7_396:                              ;   in Loop: Header=BB7_62 Depth=1
	s_or_b32 exec_lo, exec_lo, s1
	s_and_saveexec_b32 s1, s0
	s_cbranch_execz .LBB7_398
.LBB7_397:                              ;   in Loop: Header=BB7_62 Depth=1
	v_lshrrev_b16 v208, 3, v97
	s_delay_alu instid0(VALU_DEP_1) | instskip(NEXT) | instid1(VALU_DEP_1)
	v_and_b32_e32 v208, 15, v208
	v_cmp_eq_u16_e64 vcc_lo, 0, v208
	v_and_b32_e32 v131, 7, v97
	v_lshrrev_b16 v97, 7, v97
	s_delay_alu instid0(VALU_DEP_2) | instskip(NEXT) | instid1(VALU_DEP_2)
	v_clz_i32_u32_e32 v198, v131
	v_lshlrev_b32_e32 v97, 31, v97
	s_delay_alu instid0(VALU_DEP_2) | instskip(NEXT) | instid1(VALU_DEP_1)
	v_min_u32_e32 v198, 32, v198
	v_subrev_nc_u32_e32 v199, 28, v198
	v_sub_nc_u32_e32 v198, 29, v198
	s_wait_alu 0xfffd
	s_delay_alu instid0(VALU_DEP_1) | instskip(NEXT) | instid1(VALU_DEP_1)
	v_dual_cndmask_b32 v198, v208, v198 :: v_dual_lshlrev_b32 v199, v199, v131
	v_lshl_add_u32 v198, v198, 23, 0x3b800000
	s_delay_alu instid0(VALU_DEP_2) | instskip(NEXT) | instid1(VALU_DEP_1)
	v_and_b32_e32 v199, 7, v199
	v_cndmask_b32_e32 v131, v131, v199, vcc_lo
	s_delay_alu instid0(VALU_DEP_1) | instskip(NEXT) | instid1(VALU_DEP_1)
	v_lshlrev_b32_e32 v131, 20, v131
	v_or3_b32 v131, v97, v198, v131
.LBB7_398:                              ;   in Loop: Header=BB7_62 Depth=1
	s_wait_alu 0xfffe
	s_or_b32 exec_lo, exec_lo, s1
	v_and_b32_e32 v198, 0xff, v194
	s_mov_b32 s0, 0
	s_mov_b32 s1, exec_lo
	s_delay_alu instid0(VALU_DEP_1)
	v_cmpx_lt_i16_e64 0x7f, v198
	s_wait_alu 0xfffe
	s_xor_b32 s1, exec_lo, s1
	s_cbranch_execnz .LBB7_1421
; %bb.399:                              ;   in Loop: Header=BB7_62 Depth=1
	s_wait_alu 0xfffe
	s_or_saveexec_b32 s1, s1
	v_mov_b32_e32 v97, 0x7f800001
	s_wait_alu 0xfffe
	s_xor_b32 exec_lo, exec_lo, s1
	s_cbranch_execnz .LBB7_1424
.LBB7_400:                              ;   in Loop: Header=BB7_62 Depth=1
	s_or_b32 exec_lo, exec_lo, s1
	s_and_saveexec_b32 s1, s0
	s_cbranch_execz .LBB7_402
.LBB7_401:                              ;   in Loop: Header=BB7_62 Depth=1
	v_and_b32_e32 v97, 7, v194
	v_lshrrev_b16 v208, 3, v194
	v_lshrrev_b16 v194, 7, v194
	s_delay_alu instid0(VALU_DEP_3) | instskip(NEXT) | instid1(VALU_DEP_3)
	v_clz_i32_u32_e32 v198, v97
	v_and_b32_e32 v208, 15, v208
	s_delay_alu instid0(VALU_DEP_3) | instskip(NEXT) | instid1(VALU_DEP_3)
	v_lshlrev_b32_e32 v194, 31, v194
	v_min_u32_e32 v198, 32, v198
	s_delay_alu instid0(VALU_DEP_3) | instskip(NEXT) | instid1(VALU_DEP_2)
	v_cmp_eq_u16_e64 vcc_lo, 0, v208
	v_subrev_nc_u32_e32 v199, 28, v198
	v_sub_nc_u32_e32 v198, 29, v198
	s_wait_alu 0xfffd
	s_delay_alu instid0(VALU_DEP_1) | instskip(NEXT) | instid1(VALU_DEP_1)
	v_dual_cndmask_b32 v198, v208, v198 :: v_dual_lshlrev_b32 v199, v199, v97
	v_and_b32_e32 v199, 7, v199
	s_delay_alu instid0(VALU_DEP_2) | instskip(NEXT) | instid1(VALU_DEP_2)
	v_lshl_add_u32 v198, v198, 23, 0x3b800000
	v_cndmask_b32_e32 v97, v97, v199, vcc_lo
	s_delay_alu instid0(VALU_DEP_1) | instskip(NEXT) | instid1(VALU_DEP_1)
	v_lshlrev_b32_e32 v97, 20, v97
	v_or3_b32 v97, v194, v198, v97
.LBB7_402:                              ;   in Loop: Header=BB7_62 Depth=1
	s_wait_alu 0xfffe
	s_or_b32 exec_lo, exec_lo, s1
	v_and_b32_e32 v198, 0xff, v196
	s_mov_b32 s0, 0
	s_mov_b32 s1, exec_lo
	s_delay_alu instid0(VALU_DEP_1)
	v_cmpx_lt_i16_e64 0x7f, v198
	s_wait_alu 0xfffe
	s_xor_b32 s1, exec_lo, s1
	s_cbranch_execnz .LBB7_1425
; %bb.403:                              ;   in Loop: Header=BB7_62 Depth=1
	s_wait_alu 0xfffe
	s_or_saveexec_b32 s1, s1
	v_mov_b32_e32 v194, 0x7f800001
	s_wait_alu 0xfffe
	s_xor_b32 exec_lo, exec_lo, s1
	s_cbranch_execnz .LBB7_1428
.LBB7_404:                              ;   in Loop: Header=BB7_62 Depth=1
	s_or_b32 exec_lo, exec_lo, s1
	s_and_saveexec_b32 s1, s0
	s_cbranch_execz .LBB7_406
.LBB7_405:                              ;   in Loop: Header=BB7_62 Depth=1
	v_and_b32_e32 v194, 7, v196
	v_lshrrev_b16 v208, 3, v196
	v_lshrrev_b16 v196, 7, v196
	s_delay_alu instid0(VALU_DEP_3) | instskip(NEXT) | instid1(VALU_DEP_3)
	v_clz_i32_u32_e32 v198, v194
	v_and_b32_e32 v208, 15, v208
	s_delay_alu instid0(VALU_DEP_3) | instskip(NEXT) | instid1(VALU_DEP_3)
	v_lshlrev_b32_e32 v196, 31, v196
	v_min_u32_e32 v198, 32, v198
	s_delay_alu instid0(VALU_DEP_3) | instskip(NEXT) | instid1(VALU_DEP_2)
	v_cmp_eq_u16_e64 vcc_lo, 0, v208
	v_subrev_nc_u32_e32 v199, 28, v198
	v_sub_nc_u32_e32 v198, 29, v198
	s_delay_alu instid0(VALU_DEP_2) | instskip(SKIP_1) | instid1(VALU_DEP_1)
	v_lshlrev_b32_e32 v199, v199, v194
	s_wait_alu 0xfffd
	v_dual_cndmask_b32 v198, v208, v198 :: v_dual_and_b32 v199, 7, v199
	s_delay_alu instid0(VALU_DEP_1) | instskip(NEXT) | instid1(VALU_DEP_2)
	v_lshl_add_u32 v198, v198, 23, 0x3b800000
	v_cndmask_b32_e32 v194, v194, v199, vcc_lo
	s_delay_alu instid0(VALU_DEP_1) | instskip(NEXT) | instid1(VALU_DEP_1)
	v_lshlrev_b32_e32 v194, 20, v194
	v_or3_b32 v194, v196, v198, v194
.LBB7_406:                              ;   in Loop: Header=BB7_62 Depth=1
	s_wait_alu 0xfffe
	s_or_b32 exec_lo, exec_lo, s1
	s_mov_b32 s0, 0
	s_mov_b32 s1, exec_lo
	v_cmpx_lt_i16_e64 0x7f, v197
	s_wait_alu 0xfffe
	s_xor_b32 s1, exec_lo, s1
	s_cbranch_execnz .LBB7_1429
; %bb.407:                              ;   in Loop: Header=BB7_62 Depth=1
	s_wait_alu 0xfffe
	s_or_saveexec_b32 s1, s1
	v_mov_b32_e32 v196, 0x7f800001
	s_wait_alu 0xfffe
	s_xor_b32 exec_lo, exec_lo, s1
	s_cbranch_execnz .LBB7_1432
.LBB7_408:                              ;   in Loop: Header=BB7_62 Depth=1
	s_or_b32 exec_lo, exec_lo, s1
	s_and_saveexec_b32 s1, s0
	s_cbranch_execz .LBB7_410
.LBB7_409:                              ;   in Loop: Header=BB7_62 Depth=1
	v_and_b32_e32 v196, 7, v197
	v_lshrrev_b16 v208, 3, v197
	v_lshrrev_b16 v197, 7, v197
	s_delay_alu instid0(VALU_DEP_3) | instskip(NEXT) | instid1(VALU_DEP_3)
	v_clz_i32_u32_e32 v198, v196
	v_and_b32_e32 v208, 15, v208
	s_delay_alu instid0(VALU_DEP_3) | instskip(NEXT) | instid1(VALU_DEP_3)
	v_lshlrev_b32_e32 v197, 31, v197
	v_min_u32_e32 v198, 32, v198
	s_delay_alu instid0(VALU_DEP_3) | instskip(NEXT) | instid1(VALU_DEP_2)
	v_cmp_eq_u16_e64 vcc_lo, 0, v208
	v_subrev_nc_u32_e32 v199, 28, v198
	v_sub_nc_u32_e32 v198, 29, v198
	s_wait_alu 0xfffd
	s_delay_alu instid0(VALU_DEP_1) | instskip(NEXT) | instid1(VALU_DEP_1)
	v_dual_cndmask_b32 v198, v208, v198 :: v_dual_lshlrev_b32 v199, v199, v196
	v_and_b32_e32 v199, 7, v199
	s_delay_alu instid0(VALU_DEP_2) | instskip(NEXT) | instid1(VALU_DEP_2)
	v_lshl_add_u32 v198, v198, 23, 0x3b800000
	v_cndmask_b32_e32 v196, v196, v199, vcc_lo
	s_delay_alu instid0(VALU_DEP_1) | instskip(NEXT) | instid1(VALU_DEP_1)
	v_lshlrev_b32_e32 v196, 20, v196
	v_or3_b32 v196, v197, v198, v196
.LBB7_410:                              ;   in Loop: Header=BB7_62 Depth=1
	s_wait_alu 0xfffe
	s_or_b32 exec_lo, exec_lo, s1
	v_and_b32_e32 v198, 0xff, v98
	s_mov_b32 s0, 0
	s_mov_b32 s1, exec_lo
	s_delay_alu instid0(VALU_DEP_1)
	v_cmpx_lt_i16_e64 0x7f, v198
	s_wait_alu 0xfffe
	s_xor_b32 s1, exec_lo, s1
	s_cbranch_execnz .LBB7_1433
; %bb.411:                              ;   in Loop: Header=BB7_62 Depth=1
	s_wait_alu 0xfffe
	s_or_saveexec_b32 s1, s1
	v_mov_b32_e32 v197, 0x7f800001
	s_wait_alu 0xfffe
	s_xor_b32 exec_lo, exec_lo, s1
	s_cbranch_execnz .LBB7_1436
.LBB7_412:                              ;   in Loop: Header=BB7_62 Depth=1
	s_or_b32 exec_lo, exec_lo, s1
	s_and_saveexec_b32 s1, s0
	s_cbranch_execz .LBB7_414
.LBB7_413:                              ;   in Loop: Header=BB7_62 Depth=1
	v_and_b32_e32 v197, 7, v98
	v_lshrrev_b16 v208, 3, v98
	v_lshrrev_b16 v98, 7, v98
	s_delay_alu instid0(VALU_DEP_3) | instskip(NEXT) | instid1(VALU_DEP_3)
	v_clz_i32_u32_e32 v198, v197
	v_and_b32_e32 v208, 15, v208
	s_delay_alu instid0(VALU_DEP_3) | instskip(NEXT) | instid1(VALU_DEP_3)
	v_lshlrev_b32_e32 v98, 31, v98
	v_min_u32_e32 v198, 32, v198
	s_delay_alu instid0(VALU_DEP_3) | instskip(NEXT) | instid1(VALU_DEP_2)
	v_cmp_eq_u16_e64 vcc_lo, 0, v208
	v_subrev_nc_u32_e32 v199, 28, v198
	v_sub_nc_u32_e32 v198, 29, v198
	s_wait_alu 0xfffd
	s_delay_alu instid0(VALU_DEP_1) | instskip(NEXT) | instid1(VALU_DEP_1)
	v_dual_cndmask_b32 v198, v208, v198 :: v_dual_lshlrev_b32 v199, v199, v197
	v_and_b32_e32 v199, 7, v199
	s_delay_alu instid0(VALU_DEP_2) | instskip(NEXT) | instid1(VALU_DEP_2)
	v_lshl_add_u32 v198, v198, 23, 0x3b800000
	v_cndmask_b32_e32 v197, v197, v199, vcc_lo
	s_delay_alu instid0(VALU_DEP_1) | instskip(NEXT) | instid1(VALU_DEP_1)
	v_lshlrev_b32_e32 v197, 20, v197
	v_or3_b32 v197, v98, v198, v197
.LBB7_414:                              ;   in Loop: Header=BB7_62 Depth=1
	s_wait_alu 0xfffe
	s_or_b32 exec_lo, exec_lo, s1
	v_and_b32_e32 v198, 0xff, v195
	s_mov_b32 s0, 0
	s_mov_b32 s1, exec_lo
	s_delay_alu instid0(VALU_DEP_1)
	v_cmpx_lt_i16_e64 0x7f, v198
	s_wait_alu 0xfffe
	s_xor_b32 s1, exec_lo, s1
	s_cbranch_execnz .LBB7_1437
; %bb.415:                              ;   in Loop: Header=BB7_62 Depth=1
	s_wait_alu 0xfffe
	s_or_saveexec_b32 s1, s1
	v_mov_b32_e32 v98, 0x7f800001
	s_wait_alu 0xfffe
	s_xor_b32 exec_lo, exec_lo, s1
	s_cbranch_execnz .LBB7_1440
.LBB7_416:                              ;   in Loop: Header=BB7_62 Depth=1
	s_or_b32 exec_lo, exec_lo, s1
	s_and_saveexec_b32 s1, s0
	s_cbranch_execz .LBB7_418
.LBB7_417:                              ;   in Loop: Header=BB7_62 Depth=1
	v_and_b32_e32 v98, 7, v195
	v_lshrrev_b16 v208, 3, v195
	v_lshrrev_b16 v195, 7, v195
	s_delay_alu instid0(VALU_DEP_3) | instskip(NEXT) | instid1(VALU_DEP_3)
	v_clz_i32_u32_e32 v198, v98
	v_and_b32_e32 v208, 15, v208
	s_delay_alu instid0(VALU_DEP_3) | instskip(NEXT) | instid1(VALU_DEP_3)
	v_lshlrev_b32_e32 v195, 31, v195
	v_min_u32_e32 v198, 32, v198
	s_delay_alu instid0(VALU_DEP_3) | instskip(NEXT) | instid1(VALU_DEP_2)
	v_cmp_eq_u16_e64 vcc_lo, 0, v208
	v_subrev_nc_u32_e32 v199, 28, v198
	v_sub_nc_u32_e32 v198, 29, v198
	s_delay_alu instid0(VALU_DEP_2) | instskip(SKIP_1) | instid1(VALU_DEP_1)
	v_lshlrev_b32_e32 v199, v199, v98
	s_wait_alu 0xfffd
	v_dual_cndmask_b32 v198, v208, v198 :: v_dual_and_b32 v199, 7, v199
	s_delay_alu instid0(VALU_DEP_1) | instskip(NEXT) | instid1(VALU_DEP_2)
	v_lshl_add_u32 v198, v198, 23, 0x3b800000
	v_cndmask_b32_e32 v98, v98, v199, vcc_lo
	s_delay_alu instid0(VALU_DEP_1) | instskip(NEXT) | instid1(VALU_DEP_1)
	v_lshlrev_b32_e32 v98, 20, v98
	v_or3_b32 v98, v195, v198, v98
.LBB7_418:                              ;   in Loop: Header=BB7_62 Depth=1
	s_wait_alu 0xfffe
	s_or_b32 exec_lo, exec_lo, s1
	v_and_b32_e32 v198, 0xff, v193
	s_mov_b32 s0, 0
	s_mov_b32 s1, exec_lo
	s_delay_alu instid0(VALU_DEP_1)
	v_cmpx_lt_i16_e64 0x7f, v198
	s_wait_alu 0xfffe
	s_xor_b32 s1, exec_lo, s1
	s_cbranch_execnz .LBB7_1441
; %bb.419:                              ;   in Loop: Header=BB7_62 Depth=1
	s_wait_alu 0xfffe
	s_or_saveexec_b32 s1, s1
	v_mov_b32_e32 v195, 0x7f800001
	s_wait_alu 0xfffe
	s_xor_b32 exec_lo, exec_lo, s1
	s_cbranch_execnz .LBB7_1444
.LBB7_420:                              ;   in Loop: Header=BB7_62 Depth=1
	s_or_b32 exec_lo, exec_lo, s1
	s_and_saveexec_b32 s1, s0
	s_cbranch_execz .LBB7_422
.LBB7_421:                              ;   in Loop: Header=BB7_62 Depth=1
	v_lshrrev_b16 v208, 3, v193
	s_delay_alu instid0(VALU_DEP_1) | instskip(NEXT) | instid1(VALU_DEP_1)
	v_and_b32_e32 v208, 15, v208
	v_cmp_eq_u16_e64 vcc_lo, 0, v208
	v_and_b32_e32 v195, 7, v193
	v_lshrrev_b16 v193, 7, v193
	s_delay_alu instid0(VALU_DEP_2) | instskip(NEXT) | instid1(VALU_DEP_2)
	v_clz_i32_u32_e32 v198, v195
	v_lshlrev_b32_e32 v193, 31, v193
	s_delay_alu instid0(VALU_DEP_2) | instskip(NEXT) | instid1(VALU_DEP_1)
	v_min_u32_e32 v198, 32, v198
	v_subrev_nc_u32_e32 v199, 28, v198
	v_sub_nc_u32_e32 v198, 29, v198
	s_wait_alu 0xfffd
	s_delay_alu instid0(VALU_DEP_1) | instskip(NEXT) | instid1(VALU_DEP_1)
	v_dual_cndmask_b32 v198, v208, v198 :: v_dual_lshlrev_b32 v199, v199, v195
	v_lshl_add_u32 v198, v198, 23, 0x3b800000
	s_delay_alu instid0(VALU_DEP_2) | instskip(NEXT) | instid1(VALU_DEP_1)
	v_and_b32_e32 v199, 7, v199
	v_cndmask_b32_e32 v195, v195, v199, vcc_lo
	s_delay_alu instid0(VALU_DEP_1) | instskip(NEXT) | instid1(VALU_DEP_1)
	v_lshlrev_b32_e32 v195, 20, v195
	v_or3_b32 v195, v193, v198, v195
.LBB7_422:                              ;   in Loop: Header=BB7_62 Depth=1
	s_wait_alu 0xfffe
	s_or_b32 exec_lo, exec_lo, s1
	s_mov_b32 s0, 0
	s_mov_b32 s1, exec_lo
	v_cmpx_lt_i16_e64 0x7f, v192
	s_wait_alu 0xfffe
	s_xor_b32 s1, exec_lo, s1
	s_cbranch_execnz .LBB7_1445
; %bb.423:                              ;   in Loop: Header=BB7_62 Depth=1
	s_wait_alu 0xfffe
	s_or_saveexec_b32 s1, s1
	v_mov_b32_e32 v193, 0x7f800001
	s_wait_alu 0xfffe
	s_xor_b32 exec_lo, exec_lo, s1
	s_cbranch_execnz .LBB7_1448
.LBB7_424:                              ;   in Loop: Header=BB7_62 Depth=1
	s_or_b32 exec_lo, exec_lo, s1
	s_and_saveexec_b32 s1, s0
	s_cbranch_execz .LBB7_426
.LBB7_425:                              ;   in Loop: Header=BB7_62 Depth=1
	v_lshrrev_b16 v208, 3, v192
	s_delay_alu instid0(VALU_DEP_1) | instskip(NEXT) | instid1(VALU_DEP_1)
	v_and_b32_e32 v208, 15, v208
	v_cmp_eq_u16_e64 vcc_lo, 0, v208
	v_and_b32_e32 v193, 7, v192
	v_lshrrev_b16 v192, 7, v192
	s_delay_alu instid0(VALU_DEP_2) | instskip(NEXT) | instid1(VALU_DEP_2)
	v_clz_i32_u32_e32 v198, v193
	v_lshlrev_b32_e32 v192, 31, v192
	s_delay_alu instid0(VALU_DEP_2) | instskip(NEXT) | instid1(VALU_DEP_1)
	v_min_u32_e32 v198, 32, v198
	v_subrev_nc_u32_e32 v199, 28, v198
	v_sub_nc_u32_e32 v198, 29, v198
	s_wait_alu 0xfffd
	s_delay_alu instid0(VALU_DEP_1) | instskip(NEXT) | instid1(VALU_DEP_1)
	v_dual_cndmask_b32 v198, v208, v198 :: v_dual_lshlrev_b32 v199, v199, v193
	v_lshl_add_u32 v198, v198, 23, 0x3b800000
	s_delay_alu instid0(VALU_DEP_2) | instskip(NEXT) | instid1(VALU_DEP_1)
	v_and_b32_e32 v199, 7, v199
	v_cndmask_b32_e32 v193, v193, v199, vcc_lo
	s_delay_alu instid0(VALU_DEP_1) | instskip(NEXT) | instid1(VALU_DEP_1)
	v_lshlrev_b32_e32 v193, 20, v193
	v_or3_b32 v193, v192, v198, v193
.LBB7_426:                              ;   in Loop: Header=BB7_62 Depth=1
	s_wait_alu 0xfffe
	s_or_b32 exec_lo, exec_lo, s1
	v_and_b32_e32 v198, 0xff, v99
	s_mov_b32 s0, 0
	s_mov_b32 s1, exec_lo
	s_delay_alu instid0(VALU_DEP_1)
	v_cmpx_lt_i16_e64 0x7f, v198
	s_wait_alu 0xfffe
	s_xor_b32 s1, exec_lo, s1
	s_cbranch_execnz .LBB7_1449
; %bb.427:                              ;   in Loop: Header=BB7_62 Depth=1
	s_wait_alu 0xfffe
	s_or_saveexec_b32 s1, s1
	v_mov_b32_e32 v192, 0x7f800001
	s_wait_alu 0xfffe
	s_xor_b32 exec_lo, exec_lo, s1
	s_cbranch_execnz .LBB7_1452
.LBB7_428:                              ;   in Loop: Header=BB7_62 Depth=1
	s_or_b32 exec_lo, exec_lo, s1
	s_and_saveexec_b32 s1, s0
	s_cbranch_execz .LBB7_430
.LBB7_429:                              ;   in Loop: Header=BB7_62 Depth=1
	v_and_b32_e32 v192, 7, v99
	v_lshrrev_b16 v208, 3, v99
	v_lshrrev_b16 v99, 7, v99
	s_delay_alu instid0(VALU_DEP_3) | instskip(NEXT) | instid1(VALU_DEP_3)
	v_clz_i32_u32_e32 v198, v192
	v_and_b32_e32 v208, 15, v208
	s_delay_alu instid0(VALU_DEP_3) | instskip(NEXT) | instid1(VALU_DEP_3)
	v_lshlrev_b32_e32 v99, 31, v99
	v_min_u32_e32 v198, 32, v198
	s_delay_alu instid0(VALU_DEP_3) | instskip(NEXT) | instid1(VALU_DEP_2)
	v_cmp_eq_u16_e64 vcc_lo, 0, v208
	v_subrev_nc_u32_e32 v199, 28, v198
	v_sub_nc_u32_e32 v198, 29, v198
	s_wait_alu 0xfffd
	s_delay_alu instid0(VALU_DEP_1) | instskip(NEXT) | instid1(VALU_DEP_1)
	v_dual_cndmask_b32 v198, v208, v198 :: v_dual_lshlrev_b32 v199, v199, v192
	v_and_b32_e32 v199, 7, v199
	s_delay_alu instid0(VALU_DEP_2) | instskip(NEXT) | instid1(VALU_DEP_2)
	v_lshl_add_u32 v198, v198, 23, 0x3b800000
	v_cndmask_b32_e32 v192, v192, v199, vcc_lo
	s_delay_alu instid0(VALU_DEP_1) | instskip(NEXT) | instid1(VALU_DEP_1)
	v_lshlrev_b32_e32 v192, 20, v192
	v_or3_b32 v192, v99, v198, v192
.LBB7_430:                              ;   in Loop: Header=BB7_62 Depth=1
	s_wait_alu 0xfffe
	s_or_b32 exec_lo, exec_lo, s1
	v_and_b32_e32 v198, 0xff, v129
	s_mov_b32 s0, 0
	s_mov_b32 s1, exec_lo
	s_delay_alu instid0(VALU_DEP_1)
	v_cmpx_lt_i16_e64 0x7f, v198
	s_wait_alu 0xfffe
	s_xor_b32 s1, exec_lo, s1
	s_cbranch_execnz .LBB7_1453
; %bb.431:                              ;   in Loop: Header=BB7_62 Depth=1
	s_wait_alu 0xfffe
	s_or_saveexec_b32 s1, s1
	v_mov_b32_e32 v99, 0x7f800001
	s_wait_alu 0xfffe
	s_xor_b32 exec_lo, exec_lo, s1
	s_cbranch_execnz .LBB7_1456
.LBB7_432:                              ;   in Loop: Header=BB7_62 Depth=1
	s_or_b32 exec_lo, exec_lo, s1
	s_and_saveexec_b32 s1, s0
	s_cbranch_execz .LBB7_434
.LBB7_433:                              ;   in Loop: Header=BB7_62 Depth=1
	v_lshrrev_b16 v208, 3, v129
	s_delay_alu instid0(VALU_DEP_1) | instskip(NEXT) | instid1(VALU_DEP_1)
	v_and_b32_e32 v208, 15, v208
	v_cmp_eq_u16_e64 vcc_lo, 0, v208
	v_and_b32_e32 v99, 7, v129
	v_lshrrev_b16 v129, 7, v129
	s_delay_alu instid0(VALU_DEP_2) | instskip(NEXT) | instid1(VALU_DEP_2)
	v_clz_i32_u32_e32 v198, v99
	v_lshlrev_b32_e32 v129, 31, v129
	s_delay_alu instid0(VALU_DEP_2) | instskip(NEXT) | instid1(VALU_DEP_1)
	v_min_u32_e32 v198, 32, v198
	v_subrev_nc_u32_e32 v199, 28, v198
	v_sub_nc_u32_e32 v198, 29, v198
	s_wait_alu 0xfffd
	s_delay_alu instid0(VALU_DEP_1) | instskip(NEXT) | instid1(VALU_DEP_1)
	v_dual_cndmask_b32 v198, v208, v198 :: v_dual_lshlrev_b32 v199, v199, v99
	v_lshl_add_u32 v198, v198, 23, 0x3b800000
	s_delay_alu instid0(VALU_DEP_2) | instskip(NEXT) | instid1(VALU_DEP_1)
	v_and_b32_e32 v199, 7, v199
	v_cndmask_b32_e32 v99, v99, v199, vcc_lo
	s_delay_alu instid0(VALU_DEP_1) | instskip(NEXT) | instid1(VALU_DEP_1)
	v_lshlrev_b32_e32 v99, 20, v99
	v_or3_b32 v99, v129, v198, v99
.LBB7_434:                              ;   in Loop: Header=BB7_62 Depth=1
	s_wait_alu 0xfffe
	s_or_b32 exec_lo, exec_lo, s1
	v_and_b32_e32 v198, 0xff, v119
	s_mov_b32 s0, 0
	s_mov_b32 s1, exec_lo
	s_delay_alu instid0(VALU_DEP_1)
	v_cmpx_lt_i16_e64 0x7f, v198
	s_wait_alu 0xfffe
	s_xor_b32 s1, exec_lo, s1
	s_cbranch_execnz .LBB7_1457
; %bb.435:                              ;   in Loop: Header=BB7_62 Depth=1
	s_wait_alu 0xfffe
	s_or_saveexec_b32 s1, s1
	v_mov_b32_e32 v129, 0x7f800001
	s_wait_alu 0xfffe
	s_xor_b32 exec_lo, exec_lo, s1
	s_cbranch_execnz .LBB7_1460
.LBB7_436:                              ;   in Loop: Header=BB7_62 Depth=1
	s_or_b32 exec_lo, exec_lo, s1
	s_and_saveexec_b32 s1, s0
	s_cbranch_execz .LBB7_438
.LBB7_437:                              ;   in Loop: Header=BB7_62 Depth=1
	v_lshrrev_b16 v208, 3, v119
	s_delay_alu instid0(VALU_DEP_1) | instskip(NEXT) | instid1(VALU_DEP_1)
	v_and_b32_e32 v208, 15, v208
	v_cmp_eq_u16_e64 vcc_lo, 0, v208
	v_and_b32_e32 v129, 7, v119
	v_lshrrev_b16 v119, 7, v119
	s_delay_alu instid0(VALU_DEP_2) | instskip(NEXT) | instid1(VALU_DEP_2)
	v_clz_i32_u32_e32 v198, v129
	v_lshlrev_b32_e32 v119, 31, v119
	s_delay_alu instid0(VALU_DEP_2) | instskip(NEXT) | instid1(VALU_DEP_1)
	v_min_u32_e32 v198, 32, v198
	v_subrev_nc_u32_e32 v199, 28, v198
	v_sub_nc_u32_e32 v198, 29, v198
	s_wait_alu 0xfffd
	s_delay_alu instid0(VALU_DEP_1) | instskip(NEXT) | instid1(VALU_DEP_1)
	v_dual_cndmask_b32 v198, v208, v198 :: v_dual_lshlrev_b32 v199, v199, v129
	v_lshl_add_u32 v198, v198, 23, 0x3b800000
	s_delay_alu instid0(VALU_DEP_2) | instskip(NEXT) | instid1(VALU_DEP_1)
	v_and_b32_e32 v199, 7, v199
	v_cndmask_b32_e32 v129, v129, v199, vcc_lo
	s_delay_alu instid0(VALU_DEP_1) | instskip(NEXT) | instid1(VALU_DEP_1)
	v_lshlrev_b32_e32 v129, 20, v129
	v_or3_b32 v129, v119, v198, v129
.LBB7_438:                              ;   in Loop: Header=BB7_62 Depth=1
	s_wait_alu 0xfffe
	s_or_b32 exec_lo, exec_lo, s1
	s_mov_b32 s0, 0
	s_mov_b32 s1, exec_lo
	v_cmpx_lt_i16_e32 0x7f, v118
	s_wait_alu 0xfffe
	s_xor_b32 s1, exec_lo, s1
	s_cbranch_execnz .LBB7_1461
; %bb.439:                              ;   in Loop: Header=BB7_62 Depth=1
	s_wait_alu 0xfffe
	s_or_saveexec_b32 s1, s1
	v_mov_b32_e32 v119, 0x7f800001
	s_wait_alu 0xfffe
	s_xor_b32 exec_lo, exec_lo, s1
	s_cbranch_execnz .LBB7_1464
.LBB7_440:                              ;   in Loop: Header=BB7_62 Depth=1
	s_or_b32 exec_lo, exec_lo, s1
	s_and_saveexec_b32 s1, s0
	s_cbranch_execz .LBB7_442
.LBB7_441:                              ;   in Loop: Header=BB7_62 Depth=1
	v_and_b32_e32 v119, 7, v118
	v_lshrrev_b16 v208, 3, v118
	v_lshrrev_b16 v118, 7, v118
	s_delay_alu instid0(VALU_DEP_3) | instskip(NEXT) | instid1(VALU_DEP_3)
	v_clz_i32_u32_e32 v198, v119
	v_and_b32_e32 v208, 15, v208
	s_delay_alu instid0(VALU_DEP_3) | instskip(NEXT) | instid1(VALU_DEP_3)
	v_lshlrev_b32_e32 v118, 31, v118
	v_min_u32_e32 v198, 32, v198
	s_delay_alu instid0(VALU_DEP_3) | instskip(NEXT) | instid1(VALU_DEP_2)
	v_cmp_eq_u16_e64 vcc_lo, 0, v208
	v_subrev_nc_u32_e32 v199, 28, v198
	v_sub_nc_u32_e32 v198, 29, v198
	s_wait_alu 0xfffd
	s_delay_alu instid0(VALU_DEP_1) | instskip(NEXT) | instid1(VALU_DEP_1)
	v_dual_cndmask_b32 v198, v208, v198 :: v_dual_lshlrev_b32 v199, v199, v119
	v_and_b32_e32 v199, 7, v199
	s_delay_alu instid0(VALU_DEP_2) | instskip(NEXT) | instid1(VALU_DEP_2)
	v_lshl_add_u32 v198, v198, 23, 0x3b800000
	v_cndmask_b32_e32 v119, v119, v199, vcc_lo
	s_delay_alu instid0(VALU_DEP_1) | instskip(NEXT) | instid1(VALU_DEP_1)
	v_lshlrev_b32_e32 v119, 20, v119
	v_or3_b32 v119, v118, v198, v119
.LBB7_442:                              ;   in Loop: Header=BB7_62 Depth=1
	s_wait_alu 0xfffe
	s_or_b32 exec_lo, exec_lo, s1
	v_cvt_pk_rtz_f16_f32_e32 v208, v117, v96
	v_add_nc_u32_e32 v96, 0x50, v103
	v_cvt_pk_rtz_f16_f32_e32 v210, v131, v97
	v_cvt_pk_rtz_f16_f32_e32 v211, v194, v196
	;; [unrolled: 1-line block ×4, first 2 shown]
	v_ashrrev_i32_e32 v97, 31, v96
	v_cvt_pk_rtz_f16_f32_e32 v198, v192, v99
	v_cvt_pk_rtz_f16_f32_e32 v197, v195, v193
	;; [unrolled: 1-line block ×3, first 2 shown]
	s_clause 0x1
	scratch_store_b128 off, v[208:211], s33 offset:128
	scratch_store_b128 off, v[196:199], s33 offset:144
	v_lshrrev_b32_e32 v97, 28, v97
	s_mov_b32 s0, 0
	s_mov_b32 s1, exec_lo
	s_delay_alu instid0(VALU_DEP_1) | instskip(NEXT) | instid1(VALU_DEP_1)
	v_add_nc_u32_e32 v97, v96, v97
	v_lshrrev_b32_e32 v98, 4, v97
	v_and_b32_e32 v97, -16, v97
	s_delay_alu instid0(VALU_DEP_2) | instskip(NEXT) | instid1(VALU_DEP_2)
	v_add_nc_u32_e32 v98, v98, v114
	v_sub_nc_u32_e32 v96, v96, v97
	s_delay_alu instid0(VALU_DEP_2) | instskip(NEXT) | instid1(VALU_DEP_1)
	v_xor_b32_e32 v98, v98, v115
	v_sub_nc_u32_e32 v98, v98, v112
	s_delay_alu instid0(VALU_DEP_1) | instskip(NEXT) | instid1(VALU_DEP_1)
	v_lshlrev_b32_e32 v97, 4, v98
	v_add3_u32 v96, v96, v116, v97
	s_delay_alu instid0(VALU_DEP_1) | instskip(SKIP_2) | instid1(VALU_DEP_2)
	v_ashrrev_i32_e32 v97, 31, v96
	v_add_co_u32 v96, vcc_lo, v100, v96
	s_wait_alu 0xfffd
	v_add_co_ci_u32_e64 v97, null, v101, v97, vcc_lo
	flat_load_b128 v[96:99], v[96:97]
	s_wait_loadcnt_dscnt 0x0
	v_and_b32_e32 v118, 0xff, v96
	s_delay_alu instid0(VALU_DEP_1)
	v_cmpx_lt_i16_e32 0x7f, v118
	s_wait_alu 0xfffe
	s_xor_b32 s1, exec_lo, s1
	s_cbranch_execnz .LBB7_1465
; %bb.443:                              ;   in Loop: Header=BB7_62 Depth=1
	s_wait_alu 0xfffe
	s_or_saveexec_b32 s1, s1
	v_mov_b32_e32 v117, 0x7f800001
	s_wait_alu 0xfffe
	s_xor_b32 exec_lo, exec_lo, s1
	s_cbranch_execnz .LBB7_1468
.LBB7_444:                              ;   in Loop: Header=BB7_62 Depth=1
	s_or_b32 exec_lo, exec_lo, s1
	s_and_saveexec_b32 s1, s0
	s_cbranch_execz .LBB7_446
.LBB7_445:                              ;   in Loop: Header=BB7_62 Depth=1
	v_lshrrev_b16 v128, 3, v96
	v_lshrrev_b16 v129, 7, v96
	s_delay_alu instid0(VALU_DEP_2) | instskip(NEXT) | instid1(VALU_DEP_1)
	v_and_b32_e32 v128, 15, v128
	v_cmp_eq_u16_e64 vcc_lo, 0, v128
	v_and_b32_e32 v117, 7, v96
	s_delay_alu instid0(VALU_DEP_1) | instskip(NEXT) | instid1(VALU_DEP_1)
	v_clz_i32_u32_e32 v118, v117
	v_min_u32_e32 v118, 32, v118
	s_delay_alu instid0(VALU_DEP_1) | instskip(SKIP_2) | instid1(VALU_DEP_1)
	v_subrev_nc_u32_e32 v119, 28, v118
	v_sub_nc_u32_e32 v118, 29, v118
	s_wait_alu 0xfffd
	v_dual_cndmask_b32 v118, v128, v118 :: v_dual_lshlrev_b32 v119, v119, v117
	s_delay_alu instid0(VALU_DEP_1) | instskip(NEXT) | instid1(VALU_DEP_2)
	v_lshl_add_u32 v118, v118, 23, 0x3b800000
	v_and_b32_e32 v119, 7, v119
	s_delay_alu instid0(VALU_DEP_1) | instskip(SKIP_1) | instid1(VALU_DEP_2)
	v_cndmask_b32_e32 v117, v117, v119, vcc_lo
	v_lshlrev_b32_e32 v119, 31, v129
	v_lshlrev_b32_e32 v117, 20, v117
	s_delay_alu instid0(VALU_DEP_1)
	v_or3_b32 v117, v119, v118, v117
.LBB7_446:                              ;   in Loop: Header=BB7_62 Depth=1
	s_wait_alu 0xfffe
	s_or_b32 exec_lo, exec_lo, s1
	v_lshrrev_b32_e32 v128, 8, v96
	v_lshrrev_b32_e32 v118, 24, v99
	;; [unrolled: 1-line block ×12, first 2 shown]
	v_and_b32_e32 v198, 0xff, v128
	s_mov_b32 s0, 0
	s_mov_b32 s1, exec_lo
	s_delay_alu instid0(VALU_DEP_1)
	v_cmpx_lt_i16_e64 0x7f, v198
	s_wait_alu 0xfffe
	s_xor_b32 s1, exec_lo, s1
	s_cbranch_execnz .LBB7_1469
; %bb.447:                              ;   in Loop: Header=BB7_62 Depth=1
	s_wait_alu 0xfffe
	s_or_saveexec_b32 s1, s1
	v_mov_b32_e32 v96, 0x7f800001
	s_wait_alu 0xfffe
	s_xor_b32 exec_lo, exec_lo, s1
	s_cbranch_execnz .LBB7_1472
.LBB7_448:                              ;   in Loop: Header=BB7_62 Depth=1
	s_or_b32 exec_lo, exec_lo, s1
	s_and_saveexec_b32 s1, s0
	s_cbranch_execz .LBB7_450
.LBB7_449:                              ;   in Loop: Header=BB7_62 Depth=1
	v_and_b32_e32 v96, 7, v128
	v_lshrrev_b16 v208, 3, v128
	v_lshrrev_b16 v128, 7, v128
	s_delay_alu instid0(VALU_DEP_3) | instskip(NEXT) | instid1(VALU_DEP_3)
	v_clz_i32_u32_e32 v198, v96
	v_and_b32_e32 v208, 15, v208
	s_delay_alu instid0(VALU_DEP_3) | instskip(NEXT) | instid1(VALU_DEP_3)
	v_lshlrev_b32_e32 v128, 31, v128
	v_min_u32_e32 v198, 32, v198
	s_delay_alu instid0(VALU_DEP_3) | instskip(NEXT) | instid1(VALU_DEP_2)
	v_cmp_eq_u16_e64 vcc_lo, 0, v208
	v_subrev_nc_u32_e32 v199, 28, v198
	v_sub_nc_u32_e32 v198, 29, v198
	s_wait_alu 0xfffd
	s_delay_alu instid0(VALU_DEP_1) | instskip(NEXT) | instid1(VALU_DEP_1)
	v_dual_cndmask_b32 v198, v208, v198 :: v_dual_lshlrev_b32 v199, v199, v96
	v_and_b32_e32 v199, 7, v199
	s_delay_alu instid0(VALU_DEP_2) | instskip(NEXT) | instid1(VALU_DEP_2)
	v_lshl_add_u32 v198, v198, 23, 0x3b800000
	v_cndmask_b32_e32 v96, v96, v199, vcc_lo
	s_delay_alu instid0(VALU_DEP_1) | instskip(NEXT) | instid1(VALU_DEP_1)
	v_lshlrev_b32_e32 v96, 20, v96
	v_or3_b32 v96, v128, v198, v96
.LBB7_450:                              ;   in Loop: Header=BB7_62 Depth=1
	s_wait_alu 0xfffe
	s_or_b32 exec_lo, exec_lo, s1
	v_and_b32_e32 v198, 0xff, v130
	s_mov_b32 s0, 0
	s_mov_b32 s1, exec_lo
	s_delay_alu instid0(VALU_DEP_1)
	v_cmpx_lt_i16_e64 0x7f, v198
	s_wait_alu 0xfffe
	s_xor_b32 s1, exec_lo, s1
	s_cbranch_execnz .LBB7_1473
; %bb.451:                              ;   in Loop: Header=BB7_62 Depth=1
	s_wait_alu 0xfffe
	s_or_saveexec_b32 s1, s1
	v_mov_b32_e32 v128, 0x7f800001
	s_wait_alu 0xfffe
	s_xor_b32 exec_lo, exec_lo, s1
	s_cbranch_execnz .LBB7_1476
.LBB7_452:                              ;   in Loop: Header=BB7_62 Depth=1
	s_or_b32 exec_lo, exec_lo, s1
	s_and_saveexec_b32 s1, s0
	s_cbranch_execz .LBB7_454
.LBB7_453:                              ;   in Loop: Header=BB7_62 Depth=1
	v_and_b32_e32 v128, 7, v130
	v_lshrrev_b16 v208, 3, v130
	v_lshrrev_b16 v130, 7, v130
	s_delay_alu instid0(VALU_DEP_3) | instskip(NEXT) | instid1(VALU_DEP_3)
	v_clz_i32_u32_e32 v198, v128
	v_and_b32_e32 v208, 15, v208
	s_delay_alu instid0(VALU_DEP_3) | instskip(NEXT) | instid1(VALU_DEP_3)
	v_lshlrev_b32_e32 v130, 31, v130
	v_min_u32_e32 v198, 32, v198
	s_delay_alu instid0(VALU_DEP_3) | instskip(NEXT) | instid1(VALU_DEP_2)
	v_cmp_eq_u16_e64 vcc_lo, 0, v208
	v_subrev_nc_u32_e32 v199, 28, v198
	v_sub_nc_u32_e32 v198, 29, v198
	s_wait_alu 0xfffd
	s_delay_alu instid0(VALU_DEP_1) | instskip(NEXT) | instid1(VALU_DEP_1)
	v_dual_cndmask_b32 v198, v208, v198 :: v_dual_lshlrev_b32 v199, v199, v128
	v_and_b32_e32 v199, 7, v199
	s_delay_alu instid0(VALU_DEP_2) | instskip(NEXT) | instid1(VALU_DEP_2)
	v_lshl_add_u32 v198, v198, 23, 0x3b800000
	v_cndmask_b32_e32 v128, v128, v199, vcc_lo
	s_delay_alu instid0(VALU_DEP_1) | instskip(NEXT) | instid1(VALU_DEP_1)
	v_lshlrev_b32_e32 v128, 20, v128
	v_or3_b32 v128, v130, v198, v128
.LBB7_454:                              ;   in Loop: Header=BB7_62 Depth=1
	s_wait_alu 0xfffe
	s_or_b32 exec_lo, exec_lo, s1
	s_mov_b32 s0, 0
	s_mov_b32 s1, exec_lo
	v_cmpx_lt_i16_e64 0x7f, v131
	s_wait_alu 0xfffe
	s_xor_b32 s1, exec_lo, s1
	s_cbranch_execnz .LBB7_1477
; %bb.455:                              ;   in Loop: Header=BB7_62 Depth=1
	s_wait_alu 0xfffe
	s_or_saveexec_b32 s1, s1
	v_mov_b32_e32 v130, 0x7f800001
	s_wait_alu 0xfffe
	s_xor_b32 exec_lo, exec_lo, s1
	s_cbranch_execnz .LBB7_1480
.LBB7_456:                              ;   in Loop: Header=BB7_62 Depth=1
	s_or_b32 exec_lo, exec_lo, s1
	s_and_saveexec_b32 s1, s0
	s_cbranch_execz .LBB7_458
.LBB7_457:                              ;   in Loop: Header=BB7_62 Depth=1
	v_and_b32_e32 v130, 7, v131
	v_lshrrev_b16 v208, 3, v131
	v_lshrrev_b16 v131, 7, v131
	s_delay_alu instid0(VALU_DEP_3) | instskip(NEXT) | instid1(VALU_DEP_3)
	v_clz_i32_u32_e32 v198, v130
	v_and_b32_e32 v208, 15, v208
	s_delay_alu instid0(VALU_DEP_3) | instskip(NEXT) | instid1(VALU_DEP_3)
	v_lshlrev_b32_e32 v131, 31, v131
	v_min_u32_e32 v198, 32, v198
	s_delay_alu instid0(VALU_DEP_3) | instskip(NEXT) | instid1(VALU_DEP_2)
	v_cmp_eq_u16_e64 vcc_lo, 0, v208
	v_subrev_nc_u32_e32 v199, 28, v198
	v_sub_nc_u32_e32 v198, 29, v198
	s_delay_alu instid0(VALU_DEP_2) | instskip(SKIP_1) | instid1(VALU_DEP_1)
	v_lshlrev_b32_e32 v199, v199, v130
	s_wait_alu 0xfffd
	v_dual_cndmask_b32 v198, v208, v198 :: v_dual_and_b32 v199, 7, v199
	s_delay_alu instid0(VALU_DEP_1) | instskip(NEXT) | instid1(VALU_DEP_2)
	v_lshl_add_u32 v198, v198, 23, 0x3b800000
	v_cndmask_b32_e32 v130, v130, v199, vcc_lo
	s_delay_alu instid0(VALU_DEP_1) | instskip(NEXT) | instid1(VALU_DEP_1)
	v_lshlrev_b32_e32 v130, 20, v130
	v_or3_b32 v130, v131, v198, v130
.LBB7_458:                              ;   in Loop: Header=BB7_62 Depth=1
	s_wait_alu 0xfffe
	s_or_b32 exec_lo, exec_lo, s1
	v_and_b32_e32 v198, 0xff, v97
	s_mov_b32 s0, 0
	s_mov_b32 s1, exec_lo
	s_delay_alu instid0(VALU_DEP_1)
	v_cmpx_lt_i16_e64 0x7f, v198
	s_wait_alu 0xfffe
	s_xor_b32 s1, exec_lo, s1
	s_cbranch_execnz .LBB7_1481
; %bb.459:                              ;   in Loop: Header=BB7_62 Depth=1
	s_wait_alu 0xfffe
	s_or_saveexec_b32 s1, s1
	v_mov_b32_e32 v131, 0x7f800001
	s_wait_alu 0xfffe
	s_xor_b32 exec_lo, exec_lo, s1
	s_cbranch_execnz .LBB7_1484
.LBB7_460:                              ;   in Loop: Header=BB7_62 Depth=1
	s_or_b32 exec_lo, exec_lo, s1
	s_and_saveexec_b32 s1, s0
	s_cbranch_execz .LBB7_462
.LBB7_461:                              ;   in Loop: Header=BB7_62 Depth=1
	v_lshrrev_b16 v208, 3, v97
	s_delay_alu instid0(VALU_DEP_1) | instskip(NEXT) | instid1(VALU_DEP_1)
	v_and_b32_e32 v208, 15, v208
	v_cmp_eq_u16_e64 vcc_lo, 0, v208
	v_and_b32_e32 v131, 7, v97
	v_lshrrev_b16 v97, 7, v97
	s_delay_alu instid0(VALU_DEP_2) | instskip(NEXT) | instid1(VALU_DEP_2)
	v_clz_i32_u32_e32 v198, v131
	v_lshlrev_b32_e32 v97, 31, v97
	s_delay_alu instid0(VALU_DEP_2) | instskip(NEXT) | instid1(VALU_DEP_1)
	v_min_u32_e32 v198, 32, v198
	v_subrev_nc_u32_e32 v199, 28, v198
	v_sub_nc_u32_e32 v198, 29, v198
	s_wait_alu 0xfffd
	s_delay_alu instid0(VALU_DEP_1) | instskip(NEXT) | instid1(VALU_DEP_1)
	v_dual_cndmask_b32 v198, v208, v198 :: v_dual_lshlrev_b32 v199, v199, v131
	v_lshl_add_u32 v198, v198, 23, 0x3b800000
	s_delay_alu instid0(VALU_DEP_2) | instskip(NEXT) | instid1(VALU_DEP_1)
	v_and_b32_e32 v199, 7, v199
	v_cndmask_b32_e32 v131, v131, v199, vcc_lo
	s_delay_alu instid0(VALU_DEP_1) | instskip(NEXT) | instid1(VALU_DEP_1)
	v_lshlrev_b32_e32 v131, 20, v131
	v_or3_b32 v131, v97, v198, v131
.LBB7_462:                              ;   in Loop: Header=BB7_62 Depth=1
	s_wait_alu 0xfffe
	s_or_b32 exec_lo, exec_lo, s1
	v_and_b32_e32 v198, 0xff, v194
	s_mov_b32 s0, 0
	s_mov_b32 s1, exec_lo
	s_delay_alu instid0(VALU_DEP_1)
	v_cmpx_lt_i16_e64 0x7f, v198
	s_wait_alu 0xfffe
	s_xor_b32 s1, exec_lo, s1
	s_cbranch_execnz .LBB7_1485
; %bb.463:                              ;   in Loop: Header=BB7_62 Depth=1
	s_wait_alu 0xfffe
	s_or_saveexec_b32 s1, s1
	v_mov_b32_e32 v97, 0x7f800001
	s_wait_alu 0xfffe
	s_xor_b32 exec_lo, exec_lo, s1
	s_cbranch_execnz .LBB7_1488
.LBB7_464:                              ;   in Loop: Header=BB7_62 Depth=1
	s_or_b32 exec_lo, exec_lo, s1
	s_and_saveexec_b32 s1, s0
	s_cbranch_execz .LBB7_466
.LBB7_465:                              ;   in Loop: Header=BB7_62 Depth=1
	v_and_b32_e32 v97, 7, v194
	v_lshrrev_b16 v208, 3, v194
	v_lshrrev_b16 v194, 7, v194
	s_delay_alu instid0(VALU_DEP_3) | instskip(NEXT) | instid1(VALU_DEP_3)
	v_clz_i32_u32_e32 v198, v97
	v_and_b32_e32 v208, 15, v208
	s_delay_alu instid0(VALU_DEP_3) | instskip(NEXT) | instid1(VALU_DEP_3)
	v_lshlrev_b32_e32 v194, 31, v194
	v_min_u32_e32 v198, 32, v198
	s_delay_alu instid0(VALU_DEP_3) | instskip(NEXT) | instid1(VALU_DEP_2)
	v_cmp_eq_u16_e64 vcc_lo, 0, v208
	v_subrev_nc_u32_e32 v199, 28, v198
	v_sub_nc_u32_e32 v198, 29, v198
	s_wait_alu 0xfffd
	s_delay_alu instid0(VALU_DEP_1) | instskip(NEXT) | instid1(VALU_DEP_1)
	v_dual_cndmask_b32 v198, v208, v198 :: v_dual_lshlrev_b32 v199, v199, v97
	v_and_b32_e32 v199, 7, v199
	s_delay_alu instid0(VALU_DEP_2) | instskip(NEXT) | instid1(VALU_DEP_2)
	v_lshl_add_u32 v198, v198, 23, 0x3b800000
	v_cndmask_b32_e32 v97, v97, v199, vcc_lo
	s_delay_alu instid0(VALU_DEP_1) | instskip(NEXT) | instid1(VALU_DEP_1)
	v_lshlrev_b32_e32 v97, 20, v97
	v_or3_b32 v97, v194, v198, v97
.LBB7_466:                              ;   in Loop: Header=BB7_62 Depth=1
	s_wait_alu 0xfffe
	s_or_b32 exec_lo, exec_lo, s1
	v_and_b32_e32 v198, 0xff, v196
	s_mov_b32 s0, 0
	s_mov_b32 s1, exec_lo
	s_delay_alu instid0(VALU_DEP_1)
	v_cmpx_lt_i16_e64 0x7f, v198
	s_wait_alu 0xfffe
	s_xor_b32 s1, exec_lo, s1
	s_cbranch_execnz .LBB7_1489
; %bb.467:                              ;   in Loop: Header=BB7_62 Depth=1
	s_wait_alu 0xfffe
	s_or_saveexec_b32 s1, s1
	v_mov_b32_e32 v194, 0x7f800001
	s_wait_alu 0xfffe
	s_xor_b32 exec_lo, exec_lo, s1
	s_cbranch_execnz .LBB7_1492
.LBB7_468:                              ;   in Loop: Header=BB7_62 Depth=1
	s_or_b32 exec_lo, exec_lo, s1
	s_and_saveexec_b32 s1, s0
	s_cbranch_execz .LBB7_470
.LBB7_469:                              ;   in Loop: Header=BB7_62 Depth=1
	v_and_b32_e32 v194, 7, v196
	v_lshrrev_b16 v208, 3, v196
	v_lshrrev_b16 v196, 7, v196
	s_delay_alu instid0(VALU_DEP_3) | instskip(NEXT) | instid1(VALU_DEP_3)
	v_clz_i32_u32_e32 v198, v194
	v_and_b32_e32 v208, 15, v208
	s_delay_alu instid0(VALU_DEP_3) | instskip(NEXT) | instid1(VALU_DEP_3)
	v_lshlrev_b32_e32 v196, 31, v196
	v_min_u32_e32 v198, 32, v198
	s_delay_alu instid0(VALU_DEP_3) | instskip(NEXT) | instid1(VALU_DEP_2)
	v_cmp_eq_u16_e64 vcc_lo, 0, v208
	v_subrev_nc_u32_e32 v199, 28, v198
	v_sub_nc_u32_e32 v198, 29, v198
	s_delay_alu instid0(VALU_DEP_2) | instskip(SKIP_1) | instid1(VALU_DEP_1)
	v_lshlrev_b32_e32 v199, v199, v194
	s_wait_alu 0xfffd
	v_dual_cndmask_b32 v198, v208, v198 :: v_dual_and_b32 v199, 7, v199
	s_delay_alu instid0(VALU_DEP_1) | instskip(NEXT) | instid1(VALU_DEP_2)
	v_lshl_add_u32 v198, v198, 23, 0x3b800000
	v_cndmask_b32_e32 v194, v194, v199, vcc_lo
	s_delay_alu instid0(VALU_DEP_1) | instskip(NEXT) | instid1(VALU_DEP_1)
	v_lshlrev_b32_e32 v194, 20, v194
	v_or3_b32 v194, v196, v198, v194
.LBB7_470:                              ;   in Loop: Header=BB7_62 Depth=1
	s_wait_alu 0xfffe
	s_or_b32 exec_lo, exec_lo, s1
	s_mov_b32 s0, 0
	s_mov_b32 s1, exec_lo
	v_cmpx_lt_i16_e64 0x7f, v197
	s_wait_alu 0xfffe
	s_xor_b32 s1, exec_lo, s1
	s_cbranch_execnz .LBB7_1493
; %bb.471:                              ;   in Loop: Header=BB7_62 Depth=1
	s_wait_alu 0xfffe
	s_or_saveexec_b32 s1, s1
	v_mov_b32_e32 v196, 0x7f800001
	s_wait_alu 0xfffe
	s_xor_b32 exec_lo, exec_lo, s1
	s_cbranch_execnz .LBB7_1496
.LBB7_472:                              ;   in Loop: Header=BB7_62 Depth=1
	s_or_b32 exec_lo, exec_lo, s1
	s_and_saveexec_b32 s1, s0
	s_cbranch_execz .LBB7_474
.LBB7_473:                              ;   in Loop: Header=BB7_62 Depth=1
	v_and_b32_e32 v196, 7, v197
	v_lshrrev_b16 v208, 3, v197
	v_lshrrev_b16 v197, 7, v197
	s_delay_alu instid0(VALU_DEP_3) | instskip(NEXT) | instid1(VALU_DEP_3)
	v_clz_i32_u32_e32 v198, v196
	v_and_b32_e32 v208, 15, v208
	s_delay_alu instid0(VALU_DEP_3) | instskip(NEXT) | instid1(VALU_DEP_3)
	v_lshlrev_b32_e32 v197, 31, v197
	v_min_u32_e32 v198, 32, v198
	s_delay_alu instid0(VALU_DEP_3) | instskip(NEXT) | instid1(VALU_DEP_2)
	v_cmp_eq_u16_e64 vcc_lo, 0, v208
	v_subrev_nc_u32_e32 v199, 28, v198
	v_sub_nc_u32_e32 v198, 29, v198
	s_wait_alu 0xfffd
	s_delay_alu instid0(VALU_DEP_1) | instskip(NEXT) | instid1(VALU_DEP_1)
	v_dual_cndmask_b32 v198, v208, v198 :: v_dual_lshlrev_b32 v199, v199, v196
	v_and_b32_e32 v199, 7, v199
	s_delay_alu instid0(VALU_DEP_2) | instskip(NEXT) | instid1(VALU_DEP_2)
	v_lshl_add_u32 v198, v198, 23, 0x3b800000
	v_cndmask_b32_e32 v196, v196, v199, vcc_lo
	s_delay_alu instid0(VALU_DEP_1) | instskip(NEXT) | instid1(VALU_DEP_1)
	v_lshlrev_b32_e32 v196, 20, v196
	v_or3_b32 v196, v197, v198, v196
.LBB7_474:                              ;   in Loop: Header=BB7_62 Depth=1
	s_wait_alu 0xfffe
	s_or_b32 exec_lo, exec_lo, s1
	v_and_b32_e32 v198, 0xff, v98
	s_mov_b32 s0, 0
	s_mov_b32 s1, exec_lo
	s_delay_alu instid0(VALU_DEP_1)
	v_cmpx_lt_i16_e64 0x7f, v198
	s_wait_alu 0xfffe
	s_xor_b32 s1, exec_lo, s1
	s_cbranch_execnz .LBB7_1497
; %bb.475:                              ;   in Loop: Header=BB7_62 Depth=1
	s_wait_alu 0xfffe
	s_or_saveexec_b32 s1, s1
	v_mov_b32_e32 v197, 0x7f800001
	s_wait_alu 0xfffe
	s_xor_b32 exec_lo, exec_lo, s1
	s_cbranch_execnz .LBB7_1500
.LBB7_476:                              ;   in Loop: Header=BB7_62 Depth=1
	s_or_b32 exec_lo, exec_lo, s1
	s_and_saveexec_b32 s1, s0
	s_cbranch_execz .LBB7_478
.LBB7_477:                              ;   in Loop: Header=BB7_62 Depth=1
	v_and_b32_e32 v197, 7, v98
	v_lshrrev_b16 v208, 3, v98
	v_lshrrev_b16 v98, 7, v98
	s_delay_alu instid0(VALU_DEP_3) | instskip(NEXT) | instid1(VALU_DEP_3)
	v_clz_i32_u32_e32 v198, v197
	v_and_b32_e32 v208, 15, v208
	s_delay_alu instid0(VALU_DEP_3) | instskip(NEXT) | instid1(VALU_DEP_3)
	v_lshlrev_b32_e32 v98, 31, v98
	v_min_u32_e32 v198, 32, v198
	s_delay_alu instid0(VALU_DEP_3) | instskip(NEXT) | instid1(VALU_DEP_2)
	v_cmp_eq_u16_e64 vcc_lo, 0, v208
	v_subrev_nc_u32_e32 v199, 28, v198
	v_sub_nc_u32_e32 v198, 29, v198
	s_wait_alu 0xfffd
	s_delay_alu instid0(VALU_DEP_1) | instskip(NEXT) | instid1(VALU_DEP_1)
	v_dual_cndmask_b32 v198, v208, v198 :: v_dual_lshlrev_b32 v199, v199, v197
	v_and_b32_e32 v199, 7, v199
	s_delay_alu instid0(VALU_DEP_2) | instskip(NEXT) | instid1(VALU_DEP_2)
	v_lshl_add_u32 v198, v198, 23, 0x3b800000
	v_cndmask_b32_e32 v197, v197, v199, vcc_lo
	s_delay_alu instid0(VALU_DEP_1) | instskip(NEXT) | instid1(VALU_DEP_1)
	v_lshlrev_b32_e32 v197, 20, v197
	v_or3_b32 v197, v98, v198, v197
.LBB7_478:                              ;   in Loop: Header=BB7_62 Depth=1
	s_wait_alu 0xfffe
	s_or_b32 exec_lo, exec_lo, s1
	v_and_b32_e32 v198, 0xff, v195
	s_mov_b32 s0, 0
	s_mov_b32 s1, exec_lo
	s_delay_alu instid0(VALU_DEP_1)
	v_cmpx_lt_i16_e64 0x7f, v198
	s_wait_alu 0xfffe
	s_xor_b32 s1, exec_lo, s1
	s_cbranch_execnz .LBB7_1501
; %bb.479:                              ;   in Loop: Header=BB7_62 Depth=1
	s_wait_alu 0xfffe
	s_or_saveexec_b32 s1, s1
	v_mov_b32_e32 v98, 0x7f800001
	s_wait_alu 0xfffe
	s_xor_b32 exec_lo, exec_lo, s1
	s_cbranch_execnz .LBB7_1504
.LBB7_480:                              ;   in Loop: Header=BB7_62 Depth=1
	s_or_b32 exec_lo, exec_lo, s1
	s_and_saveexec_b32 s1, s0
	s_cbranch_execz .LBB7_482
.LBB7_481:                              ;   in Loop: Header=BB7_62 Depth=1
	v_and_b32_e32 v98, 7, v195
	v_lshrrev_b16 v208, 3, v195
	v_lshrrev_b16 v195, 7, v195
	s_delay_alu instid0(VALU_DEP_3) | instskip(NEXT) | instid1(VALU_DEP_3)
	v_clz_i32_u32_e32 v198, v98
	v_and_b32_e32 v208, 15, v208
	s_delay_alu instid0(VALU_DEP_3) | instskip(NEXT) | instid1(VALU_DEP_3)
	v_lshlrev_b32_e32 v195, 31, v195
	v_min_u32_e32 v198, 32, v198
	s_delay_alu instid0(VALU_DEP_3) | instskip(NEXT) | instid1(VALU_DEP_2)
	v_cmp_eq_u16_e64 vcc_lo, 0, v208
	v_subrev_nc_u32_e32 v199, 28, v198
	v_sub_nc_u32_e32 v198, 29, v198
	s_delay_alu instid0(VALU_DEP_2) | instskip(SKIP_1) | instid1(VALU_DEP_1)
	v_lshlrev_b32_e32 v199, v199, v98
	s_wait_alu 0xfffd
	v_dual_cndmask_b32 v198, v208, v198 :: v_dual_and_b32 v199, 7, v199
	s_delay_alu instid0(VALU_DEP_1) | instskip(NEXT) | instid1(VALU_DEP_2)
	v_lshl_add_u32 v198, v198, 23, 0x3b800000
	v_cndmask_b32_e32 v98, v98, v199, vcc_lo
	s_delay_alu instid0(VALU_DEP_1) | instskip(NEXT) | instid1(VALU_DEP_1)
	v_lshlrev_b32_e32 v98, 20, v98
	v_or3_b32 v98, v195, v198, v98
.LBB7_482:                              ;   in Loop: Header=BB7_62 Depth=1
	s_wait_alu 0xfffe
	s_or_b32 exec_lo, exec_lo, s1
	v_and_b32_e32 v198, 0xff, v193
	s_mov_b32 s0, 0
	s_mov_b32 s1, exec_lo
	s_delay_alu instid0(VALU_DEP_1)
	v_cmpx_lt_i16_e64 0x7f, v198
	s_wait_alu 0xfffe
	s_xor_b32 s1, exec_lo, s1
	s_cbranch_execnz .LBB7_1505
; %bb.483:                              ;   in Loop: Header=BB7_62 Depth=1
	s_wait_alu 0xfffe
	s_or_saveexec_b32 s1, s1
	v_mov_b32_e32 v195, 0x7f800001
	s_wait_alu 0xfffe
	s_xor_b32 exec_lo, exec_lo, s1
	s_cbranch_execnz .LBB7_1508
.LBB7_484:                              ;   in Loop: Header=BB7_62 Depth=1
	s_or_b32 exec_lo, exec_lo, s1
	s_and_saveexec_b32 s1, s0
	s_cbranch_execz .LBB7_486
.LBB7_485:                              ;   in Loop: Header=BB7_62 Depth=1
	v_lshrrev_b16 v208, 3, v193
	s_delay_alu instid0(VALU_DEP_1) | instskip(NEXT) | instid1(VALU_DEP_1)
	v_and_b32_e32 v208, 15, v208
	v_cmp_eq_u16_e64 vcc_lo, 0, v208
	v_and_b32_e32 v195, 7, v193
	v_lshrrev_b16 v193, 7, v193
	s_delay_alu instid0(VALU_DEP_2) | instskip(NEXT) | instid1(VALU_DEP_2)
	v_clz_i32_u32_e32 v198, v195
	v_lshlrev_b32_e32 v193, 31, v193
	s_delay_alu instid0(VALU_DEP_2) | instskip(NEXT) | instid1(VALU_DEP_1)
	v_min_u32_e32 v198, 32, v198
	v_subrev_nc_u32_e32 v199, 28, v198
	v_sub_nc_u32_e32 v198, 29, v198
	s_wait_alu 0xfffd
	s_delay_alu instid0(VALU_DEP_1) | instskip(NEXT) | instid1(VALU_DEP_1)
	v_dual_cndmask_b32 v198, v208, v198 :: v_dual_lshlrev_b32 v199, v199, v195
	v_lshl_add_u32 v198, v198, 23, 0x3b800000
	s_delay_alu instid0(VALU_DEP_2) | instskip(NEXT) | instid1(VALU_DEP_1)
	v_and_b32_e32 v199, 7, v199
	v_cndmask_b32_e32 v195, v195, v199, vcc_lo
	s_delay_alu instid0(VALU_DEP_1) | instskip(NEXT) | instid1(VALU_DEP_1)
	v_lshlrev_b32_e32 v195, 20, v195
	v_or3_b32 v195, v193, v198, v195
.LBB7_486:                              ;   in Loop: Header=BB7_62 Depth=1
	s_wait_alu 0xfffe
	s_or_b32 exec_lo, exec_lo, s1
	s_mov_b32 s0, 0
	s_mov_b32 s1, exec_lo
	v_cmpx_lt_i16_e64 0x7f, v192
	s_wait_alu 0xfffe
	s_xor_b32 s1, exec_lo, s1
	s_cbranch_execnz .LBB7_1509
; %bb.487:                              ;   in Loop: Header=BB7_62 Depth=1
	s_wait_alu 0xfffe
	s_or_saveexec_b32 s1, s1
	v_mov_b32_e32 v193, 0x7f800001
	s_wait_alu 0xfffe
	s_xor_b32 exec_lo, exec_lo, s1
	s_cbranch_execnz .LBB7_1512
.LBB7_488:                              ;   in Loop: Header=BB7_62 Depth=1
	s_or_b32 exec_lo, exec_lo, s1
	s_and_saveexec_b32 s1, s0
	s_cbranch_execz .LBB7_490
.LBB7_489:                              ;   in Loop: Header=BB7_62 Depth=1
	v_lshrrev_b16 v208, 3, v192
	s_delay_alu instid0(VALU_DEP_1) | instskip(NEXT) | instid1(VALU_DEP_1)
	v_and_b32_e32 v208, 15, v208
	v_cmp_eq_u16_e64 vcc_lo, 0, v208
	v_and_b32_e32 v193, 7, v192
	v_lshrrev_b16 v192, 7, v192
	s_delay_alu instid0(VALU_DEP_2) | instskip(NEXT) | instid1(VALU_DEP_2)
	v_clz_i32_u32_e32 v198, v193
	v_lshlrev_b32_e32 v192, 31, v192
	s_delay_alu instid0(VALU_DEP_2) | instskip(NEXT) | instid1(VALU_DEP_1)
	v_min_u32_e32 v198, 32, v198
	v_subrev_nc_u32_e32 v199, 28, v198
	v_sub_nc_u32_e32 v198, 29, v198
	s_wait_alu 0xfffd
	s_delay_alu instid0(VALU_DEP_1) | instskip(NEXT) | instid1(VALU_DEP_1)
	v_dual_cndmask_b32 v198, v208, v198 :: v_dual_lshlrev_b32 v199, v199, v193
	v_lshl_add_u32 v198, v198, 23, 0x3b800000
	s_delay_alu instid0(VALU_DEP_2) | instskip(NEXT) | instid1(VALU_DEP_1)
	v_and_b32_e32 v199, 7, v199
	v_cndmask_b32_e32 v193, v193, v199, vcc_lo
	s_delay_alu instid0(VALU_DEP_1) | instskip(NEXT) | instid1(VALU_DEP_1)
	v_lshlrev_b32_e32 v193, 20, v193
	v_or3_b32 v193, v192, v198, v193
.LBB7_490:                              ;   in Loop: Header=BB7_62 Depth=1
	s_wait_alu 0xfffe
	s_or_b32 exec_lo, exec_lo, s1
	v_and_b32_e32 v198, 0xff, v99
	s_mov_b32 s0, 0
	s_mov_b32 s1, exec_lo
	s_delay_alu instid0(VALU_DEP_1)
	v_cmpx_lt_i16_e64 0x7f, v198
	s_wait_alu 0xfffe
	s_xor_b32 s1, exec_lo, s1
	s_cbranch_execnz .LBB7_1513
; %bb.491:                              ;   in Loop: Header=BB7_62 Depth=1
	s_wait_alu 0xfffe
	s_or_saveexec_b32 s1, s1
	v_mov_b32_e32 v192, 0x7f800001
	s_wait_alu 0xfffe
	s_xor_b32 exec_lo, exec_lo, s1
	s_cbranch_execnz .LBB7_1516
.LBB7_492:                              ;   in Loop: Header=BB7_62 Depth=1
	s_or_b32 exec_lo, exec_lo, s1
	s_and_saveexec_b32 s1, s0
	s_cbranch_execz .LBB7_494
.LBB7_493:                              ;   in Loop: Header=BB7_62 Depth=1
	v_and_b32_e32 v192, 7, v99
	v_lshrrev_b16 v208, 3, v99
	v_lshrrev_b16 v99, 7, v99
	s_delay_alu instid0(VALU_DEP_3) | instskip(NEXT) | instid1(VALU_DEP_3)
	v_clz_i32_u32_e32 v198, v192
	v_and_b32_e32 v208, 15, v208
	s_delay_alu instid0(VALU_DEP_3) | instskip(NEXT) | instid1(VALU_DEP_3)
	v_lshlrev_b32_e32 v99, 31, v99
	v_min_u32_e32 v198, 32, v198
	s_delay_alu instid0(VALU_DEP_3) | instskip(NEXT) | instid1(VALU_DEP_2)
	v_cmp_eq_u16_e64 vcc_lo, 0, v208
	v_subrev_nc_u32_e32 v199, 28, v198
	v_sub_nc_u32_e32 v198, 29, v198
	s_wait_alu 0xfffd
	s_delay_alu instid0(VALU_DEP_1) | instskip(NEXT) | instid1(VALU_DEP_1)
	v_dual_cndmask_b32 v198, v208, v198 :: v_dual_lshlrev_b32 v199, v199, v192
	v_and_b32_e32 v199, 7, v199
	s_delay_alu instid0(VALU_DEP_2) | instskip(NEXT) | instid1(VALU_DEP_2)
	v_lshl_add_u32 v198, v198, 23, 0x3b800000
	v_cndmask_b32_e32 v192, v192, v199, vcc_lo
	s_delay_alu instid0(VALU_DEP_1) | instskip(NEXT) | instid1(VALU_DEP_1)
	v_lshlrev_b32_e32 v192, 20, v192
	v_or3_b32 v192, v99, v198, v192
.LBB7_494:                              ;   in Loop: Header=BB7_62 Depth=1
	s_wait_alu 0xfffe
	s_or_b32 exec_lo, exec_lo, s1
	v_and_b32_e32 v198, 0xff, v129
	s_mov_b32 s0, 0
	s_mov_b32 s1, exec_lo
	s_delay_alu instid0(VALU_DEP_1)
	v_cmpx_lt_i16_e64 0x7f, v198
	s_wait_alu 0xfffe
	s_xor_b32 s1, exec_lo, s1
	s_cbranch_execnz .LBB7_1517
; %bb.495:                              ;   in Loop: Header=BB7_62 Depth=1
	s_wait_alu 0xfffe
	s_or_saveexec_b32 s1, s1
	v_mov_b32_e32 v99, 0x7f800001
	s_wait_alu 0xfffe
	s_xor_b32 exec_lo, exec_lo, s1
	s_cbranch_execnz .LBB7_1520
.LBB7_496:                              ;   in Loop: Header=BB7_62 Depth=1
	s_or_b32 exec_lo, exec_lo, s1
	s_and_saveexec_b32 s1, s0
	s_cbranch_execz .LBB7_498
.LBB7_497:                              ;   in Loop: Header=BB7_62 Depth=1
	v_lshrrev_b16 v208, 3, v129
	s_delay_alu instid0(VALU_DEP_1) | instskip(NEXT) | instid1(VALU_DEP_1)
	v_and_b32_e32 v208, 15, v208
	v_cmp_eq_u16_e64 vcc_lo, 0, v208
	v_and_b32_e32 v99, 7, v129
	v_lshrrev_b16 v129, 7, v129
	s_delay_alu instid0(VALU_DEP_2) | instskip(NEXT) | instid1(VALU_DEP_2)
	v_clz_i32_u32_e32 v198, v99
	v_lshlrev_b32_e32 v129, 31, v129
	s_delay_alu instid0(VALU_DEP_2) | instskip(NEXT) | instid1(VALU_DEP_1)
	v_min_u32_e32 v198, 32, v198
	v_subrev_nc_u32_e32 v199, 28, v198
	v_sub_nc_u32_e32 v198, 29, v198
	s_wait_alu 0xfffd
	s_delay_alu instid0(VALU_DEP_1) | instskip(NEXT) | instid1(VALU_DEP_1)
	v_dual_cndmask_b32 v198, v208, v198 :: v_dual_lshlrev_b32 v199, v199, v99
	v_lshl_add_u32 v198, v198, 23, 0x3b800000
	s_delay_alu instid0(VALU_DEP_2) | instskip(NEXT) | instid1(VALU_DEP_1)
	v_and_b32_e32 v199, 7, v199
	v_cndmask_b32_e32 v99, v99, v199, vcc_lo
	s_delay_alu instid0(VALU_DEP_1) | instskip(NEXT) | instid1(VALU_DEP_1)
	v_lshlrev_b32_e32 v99, 20, v99
	v_or3_b32 v99, v129, v198, v99
.LBB7_498:                              ;   in Loop: Header=BB7_62 Depth=1
	s_wait_alu 0xfffe
	s_or_b32 exec_lo, exec_lo, s1
	v_and_b32_e32 v198, 0xff, v119
	s_mov_b32 s0, 0
	s_mov_b32 s1, exec_lo
	s_delay_alu instid0(VALU_DEP_1)
	v_cmpx_lt_i16_e64 0x7f, v198
	s_wait_alu 0xfffe
	s_xor_b32 s1, exec_lo, s1
	s_cbranch_execnz .LBB7_1521
; %bb.499:                              ;   in Loop: Header=BB7_62 Depth=1
	s_wait_alu 0xfffe
	s_or_saveexec_b32 s1, s1
	v_mov_b32_e32 v129, 0x7f800001
	s_wait_alu 0xfffe
	s_xor_b32 exec_lo, exec_lo, s1
	s_cbranch_execnz .LBB7_1524
.LBB7_500:                              ;   in Loop: Header=BB7_62 Depth=1
	s_or_b32 exec_lo, exec_lo, s1
	s_and_saveexec_b32 s1, s0
	s_cbranch_execz .LBB7_502
.LBB7_501:                              ;   in Loop: Header=BB7_62 Depth=1
	v_lshrrev_b16 v208, 3, v119
	s_delay_alu instid0(VALU_DEP_1) | instskip(NEXT) | instid1(VALU_DEP_1)
	v_and_b32_e32 v208, 15, v208
	v_cmp_eq_u16_e64 vcc_lo, 0, v208
	v_and_b32_e32 v129, 7, v119
	v_lshrrev_b16 v119, 7, v119
	s_delay_alu instid0(VALU_DEP_2) | instskip(NEXT) | instid1(VALU_DEP_2)
	v_clz_i32_u32_e32 v198, v129
	v_lshlrev_b32_e32 v119, 31, v119
	s_delay_alu instid0(VALU_DEP_2) | instskip(NEXT) | instid1(VALU_DEP_1)
	v_min_u32_e32 v198, 32, v198
	v_subrev_nc_u32_e32 v199, 28, v198
	v_sub_nc_u32_e32 v198, 29, v198
	s_wait_alu 0xfffd
	s_delay_alu instid0(VALU_DEP_1) | instskip(NEXT) | instid1(VALU_DEP_1)
	v_dual_cndmask_b32 v198, v208, v198 :: v_dual_lshlrev_b32 v199, v199, v129
	v_lshl_add_u32 v198, v198, 23, 0x3b800000
	s_delay_alu instid0(VALU_DEP_2) | instskip(NEXT) | instid1(VALU_DEP_1)
	v_and_b32_e32 v199, 7, v199
	v_cndmask_b32_e32 v129, v129, v199, vcc_lo
	s_delay_alu instid0(VALU_DEP_1) | instskip(NEXT) | instid1(VALU_DEP_1)
	v_lshlrev_b32_e32 v129, 20, v129
	v_or3_b32 v129, v119, v198, v129
.LBB7_502:                              ;   in Loop: Header=BB7_62 Depth=1
	s_wait_alu 0xfffe
	s_or_b32 exec_lo, exec_lo, s1
	s_mov_b32 s0, 0
	s_mov_b32 s1, exec_lo
	v_cmpx_lt_i16_e32 0x7f, v118
	s_wait_alu 0xfffe
	s_xor_b32 s1, exec_lo, s1
	s_cbranch_execnz .LBB7_1525
; %bb.503:                              ;   in Loop: Header=BB7_62 Depth=1
	s_wait_alu 0xfffe
	s_or_saveexec_b32 s1, s1
	v_mov_b32_e32 v119, 0x7f800001
	s_wait_alu 0xfffe
	s_xor_b32 exec_lo, exec_lo, s1
	s_cbranch_execnz .LBB7_1528
.LBB7_504:                              ;   in Loop: Header=BB7_62 Depth=1
	s_or_b32 exec_lo, exec_lo, s1
	s_and_saveexec_b32 s1, s0
	s_cbranch_execz .LBB7_506
.LBB7_505:                              ;   in Loop: Header=BB7_62 Depth=1
	v_and_b32_e32 v119, 7, v118
	v_lshrrev_b16 v208, 3, v118
	v_lshrrev_b16 v118, 7, v118
	s_delay_alu instid0(VALU_DEP_3) | instskip(NEXT) | instid1(VALU_DEP_3)
	v_clz_i32_u32_e32 v198, v119
	v_and_b32_e32 v208, 15, v208
	s_delay_alu instid0(VALU_DEP_3) | instskip(NEXT) | instid1(VALU_DEP_3)
	v_lshlrev_b32_e32 v118, 31, v118
	v_min_u32_e32 v198, 32, v198
	s_delay_alu instid0(VALU_DEP_3) | instskip(NEXT) | instid1(VALU_DEP_2)
	v_cmp_eq_u16_e64 vcc_lo, 0, v208
	v_subrev_nc_u32_e32 v199, 28, v198
	v_sub_nc_u32_e32 v198, 29, v198
	s_wait_alu 0xfffd
	s_delay_alu instid0(VALU_DEP_1) | instskip(NEXT) | instid1(VALU_DEP_1)
	v_dual_cndmask_b32 v198, v208, v198 :: v_dual_lshlrev_b32 v199, v199, v119
	v_and_b32_e32 v199, 7, v199
	s_delay_alu instid0(VALU_DEP_2) | instskip(NEXT) | instid1(VALU_DEP_2)
	v_lshl_add_u32 v198, v198, 23, 0x3b800000
	v_cndmask_b32_e32 v119, v119, v199, vcc_lo
	s_delay_alu instid0(VALU_DEP_1) | instskip(NEXT) | instid1(VALU_DEP_1)
	v_lshlrev_b32_e32 v119, 20, v119
	v_or3_b32 v119, v118, v198, v119
.LBB7_506:                              ;   in Loop: Header=BB7_62 Depth=1
	s_wait_alu 0xfffe
	s_or_b32 exec_lo, exec_lo, s1
	v_cvt_pk_rtz_f16_f32_e32 v208, v117, v96
	v_add_nc_u32_e32 v96, 0x60, v103
	v_cvt_pk_rtz_f16_f32_e32 v210, v131, v97
	v_cvt_pk_rtz_f16_f32_e32 v211, v194, v196
	;; [unrolled: 1-line block ×4, first 2 shown]
	v_ashrrev_i32_e32 v97, 31, v96
	v_cvt_pk_rtz_f16_f32_e32 v198, v192, v99
	v_cvt_pk_rtz_f16_f32_e32 v197, v195, v193
	;; [unrolled: 1-line block ×3, first 2 shown]
	s_clause 0x1
	scratch_store_b128 off, v[208:211], s33 offset:160
	scratch_store_b128 off, v[196:199], s33 offset:176
	v_lshrrev_b32_e32 v97, 28, v97
	s_mov_b32 s0, 0
	s_mov_b32 s1, exec_lo
	s_delay_alu instid0(VALU_DEP_1) | instskip(NEXT) | instid1(VALU_DEP_1)
	v_add_nc_u32_e32 v97, v96, v97
	v_lshrrev_b32_e32 v98, 4, v97
	v_and_b32_e32 v97, -16, v97
	s_delay_alu instid0(VALU_DEP_2) | instskip(NEXT) | instid1(VALU_DEP_2)
	v_add_nc_u32_e32 v98, v98, v114
	v_sub_nc_u32_e32 v96, v96, v97
	s_delay_alu instid0(VALU_DEP_2) | instskip(NEXT) | instid1(VALU_DEP_1)
	v_xor_b32_e32 v98, v98, v115
	v_sub_nc_u32_e32 v98, v98, v112
	s_delay_alu instid0(VALU_DEP_1) | instskip(NEXT) | instid1(VALU_DEP_1)
	v_lshlrev_b32_e32 v97, 4, v98
	v_add3_u32 v96, v96, v116, v97
	s_delay_alu instid0(VALU_DEP_1) | instskip(SKIP_2) | instid1(VALU_DEP_2)
	v_ashrrev_i32_e32 v97, 31, v96
	v_add_co_u32 v96, vcc_lo, v100, v96
	s_wait_alu 0xfffd
	v_add_co_ci_u32_e64 v97, null, v101, v97, vcc_lo
	flat_load_b128 v[96:99], v[96:97]
	s_wait_loadcnt_dscnt 0x0
	v_and_b32_e32 v101, 0xff, v96
	s_delay_alu instid0(VALU_DEP_1)
	v_cmpx_lt_i16_e32 0x7f, v101
	s_wait_alu 0xfffe
	s_xor_b32 s1, exec_lo, s1
	s_cbranch_execnz .LBB7_1529
; %bb.507:                              ;   in Loop: Header=BB7_62 Depth=1
	s_wait_alu 0xfffe
	s_or_saveexec_b32 s1, s1
	v_mov_b32_e32 v100, 0x7f800001
	s_wait_alu 0xfffe
	s_xor_b32 exec_lo, exec_lo, s1
	s_cbranch_execnz .LBB7_1532
.LBB7_508:                              ;   in Loop: Header=BB7_62 Depth=1
	s_or_b32 exec_lo, exec_lo, s1
	s_and_saveexec_b32 s1, s0
	s_cbranch_execz .LBB7_510
.LBB7_509:                              ;   in Loop: Header=BB7_62 Depth=1
	v_lshrrev_b16 v117, 3, v96
	v_lshrrev_b16 v118, 7, v96
	s_delay_alu instid0(VALU_DEP_2) | instskip(NEXT) | instid1(VALU_DEP_1)
	v_and_b32_e32 v117, 15, v117
	v_cmp_eq_u16_e32 vcc_lo, 0, v117
	v_and_b32_e32 v100, 7, v96
	s_delay_alu instid0(VALU_DEP_1) | instskip(NEXT) | instid1(VALU_DEP_1)
	v_clz_i32_u32_e32 v101, v100
	v_min_u32_e32 v101, 32, v101
	s_delay_alu instid0(VALU_DEP_1) | instskip(SKIP_2) | instid1(VALU_DEP_1)
	v_subrev_nc_u32_e32 v116, 28, v101
	v_sub_nc_u32_e32 v101, 29, v101
	s_wait_alu 0xfffd
	v_dual_cndmask_b32 v101, v117, v101 :: v_dual_lshlrev_b32 v116, v116, v100
	s_delay_alu instid0(VALU_DEP_1) | instskip(NEXT) | instid1(VALU_DEP_2)
	v_lshl_add_u32 v101, v101, 23, 0x3b800000
	v_and_b32_e32 v116, 7, v116
	s_delay_alu instid0(VALU_DEP_1) | instskip(SKIP_1) | instid1(VALU_DEP_2)
	v_cndmask_b32_e32 v100, v100, v116, vcc_lo
	v_lshlrev_b32_e32 v116, 31, v118
	v_lshlrev_b32_e32 v100, 20, v100
	s_delay_alu instid0(VALU_DEP_1)
	v_or3_b32 v100, v116, v101, v100
.LBB7_510:                              ;   in Loop: Header=BB7_62 Depth=1
	s_wait_alu 0xfffe
	s_or_b32 exec_lo, exec_lo, s1
	v_lshrrev_b32_e32 v117, 8, v96
	v_lshrrev_b32_e32 v101, 24, v99
	;; [unrolled: 1-line block ×12, first 2 shown]
	v_and_b32_e32 v195, 0xff, v117
	s_mov_b32 s0, 0
	s_mov_b32 s1, exec_lo
	s_delay_alu instid0(VALU_DEP_1)
	v_cmpx_lt_i16_e64 0x7f, v195
	s_wait_alu 0xfffe
	s_xor_b32 s1, exec_lo, s1
	s_cbranch_execnz .LBB7_1533
; %bb.511:                              ;   in Loop: Header=BB7_62 Depth=1
	s_wait_alu 0xfffe
	s_or_saveexec_b32 s1, s1
	v_mov_b32_e32 v96, 0x7f800001
	s_wait_alu 0xfffe
	s_xor_b32 exec_lo, exec_lo, s1
	s_cbranch_execnz .LBB7_1536
.LBB7_512:                              ;   in Loop: Header=BB7_62 Depth=1
	s_or_b32 exec_lo, exec_lo, s1
	s_and_saveexec_b32 s1, s0
	s_cbranch_execz .LBB7_514
.LBB7_513:                              ;   in Loop: Header=BB7_62 Depth=1
	v_lshrrev_b16 v197, 3, v117
	s_delay_alu instid0(VALU_DEP_1) | instskip(NEXT) | instid1(VALU_DEP_1)
	v_and_b32_e32 v197, 15, v197
	v_cmp_eq_u16_e64 vcc_lo, 0, v197
	v_and_b32_e32 v96, 7, v117
	v_lshrrev_b16 v117, 7, v117
	s_delay_alu instid0(VALU_DEP_2) | instskip(NEXT) | instid1(VALU_DEP_2)
	v_clz_i32_u32_e32 v195, v96
	v_lshlrev_b32_e32 v117, 31, v117
	s_delay_alu instid0(VALU_DEP_2) | instskip(NEXT) | instid1(VALU_DEP_1)
	v_min_u32_e32 v195, 32, v195
	v_subrev_nc_u32_e32 v196, 28, v195
	v_sub_nc_u32_e32 v195, 29, v195
	s_wait_alu 0xfffd
	s_delay_alu instid0(VALU_DEP_1) | instskip(NEXT) | instid1(VALU_DEP_1)
	v_dual_cndmask_b32 v195, v197, v195 :: v_dual_lshlrev_b32 v196, v196, v96
	v_lshl_add_u32 v195, v195, 23, 0x3b800000
	s_delay_alu instid0(VALU_DEP_2) | instskip(NEXT) | instid1(VALU_DEP_1)
	v_and_b32_e32 v196, 7, v196
	v_cndmask_b32_e32 v96, v96, v196, vcc_lo
	s_delay_alu instid0(VALU_DEP_1) | instskip(NEXT) | instid1(VALU_DEP_1)
	v_lshlrev_b32_e32 v96, 20, v96
	v_or3_b32 v96, v117, v195, v96
.LBB7_514:                              ;   in Loop: Header=BB7_62 Depth=1
	s_wait_alu 0xfffe
	s_or_b32 exec_lo, exec_lo, s1
	v_and_b32_e32 v195, 0xff, v119
	s_mov_b32 s0, 0
	s_mov_b32 s1, exec_lo
	s_delay_alu instid0(VALU_DEP_1)
	v_cmpx_lt_i16_e64 0x7f, v195
	s_wait_alu 0xfffe
	s_xor_b32 s1, exec_lo, s1
	s_cbranch_execnz .LBB7_1537
; %bb.515:                              ;   in Loop: Header=BB7_62 Depth=1
	s_wait_alu 0xfffe
	s_or_saveexec_b32 s1, s1
	v_mov_b32_e32 v117, 0x7f800001
	s_wait_alu 0xfffe
	s_xor_b32 exec_lo, exec_lo, s1
	s_cbranch_execnz .LBB7_1540
.LBB7_516:                              ;   in Loop: Header=BB7_62 Depth=1
	s_or_b32 exec_lo, exec_lo, s1
	s_and_saveexec_b32 s1, s0
	s_cbranch_execz .LBB7_518
.LBB7_517:                              ;   in Loop: Header=BB7_62 Depth=1
	v_and_b32_e32 v117, 7, v119
	v_lshrrev_b16 v197, 3, v119
	v_lshrrev_b16 v119, 7, v119
	s_delay_alu instid0(VALU_DEP_3) | instskip(NEXT) | instid1(VALU_DEP_3)
	v_clz_i32_u32_e32 v195, v117
	v_and_b32_e32 v197, 15, v197
	s_delay_alu instid0(VALU_DEP_3) | instskip(NEXT) | instid1(VALU_DEP_3)
	v_lshlrev_b32_e32 v119, 31, v119
	v_min_u32_e32 v195, 32, v195
	s_delay_alu instid0(VALU_DEP_3) | instskip(NEXT) | instid1(VALU_DEP_2)
	v_cmp_eq_u16_e64 vcc_lo, 0, v197
	v_subrev_nc_u32_e32 v196, 28, v195
	v_sub_nc_u32_e32 v195, 29, v195
	s_wait_alu 0xfffd
	s_delay_alu instid0(VALU_DEP_1) | instskip(NEXT) | instid1(VALU_DEP_1)
	v_dual_cndmask_b32 v195, v197, v195 :: v_dual_lshlrev_b32 v196, v196, v117
	v_and_b32_e32 v196, 7, v196
	s_delay_alu instid0(VALU_DEP_2) | instskip(NEXT) | instid1(VALU_DEP_2)
	v_lshl_add_u32 v195, v195, 23, 0x3b800000
	v_cndmask_b32_e32 v117, v117, v196, vcc_lo
	s_delay_alu instid0(VALU_DEP_1) | instskip(NEXT) | instid1(VALU_DEP_1)
	v_lshlrev_b32_e32 v117, 20, v117
	v_or3_b32 v117, v119, v195, v117
.LBB7_518:                              ;   in Loop: Header=BB7_62 Depth=1
	s_wait_alu 0xfffe
	s_or_b32 exec_lo, exec_lo, s1
	s_mov_b32 s0, 0
	s_mov_b32 s1, exec_lo
	v_cmpx_lt_i16_e64 0x7f, v128
	s_wait_alu 0xfffe
	s_xor_b32 s1, exec_lo, s1
	s_cbranch_execnz .LBB7_1541
; %bb.519:                              ;   in Loop: Header=BB7_62 Depth=1
	s_wait_alu 0xfffe
	s_or_saveexec_b32 s1, s1
	v_mov_b32_e32 v119, 0x7f800001
	s_wait_alu 0xfffe
	s_xor_b32 exec_lo, exec_lo, s1
	s_cbranch_execnz .LBB7_1544
.LBB7_520:                              ;   in Loop: Header=BB7_62 Depth=1
	s_or_b32 exec_lo, exec_lo, s1
	s_and_saveexec_b32 s1, s0
	s_cbranch_execz .LBB7_522
.LBB7_521:                              ;   in Loop: Header=BB7_62 Depth=1
	v_and_b32_e32 v119, 7, v128
	v_lshrrev_b16 v197, 3, v128
	v_lshrrev_b16 v128, 7, v128
	s_delay_alu instid0(VALU_DEP_3) | instskip(NEXT) | instid1(VALU_DEP_3)
	v_clz_i32_u32_e32 v195, v119
	v_and_b32_e32 v197, 15, v197
	s_delay_alu instid0(VALU_DEP_3) | instskip(NEXT) | instid1(VALU_DEP_3)
	v_lshlrev_b32_e32 v128, 31, v128
	v_min_u32_e32 v195, 32, v195
	s_delay_alu instid0(VALU_DEP_3) | instskip(NEXT) | instid1(VALU_DEP_2)
	v_cmp_eq_u16_e64 vcc_lo, 0, v197
	v_subrev_nc_u32_e32 v196, 28, v195
	v_sub_nc_u32_e32 v195, 29, v195
	s_delay_alu instid0(VALU_DEP_2) | instskip(SKIP_1) | instid1(VALU_DEP_1)
	v_lshlrev_b32_e32 v196, v196, v119
	s_wait_alu 0xfffd
	v_dual_cndmask_b32 v195, v197, v195 :: v_dual_and_b32 v196, 7, v196
	s_delay_alu instid0(VALU_DEP_1) | instskip(NEXT) | instid1(VALU_DEP_2)
	v_lshl_add_u32 v195, v195, 23, 0x3b800000
	v_cndmask_b32_e32 v119, v119, v196, vcc_lo
	s_delay_alu instid0(VALU_DEP_1) | instskip(NEXT) | instid1(VALU_DEP_1)
	v_lshlrev_b32_e32 v119, 20, v119
	v_or3_b32 v119, v128, v195, v119
.LBB7_522:                              ;   in Loop: Header=BB7_62 Depth=1
	s_wait_alu 0xfffe
	s_or_b32 exec_lo, exec_lo, s1
	v_and_b32_e32 v195, 0xff, v97
	s_mov_b32 s0, 0
	s_mov_b32 s1, exec_lo
	s_delay_alu instid0(VALU_DEP_1)
	v_cmpx_lt_i16_e64 0x7f, v195
	s_wait_alu 0xfffe
	s_xor_b32 s1, exec_lo, s1
	s_cbranch_execnz .LBB7_1545
; %bb.523:                              ;   in Loop: Header=BB7_62 Depth=1
	s_wait_alu 0xfffe
	s_or_saveexec_b32 s1, s1
	v_mov_b32_e32 v128, 0x7f800001
	s_wait_alu 0xfffe
	s_xor_b32 exec_lo, exec_lo, s1
	s_cbranch_execnz .LBB7_1548
.LBB7_524:                              ;   in Loop: Header=BB7_62 Depth=1
	s_or_b32 exec_lo, exec_lo, s1
	s_and_saveexec_b32 s1, s0
	s_cbranch_execz .LBB7_526
.LBB7_525:                              ;   in Loop: Header=BB7_62 Depth=1
	v_lshrrev_b16 v197, 3, v97
	s_delay_alu instid0(VALU_DEP_1) | instskip(NEXT) | instid1(VALU_DEP_1)
	v_and_b32_e32 v197, 15, v197
	v_cmp_eq_u16_e64 vcc_lo, 0, v197
	v_and_b32_e32 v128, 7, v97
	v_lshrrev_b16 v97, 7, v97
	s_delay_alu instid0(VALU_DEP_2) | instskip(NEXT) | instid1(VALU_DEP_2)
	v_clz_i32_u32_e32 v195, v128
	v_lshlrev_b32_e32 v97, 31, v97
	s_delay_alu instid0(VALU_DEP_2) | instskip(NEXT) | instid1(VALU_DEP_1)
	v_min_u32_e32 v195, 32, v195
	v_subrev_nc_u32_e32 v196, 28, v195
	v_sub_nc_u32_e32 v195, 29, v195
	s_wait_alu 0xfffd
	s_delay_alu instid0(VALU_DEP_1) | instskip(NEXT) | instid1(VALU_DEP_1)
	v_dual_cndmask_b32 v195, v197, v195 :: v_dual_lshlrev_b32 v196, v196, v128
	v_lshl_add_u32 v195, v195, 23, 0x3b800000
	s_delay_alu instid0(VALU_DEP_2) | instskip(NEXT) | instid1(VALU_DEP_1)
	v_and_b32_e32 v196, 7, v196
	v_cndmask_b32_e32 v128, v128, v196, vcc_lo
	s_delay_alu instid0(VALU_DEP_1) | instskip(NEXT) | instid1(VALU_DEP_1)
	v_lshlrev_b32_e32 v128, 20, v128
	v_or3_b32 v128, v97, v195, v128
.LBB7_526:                              ;   in Loop: Header=BB7_62 Depth=1
	s_wait_alu 0xfffe
	s_or_b32 exec_lo, exec_lo, s1
	v_and_b32_e32 v195, 0xff, v131
	s_mov_b32 s0, 0
	s_mov_b32 s1, exec_lo
	s_delay_alu instid0(VALU_DEP_1)
	v_cmpx_lt_i16_e64 0x7f, v195
	s_wait_alu 0xfffe
	s_xor_b32 s1, exec_lo, s1
	s_cbranch_execnz .LBB7_1549
; %bb.527:                              ;   in Loop: Header=BB7_62 Depth=1
	s_wait_alu 0xfffe
	s_or_saveexec_b32 s1, s1
	v_mov_b32_e32 v97, 0x7f800001
	s_wait_alu 0xfffe
	s_xor_b32 exec_lo, exec_lo, s1
	s_cbranch_execnz .LBB7_1552
.LBB7_528:                              ;   in Loop: Header=BB7_62 Depth=1
	s_or_b32 exec_lo, exec_lo, s1
	s_and_saveexec_b32 s1, s0
	s_cbranch_execz .LBB7_530
.LBB7_529:                              ;   in Loop: Header=BB7_62 Depth=1
	v_and_b32_e32 v97, 7, v131
	v_lshrrev_b16 v197, 3, v131
	v_lshrrev_b16 v131, 7, v131
	s_delay_alu instid0(VALU_DEP_3) | instskip(NEXT) | instid1(VALU_DEP_3)
	v_clz_i32_u32_e32 v195, v97
	v_and_b32_e32 v197, 15, v197
	s_delay_alu instid0(VALU_DEP_3) | instskip(NEXT) | instid1(VALU_DEP_3)
	v_lshlrev_b32_e32 v131, 31, v131
	v_min_u32_e32 v195, 32, v195
	s_delay_alu instid0(VALU_DEP_3) | instskip(NEXT) | instid1(VALU_DEP_2)
	v_cmp_eq_u16_e64 vcc_lo, 0, v197
	v_subrev_nc_u32_e32 v196, 28, v195
	v_sub_nc_u32_e32 v195, 29, v195
	s_wait_alu 0xfffd
	s_delay_alu instid0(VALU_DEP_1) | instskip(NEXT) | instid1(VALU_DEP_1)
	v_dual_cndmask_b32 v195, v197, v195 :: v_dual_lshlrev_b32 v196, v196, v97
	v_and_b32_e32 v196, 7, v196
	s_delay_alu instid0(VALU_DEP_2) | instskip(NEXT) | instid1(VALU_DEP_2)
	v_lshl_add_u32 v195, v195, 23, 0x3b800000
	v_cndmask_b32_e32 v97, v97, v196, vcc_lo
	s_delay_alu instid0(VALU_DEP_1) | instskip(NEXT) | instid1(VALU_DEP_1)
	v_lshlrev_b32_e32 v97, 20, v97
	v_or3_b32 v97, v131, v195, v97
.LBB7_530:                              ;   in Loop: Header=BB7_62 Depth=1
	s_wait_alu 0xfffe
	s_or_b32 exec_lo, exec_lo, s1
	v_and_b32_e32 v195, 0xff, v193
	s_mov_b32 s0, 0
	s_mov_b32 s1, exec_lo
	s_delay_alu instid0(VALU_DEP_1)
	v_cmpx_lt_i16_e64 0x7f, v195
	s_wait_alu 0xfffe
	s_xor_b32 s1, exec_lo, s1
	s_cbranch_execnz .LBB7_1553
; %bb.531:                              ;   in Loop: Header=BB7_62 Depth=1
	s_wait_alu 0xfffe
	s_or_saveexec_b32 s1, s1
	v_mov_b32_e32 v131, 0x7f800001
	s_wait_alu 0xfffe
	s_xor_b32 exec_lo, exec_lo, s1
	s_cbranch_execnz .LBB7_1556
.LBB7_532:                              ;   in Loop: Header=BB7_62 Depth=1
	s_or_b32 exec_lo, exec_lo, s1
	s_and_saveexec_b32 s1, s0
	s_cbranch_execz .LBB7_534
.LBB7_533:                              ;   in Loop: Header=BB7_62 Depth=1
	v_and_b32_e32 v131, 7, v193
	v_lshrrev_b16 v197, 3, v193
	v_lshrrev_b16 v193, 7, v193
	s_delay_alu instid0(VALU_DEP_3) | instskip(NEXT) | instid1(VALU_DEP_3)
	v_clz_i32_u32_e32 v195, v131
	v_and_b32_e32 v197, 15, v197
	s_delay_alu instid0(VALU_DEP_3) | instskip(NEXT) | instid1(VALU_DEP_3)
	v_lshlrev_b32_e32 v193, 31, v193
	v_min_u32_e32 v195, 32, v195
	s_delay_alu instid0(VALU_DEP_3) | instskip(NEXT) | instid1(VALU_DEP_2)
	v_cmp_eq_u16_e64 vcc_lo, 0, v197
	v_subrev_nc_u32_e32 v196, 28, v195
	v_sub_nc_u32_e32 v195, 29, v195
	s_delay_alu instid0(VALU_DEP_2) | instskip(SKIP_1) | instid1(VALU_DEP_1)
	v_lshlrev_b32_e32 v196, v196, v131
	s_wait_alu 0xfffd
	v_dual_cndmask_b32 v195, v197, v195 :: v_dual_and_b32 v196, 7, v196
	s_delay_alu instid0(VALU_DEP_1) | instskip(NEXT) | instid1(VALU_DEP_2)
	v_lshl_add_u32 v195, v195, 23, 0x3b800000
	v_cndmask_b32_e32 v131, v131, v196, vcc_lo
	s_delay_alu instid0(VALU_DEP_1) | instskip(NEXT) | instid1(VALU_DEP_1)
	v_lshlrev_b32_e32 v131, 20, v131
	v_or3_b32 v131, v193, v195, v131
.LBB7_534:                              ;   in Loop: Header=BB7_62 Depth=1
	s_wait_alu 0xfffe
	s_or_b32 exec_lo, exec_lo, s1
	s_mov_b32 s0, 0
	s_mov_b32 s1, exec_lo
	v_cmpx_lt_i16_e64 0x7f, v194
	s_wait_alu 0xfffe
	s_xor_b32 s1, exec_lo, s1
	s_cbranch_execnz .LBB7_1557
; %bb.535:                              ;   in Loop: Header=BB7_62 Depth=1
	s_wait_alu 0xfffe
	s_or_saveexec_b32 s1, s1
	v_mov_b32_e32 v193, 0x7f800001
	s_wait_alu 0xfffe
	s_xor_b32 exec_lo, exec_lo, s1
	s_cbranch_execnz .LBB7_1560
.LBB7_536:                              ;   in Loop: Header=BB7_62 Depth=1
	s_or_b32 exec_lo, exec_lo, s1
	s_and_saveexec_b32 s1, s0
	s_cbranch_execz .LBB7_538
.LBB7_537:                              ;   in Loop: Header=BB7_62 Depth=1
	v_and_b32_e32 v193, 7, v194
	v_lshrrev_b16 v197, 3, v194
	v_lshrrev_b16 v194, 7, v194
	s_delay_alu instid0(VALU_DEP_3) | instskip(NEXT) | instid1(VALU_DEP_3)
	v_clz_i32_u32_e32 v195, v193
	v_and_b32_e32 v197, 15, v197
	s_delay_alu instid0(VALU_DEP_3) | instskip(NEXT) | instid1(VALU_DEP_3)
	v_lshlrev_b32_e32 v194, 31, v194
	v_min_u32_e32 v195, 32, v195
	s_delay_alu instid0(VALU_DEP_3) | instskip(NEXT) | instid1(VALU_DEP_2)
	v_cmp_eq_u16_e64 vcc_lo, 0, v197
	v_subrev_nc_u32_e32 v196, 28, v195
	v_sub_nc_u32_e32 v195, 29, v195
	s_wait_alu 0xfffd
	s_delay_alu instid0(VALU_DEP_1) | instskip(NEXT) | instid1(VALU_DEP_1)
	v_dual_cndmask_b32 v195, v197, v195 :: v_dual_lshlrev_b32 v196, v196, v193
	v_and_b32_e32 v196, 7, v196
	s_delay_alu instid0(VALU_DEP_2) | instskip(NEXT) | instid1(VALU_DEP_2)
	v_lshl_add_u32 v195, v195, 23, 0x3b800000
	v_cndmask_b32_e32 v193, v193, v196, vcc_lo
	s_delay_alu instid0(VALU_DEP_1) | instskip(NEXT) | instid1(VALU_DEP_1)
	v_lshlrev_b32_e32 v193, 20, v193
	v_or3_b32 v193, v194, v195, v193
.LBB7_538:                              ;   in Loop: Header=BB7_62 Depth=1
	s_wait_alu 0xfffe
	s_or_b32 exec_lo, exec_lo, s1
	v_and_b32_e32 v195, 0xff, v98
	s_mov_b32 s0, 0
	s_mov_b32 s1, exec_lo
	s_delay_alu instid0(VALU_DEP_1)
	v_cmpx_lt_i16_e64 0x7f, v195
	s_wait_alu 0xfffe
	s_xor_b32 s1, exec_lo, s1
	s_cbranch_execnz .LBB7_1561
; %bb.539:                              ;   in Loop: Header=BB7_62 Depth=1
	s_wait_alu 0xfffe
	s_or_saveexec_b32 s1, s1
	v_mov_b32_e32 v194, 0x7f800001
	s_wait_alu 0xfffe
	s_xor_b32 exec_lo, exec_lo, s1
	s_cbranch_execnz .LBB7_1564
.LBB7_540:                              ;   in Loop: Header=BB7_62 Depth=1
	s_or_b32 exec_lo, exec_lo, s1
	s_and_saveexec_b32 s1, s0
	s_cbranch_execz .LBB7_542
.LBB7_541:                              ;   in Loop: Header=BB7_62 Depth=1
	v_lshrrev_b16 v197, 3, v98
	s_delay_alu instid0(VALU_DEP_1) | instskip(NEXT) | instid1(VALU_DEP_1)
	v_and_b32_e32 v197, 15, v197
	v_cmp_eq_u16_e64 vcc_lo, 0, v197
	v_and_b32_e32 v194, 7, v98
	v_lshrrev_b16 v98, 7, v98
	s_delay_alu instid0(VALU_DEP_2) | instskip(NEXT) | instid1(VALU_DEP_2)
	v_clz_i32_u32_e32 v195, v194
	v_lshlrev_b32_e32 v98, 31, v98
	s_delay_alu instid0(VALU_DEP_2) | instskip(NEXT) | instid1(VALU_DEP_1)
	v_min_u32_e32 v195, 32, v195
	v_subrev_nc_u32_e32 v196, 28, v195
	v_sub_nc_u32_e32 v195, 29, v195
	s_wait_alu 0xfffd
	s_delay_alu instid0(VALU_DEP_1) | instskip(NEXT) | instid1(VALU_DEP_1)
	v_dual_cndmask_b32 v195, v197, v195 :: v_dual_lshlrev_b32 v196, v196, v194
	v_lshl_add_u32 v195, v195, 23, 0x3b800000
	s_delay_alu instid0(VALU_DEP_2) | instskip(NEXT) | instid1(VALU_DEP_1)
	v_and_b32_e32 v196, 7, v196
	v_cndmask_b32_e32 v194, v194, v196, vcc_lo
	s_delay_alu instid0(VALU_DEP_1) | instskip(NEXT) | instid1(VALU_DEP_1)
	v_lshlrev_b32_e32 v194, 20, v194
	v_or3_b32 v194, v98, v195, v194
.LBB7_542:                              ;   in Loop: Header=BB7_62 Depth=1
	s_wait_alu 0xfffe
	s_or_b32 exec_lo, exec_lo, s1
	v_and_b32_e32 v195, 0xff, v192
	s_mov_b32 s0, 0
	s_mov_b32 s1, exec_lo
	s_delay_alu instid0(VALU_DEP_1)
	v_cmpx_lt_i16_e64 0x7f, v195
	s_wait_alu 0xfffe
	s_xor_b32 s1, exec_lo, s1
	s_cbranch_execnz .LBB7_1565
; %bb.543:                              ;   in Loop: Header=BB7_62 Depth=1
	s_wait_alu 0xfffe
	s_or_saveexec_b32 s1, s1
	v_mov_b32_e32 v98, 0x7f800001
	s_wait_alu 0xfffe
	s_xor_b32 exec_lo, exec_lo, s1
	s_cbranch_execnz .LBB7_1568
.LBB7_544:                              ;   in Loop: Header=BB7_62 Depth=1
	s_or_b32 exec_lo, exec_lo, s1
	s_and_saveexec_b32 s1, s0
	s_cbranch_execz .LBB7_546
.LBB7_545:                              ;   in Loop: Header=BB7_62 Depth=1
	v_lshrrev_b16 v197, 3, v192
	s_delay_alu instid0(VALU_DEP_1) | instskip(NEXT) | instid1(VALU_DEP_1)
	v_and_b32_e32 v197, 15, v197
	v_cmp_eq_u16_e64 vcc_lo, 0, v197
	v_and_b32_e32 v98, 7, v192
	v_lshrrev_b16 v192, 7, v192
	s_delay_alu instid0(VALU_DEP_2) | instskip(NEXT) | instid1(VALU_DEP_2)
	v_clz_i32_u32_e32 v195, v98
	v_lshlrev_b32_e32 v192, 31, v192
	s_delay_alu instid0(VALU_DEP_2) | instskip(NEXT) | instid1(VALU_DEP_1)
	v_min_u32_e32 v195, 32, v195
	v_subrev_nc_u32_e32 v196, 28, v195
	v_sub_nc_u32_e32 v195, 29, v195
	s_wait_alu 0xfffd
	s_delay_alu instid0(VALU_DEP_1) | instskip(NEXT) | instid1(VALU_DEP_1)
	v_dual_cndmask_b32 v195, v197, v195 :: v_dual_lshlrev_b32 v196, v196, v98
	v_lshl_add_u32 v195, v195, 23, 0x3b800000
	s_delay_alu instid0(VALU_DEP_2) | instskip(NEXT) | instid1(VALU_DEP_1)
	v_and_b32_e32 v196, 7, v196
	v_cndmask_b32_e32 v98, v98, v196, vcc_lo
	s_delay_alu instid0(VALU_DEP_1) | instskip(NEXT) | instid1(VALU_DEP_1)
	v_lshlrev_b32_e32 v98, 20, v98
	v_or3_b32 v98, v192, v195, v98
.LBB7_546:                              ;   in Loop: Header=BB7_62 Depth=1
	s_wait_alu 0xfffe
	s_or_b32 exec_lo, exec_lo, s1
	v_and_b32_e32 v195, 0xff, v130
	s_mov_b32 s0, 0
	s_mov_b32 s1, exec_lo
	s_delay_alu instid0(VALU_DEP_1)
	v_cmpx_lt_i16_e64 0x7f, v195
	s_wait_alu 0xfffe
	s_xor_b32 s1, exec_lo, s1
	s_cbranch_execnz .LBB7_1569
; %bb.547:                              ;   in Loop: Header=BB7_62 Depth=1
	s_wait_alu 0xfffe
	s_or_saveexec_b32 s1, s1
	v_mov_b32_e32 v192, 0x7f800001
	s_wait_alu 0xfffe
	s_xor_b32 exec_lo, exec_lo, s1
	s_cbranch_execnz .LBB7_1572
.LBB7_548:                              ;   in Loop: Header=BB7_62 Depth=1
	s_or_b32 exec_lo, exec_lo, s1
	s_and_saveexec_b32 s1, s0
	s_cbranch_execz .LBB7_550
.LBB7_549:                              ;   in Loop: Header=BB7_62 Depth=1
	v_lshrrev_b16 v197, 3, v130
	s_delay_alu instid0(VALU_DEP_1) | instskip(NEXT) | instid1(VALU_DEP_1)
	v_and_b32_e32 v197, 15, v197
	v_cmp_eq_u16_e64 vcc_lo, 0, v197
	v_and_b32_e32 v192, 7, v130
	v_lshrrev_b16 v130, 7, v130
	s_delay_alu instid0(VALU_DEP_2) | instskip(NEXT) | instid1(VALU_DEP_2)
	v_clz_i32_u32_e32 v195, v192
	v_lshlrev_b32_e32 v130, 31, v130
	s_delay_alu instid0(VALU_DEP_2) | instskip(NEXT) | instid1(VALU_DEP_1)
	v_min_u32_e32 v195, 32, v195
	v_subrev_nc_u32_e32 v196, 28, v195
	v_sub_nc_u32_e32 v195, 29, v195
	s_wait_alu 0xfffd
	s_delay_alu instid0(VALU_DEP_1) | instskip(NEXT) | instid1(VALU_DEP_1)
	v_dual_cndmask_b32 v195, v197, v195 :: v_dual_lshlrev_b32 v196, v196, v192
	v_lshl_add_u32 v195, v195, 23, 0x3b800000
	s_delay_alu instid0(VALU_DEP_2) | instskip(NEXT) | instid1(VALU_DEP_1)
	v_and_b32_e32 v196, 7, v196
	v_cndmask_b32_e32 v192, v192, v196, vcc_lo
	s_delay_alu instid0(VALU_DEP_1) | instskip(NEXT) | instid1(VALU_DEP_1)
	v_lshlrev_b32_e32 v192, 20, v192
	v_or3_b32 v192, v130, v195, v192
.LBB7_550:                              ;   in Loop: Header=BB7_62 Depth=1
	s_wait_alu 0xfffe
	s_or_b32 exec_lo, exec_lo, s1
	s_mov_b32 s0, 0
	s_mov_b32 s1, exec_lo
	v_cmpx_lt_i16_e64 0x7f, v129
	s_wait_alu 0xfffe
	s_xor_b32 s1, exec_lo, s1
	s_cbranch_execnz .LBB7_1573
; %bb.551:                              ;   in Loop: Header=BB7_62 Depth=1
	s_wait_alu 0xfffe
	s_or_saveexec_b32 s1, s1
	v_mov_b32_e32 v130, 0x7f800001
	s_wait_alu 0xfffe
	s_xor_b32 exec_lo, exec_lo, s1
	s_cbranch_execnz .LBB7_1576
.LBB7_552:                              ;   in Loop: Header=BB7_62 Depth=1
	s_or_b32 exec_lo, exec_lo, s1
	s_and_saveexec_b32 s1, s0
	s_cbranch_execz .LBB7_554
.LBB7_553:                              ;   in Loop: Header=BB7_62 Depth=1
	v_lshrrev_b16 v197, 3, v129
	s_delay_alu instid0(VALU_DEP_1) | instskip(NEXT) | instid1(VALU_DEP_1)
	v_and_b32_e32 v197, 15, v197
	v_cmp_eq_u16_e64 vcc_lo, 0, v197
	v_and_b32_e32 v130, 7, v129
	v_lshrrev_b16 v129, 7, v129
	s_delay_alu instid0(VALU_DEP_2) | instskip(NEXT) | instid1(VALU_DEP_2)
	v_clz_i32_u32_e32 v195, v130
	v_lshlrev_b32_e32 v129, 31, v129
	s_delay_alu instid0(VALU_DEP_2) | instskip(NEXT) | instid1(VALU_DEP_1)
	v_min_u32_e32 v195, 32, v195
	v_subrev_nc_u32_e32 v196, 28, v195
	v_sub_nc_u32_e32 v195, 29, v195
	s_wait_alu 0xfffd
	s_delay_alu instid0(VALU_DEP_1) | instskip(NEXT) | instid1(VALU_DEP_1)
	v_dual_cndmask_b32 v195, v197, v195 :: v_dual_lshlrev_b32 v196, v196, v130
	v_lshl_add_u32 v195, v195, 23, 0x3b800000
	s_delay_alu instid0(VALU_DEP_2) | instskip(NEXT) | instid1(VALU_DEP_1)
	v_and_b32_e32 v196, 7, v196
	v_cndmask_b32_e32 v130, v130, v196, vcc_lo
	s_delay_alu instid0(VALU_DEP_1) | instskip(NEXT) | instid1(VALU_DEP_1)
	v_lshlrev_b32_e32 v130, 20, v130
	v_or3_b32 v130, v129, v195, v130
.LBB7_554:                              ;   in Loop: Header=BB7_62 Depth=1
	s_wait_alu 0xfffe
	s_or_b32 exec_lo, exec_lo, s1
	v_and_b32_e32 v195, 0xff, v99
	s_mov_b32 s0, 0
	s_mov_b32 s1, exec_lo
	s_delay_alu instid0(VALU_DEP_1)
	v_cmpx_lt_i16_e64 0x7f, v195
	s_wait_alu 0xfffe
	s_xor_b32 s1, exec_lo, s1
	s_cbranch_execnz .LBB7_1577
; %bb.555:                              ;   in Loop: Header=BB7_62 Depth=1
	s_wait_alu 0xfffe
	s_or_saveexec_b32 s1, s1
	v_mov_b32_e32 v129, 0x7f800001
	s_wait_alu 0xfffe
	s_xor_b32 exec_lo, exec_lo, s1
	s_cbranch_execnz .LBB7_1580
.LBB7_556:                              ;   in Loop: Header=BB7_62 Depth=1
	s_or_b32 exec_lo, exec_lo, s1
	s_and_saveexec_b32 s1, s0
	s_cbranch_execz .LBB7_558
.LBB7_557:                              ;   in Loop: Header=BB7_62 Depth=1
	v_and_b32_e32 v129, 7, v99
	v_lshrrev_b16 v197, 3, v99
	v_lshrrev_b16 v99, 7, v99
	s_delay_alu instid0(VALU_DEP_3) | instskip(NEXT) | instid1(VALU_DEP_3)
	v_clz_i32_u32_e32 v195, v129
	v_and_b32_e32 v197, 15, v197
	s_delay_alu instid0(VALU_DEP_3) | instskip(NEXT) | instid1(VALU_DEP_3)
	v_lshlrev_b32_e32 v99, 31, v99
	v_min_u32_e32 v195, 32, v195
	s_delay_alu instid0(VALU_DEP_3) | instskip(NEXT) | instid1(VALU_DEP_2)
	v_cmp_eq_u16_e64 vcc_lo, 0, v197
	v_subrev_nc_u32_e32 v196, 28, v195
	v_sub_nc_u32_e32 v195, 29, v195
	s_wait_alu 0xfffd
	s_delay_alu instid0(VALU_DEP_1) | instskip(NEXT) | instid1(VALU_DEP_1)
	v_dual_cndmask_b32 v195, v197, v195 :: v_dual_lshlrev_b32 v196, v196, v129
	v_and_b32_e32 v196, 7, v196
	s_delay_alu instid0(VALU_DEP_2) | instskip(NEXT) | instid1(VALU_DEP_2)
	v_lshl_add_u32 v195, v195, 23, 0x3b800000
	v_cndmask_b32_e32 v129, v129, v196, vcc_lo
	s_delay_alu instid0(VALU_DEP_1) | instskip(NEXT) | instid1(VALU_DEP_1)
	v_lshlrev_b32_e32 v129, 20, v129
	v_or3_b32 v129, v99, v195, v129
.LBB7_558:                              ;   in Loop: Header=BB7_62 Depth=1
	s_wait_alu 0xfffe
	s_or_b32 exec_lo, exec_lo, s1
	v_and_b32_e32 v195, 0xff, v118
	s_mov_b32 s0, 0
	s_mov_b32 s1, exec_lo
	s_delay_alu instid0(VALU_DEP_1)
	v_cmpx_lt_i16_e64 0x7f, v195
	s_wait_alu 0xfffe
	s_xor_b32 s1, exec_lo, s1
	s_cbranch_execnz .LBB7_1581
; %bb.559:                              ;   in Loop: Header=BB7_62 Depth=1
	s_wait_alu 0xfffe
	s_or_saveexec_b32 s1, s1
	v_mov_b32_e32 v99, 0x7f800001
	s_wait_alu 0xfffe
	s_xor_b32 exec_lo, exec_lo, s1
	s_cbranch_execnz .LBB7_1584
.LBB7_560:                              ;   in Loop: Header=BB7_62 Depth=1
	s_or_b32 exec_lo, exec_lo, s1
	s_and_saveexec_b32 s1, s0
	s_cbranch_execz .LBB7_562
.LBB7_561:                              ;   in Loop: Header=BB7_62 Depth=1
	v_and_b32_e32 v99, 7, v118
	v_lshrrev_b16 v197, 3, v118
	v_lshrrev_b16 v118, 7, v118
	s_delay_alu instid0(VALU_DEP_3) | instskip(NEXT) | instid1(VALU_DEP_3)
	v_clz_i32_u32_e32 v195, v99
	v_and_b32_e32 v197, 15, v197
	s_delay_alu instid0(VALU_DEP_3) | instskip(NEXT) | instid1(VALU_DEP_3)
	v_lshlrev_b32_e32 v118, 31, v118
	v_min_u32_e32 v195, 32, v195
	s_delay_alu instid0(VALU_DEP_3) | instskip(NEXT) | instid1(VALU_DEP_2)
	v_cmp_eq_u16_e64 vcc_lo, 0, v197
	v_subrev_nc_u32_e32 v196, 28, v195
	v_sub_nc_u32_e32 v195, 29, v195
	s_delay_alu instid0(VALU_DEP_2) | instskip(SKIP_1) | instid1(VALU_DEP_1)
	v_lshlrev_b32_e32 v196, v196, v99
	s_wait_alu 0xfffd
	v_dual_cndmask_b32 v195, v197, v195 :: v_dual_and_b32 v196, 7, v196
	s_delay_alu instid0(VALU_DEP_1) | instskip(NEXT) | instid1(VALU_DEP_2)
	v_lshl_add_u32 v195, v195, 23, 0x3b800000
	v_cndmask_b32_e32 v99, v99, v196, vcc_lo
	s_delay_alu instid0(VALU_DEP_1) | instskip(NEXT) | instid1(VALU_DEP_1)
	v_lshlrev_b32_e32 v99, 20, v99
	v_or3_b32 v99, v118, v195, v99
.LBB7_562:                              ;   in Loop: Header=BB7_62 Depth=1
	s_wait_alu 0xfffe
	s_or_b32 exec_lo, exec_lo, s1
	v_and_b32_e32 v195, 0xff, v116
	s_mov_b32 s0, 0
	s_mov_b32 s1, exec_lo
	s_delay_alu instid0(VALU_DEP_1)
	v_cmpx_lt_i16_e64 0x7f, v195
	s_wait_alu 0xfffe
	s_xor_b32 s1, exec_lo, s1
	s_cbranch_execnz .LBB7_1585
; %bb.563:                              ;   in Loop: Header=BB7_62 Depth=1
	s_wait_alu 0xfffe
	s_or_saveexec_b32 s1, s1
	v_mov_b32_e32 v118, 0x7f800001
	s_wait_alu 0xfffe
	s_xor_b32 exec_lo, exec_lo, s1
	s_cbranch_execnz .LBB7_1588
.LBB7_564:                              ;   in Loop: Header=BB7_62 Depth=1
	s_or_b32 exec_lo, exec_lo, s1
	s_and_saveexec_b32 s1, s0
	s_cbranch_execz .LBB7_566
.LBB7_565:                              ;   in Loop: Header=BB7_62 Depth=1
	v_lshrrev_b16 v197, 3, v116
	s_delay_alu instid0(VALU_DEP_1) | instskip(NEXT) | instid1(VALU_DEP_1)
	v_and_b32_e32 v197, 15, v197
	v_cmp_eq_u16_e64 vcc_lo, 0, v197
	v_and_b32_e32 v118, 7, v116
	v_lshrrev_b16 v116, 7, v116
	s_delay_alu instid0(VALU_DEP_2) | instskip(NEXT) | instid1(VALU_DEP_2)
	v_clz_i32_u32_e32 v195, v118
	v_lshlrev_b32_e32 v116, 31, v116
	s_delay_alu instid0(VALU_DEP_2) | instskip(NEXT) | instid1(VALU_DEP_1)
	v_min_u32_e32 v195, 32, v195
	v_subrev_nc_u32_e32 v196, 28, v195
	v_sub_nc_u32_e32 v195, 29, v195
	s_wait_alu 0xfffd
	s_delay_alu instid0(VALU_DEP_1) | instskip(NEXT) | instid1(VALU_DEP_1)
	v_dual_cndmask_b32 v195, v197, v195 :: v_dual_lshlrev_b32 v196, v196, v118
	v_lshl_add_u32 v195, v195, 23, 0x3b800000
	s_delay_alu instid0(VALU_DEP_2) | instskip(NEXT) | instid1(VALU_DEP_1)
	v_and_b32_e32 v196, 7, v196
	v_cndmask_b32_e32 v118, v118, v196, vcc_lo
	s_delay_alu instid0(VALU_DEP_1) | instskip(NEXT) | instid1(VALU_DEP_1)
	v_lshlrev_b32_e32 v118, 20, v118
	v_or3_b32 v118, v116, v195, v118
.LBB7_566:                              ;   in Loop: Header=BB7_62 Depth=1
	s_wait_alu 0xfffe
	s_or_b32 exec_lo, exec_lo, s1
	s_mov_b32 s0, 0
	s_mov_b32 s1, exec_lo
	v_cmpx_lt_i16_e32 0x7f, v101
	s_wait_alu 0xfffe
	s_xor_b32 s1, exec_lo, s1
	s_cbranch_execnz .LBB7_1589
; %bb.567:                              ;   in Loop: Header=BB7_62 Depth=1
	s_wait_alu 0xfffe
	s_or_saveexec_b32 s1, s1
	v_mov_b32_e32 v116, 0x7f800001
	s_wait_alu 0xfffe
	s_xor_b32 exec_lo, exec_lo, s1
	s_cbranch_execnz .LBB7_1592
.LBB7_568:                              ;   in Loop: Header=BB7_62 Depth=1
	s_or_b32 exec_lo, exec_lo, s1
	s_and_saveexec_b32 s1, s0
	s_cbranch_execz .LBB7_570
.LBB7_569:                              ;   in Loop: Header=BB7_62 Depth=1
	v_lshrrev_b16 v197, 3, v101
	s_delay_alu instid0(VALU_DEP_1) | instskip(NEXT) | instid1(VALU_DEP_1)
	v_and_b32_e32 v197, 15, v197
	v_cmp_eq_u16_e64 vcc_lo, 0, v197
	v_and_b32_e32 v116, 7, v101
	v_lshrrev_b16 v101, 7, v101
	s_delay_alu instid0(VALU_DEP_2) | instskip(NEXT) | instid1(VALU_DEP_2)
	v_clz_i32_u32_e32 v195, v116
	v_lshlrev_b32_e32 v101, 31, v101
	s_delay_alu instid0(VALU_DEP_2) | instskip(NEXT) | instid1(VALU_DEP_1)
	v_min_u32_e32 v195, 32, v195
	v_subrev_nc_u32_e32 v196, 28, v195
	v_sub_nc_u32_e32 v195, 29, v195
	s_wait_alu 0xfffd
	s_delay_alu instid0(VALU_DEP_1) | instskip(NEXT) | instid1(VALU_DEP_1)
	v_dual_cndmask_b32 v195, v197, v195 :: v_dual_lshlrev_b32 v196, v196, v116
	v_lshl_add_u32 v195, v195, 23, 0x3b800000
	s_delay_alu instid0(VALU_DEP_2) | instskip(NEXT) | instid1(VALU_DEP_1)
	v_and_b32_e32 v196, 7, v196
	v_cndmask_b32_e32 v116, v116, v196, vcc_lo
	s_delay_alu instid0(VALU_DEP_1) | instskip(NEXT) | instid1(VALU_DEP_1)
	v_lshlrev_b32_e32 v116, 20, v116
	v_or3_b32 v116, v101, v195, v116
.LBB7_570:                              ;   in Loop: Header=BB7_62 Depth=1
	s_wait_alu 0xfffe
	s_or_b32 exec_lo, exec_lo, s1
	v_cvt_pk_rtz_f16_f32_e32 v195, v100, v96
	v_cvt_pk_rtz_f16_f32_e32 v196, v117, v119
	;; [unrolled: 1-line block ×8, first 2 shown]
	s_clause 0x1
	scratch_store_b128 off, v[195:198], s33 offset:192
	scratch_store_b128 off, v[97:100], s33 offset:208
	flat_load_b32 v93, v[182:183]
	flat_load_b64 v[75:76], v[134:135]
	v_add_nc_u32_e32 v96, 0x70, v103
	s_mov_b32 s0, 0
	s_mov_b32 s1, exec_lo
	s_delay_alu instid0(VALU_DEP_1) | instskip(NEXT) | instid1(VALU_DEP_1)
	v_ashrrev_i32_e32 v97, 31, v96
	v_lshrrev_b32_e32 v97, 28, v97
	s_delay_alu instid0(VALU_DEP_1) | instskip(NEXT) | instid1(VALU_DEP_1)
	v_add_nc_u32_e32 v97, v96, v97
	v_lshrrev_b32_e32 v98, 4, v97
	v_and_b32_e32 v97, -16, v97
	s_delay_alu instid0(VALU_DEP_2) | instskip(NEXT) | instid1(VALU_DEP_2)
	v_add_nc_u32_e32 v98, v98, v114
	v_sub_nc_u32_e32 v96, v96, v97
	s_delay_alu instid0(VALU_DEP_2) | instskip(NEXT) | instid1(VALU_DEP_1)
	v_xor_b32_e32 v98, v98, v115
	v_sub_nc_u32_e32 v97, v98, v112
	v_sub_nc_u32_e32 v98, v113, v102
	s_delay_alu instid0(VALU_DEP_2) | instskip(NEXT) | instid1(VALU_DEP_2)
	v_lshlrev_b32_e32 v97, 4, v97
	v_add_nc_u32_e32 v96, v98, v96
	s_wait_loadcnt_dscnt 0x101
	s_delay_alu instid0(VALU_DEP_1) | instskip(NEXT) | instid1(VALU_DEP_1)
	v_add3_u32 v96, v96, v97, v93
	v_ashrrev_i32_e32 v97, 31, v96
	s_wait_loadcnt_dscnt 0x0
	v_add_co_u32 v96, vcc_lo, v75, v96
	s_wait_alu 0xfffd
	s_delay_alu instid0(VALU_DEP_2) | instskip(SKIP_3) | instid1(VALU_DEP_1)
	v_add_co_ci_u32_e64 v97, null, v76, v97, vcc_lo
	flat_load_b128 v[96:99], v[96:97]
	s_wait_loadcnt_dscnt 0x0
	v_and_b32_e32 v101, 0xff, v96
	v_cmpx_lt_i16_e32 0x7f, v101
	s_wait_alu 0xfffe
	s_xor_b32 s1, exec_lo, s1
	s_cbranch_execnz .LBB7_1593
; %bb.571:                              ;   in Loop: Header=BB7_62 Depth=1
	s_wait_alu 0xfffe
	s_or_saveexec_b32 s1, s1
	v_mov_b32_e32 v100, 0x7f800001
	s_wait_alu 0xfffe
	s_xor_b32 exec_lo, exec_lo, s1
	s_cbranch_execnz .LBB7_1596
.LBB7_572:                              ;   in Loop: Header=BB7_62 Depth=1
	s_or_b32 exec_lo, exec_lo, s1
	s_and_saveexec_b32 s1, s0
	s_cbranch_execz .LBB7_574
.LBB7_573:                              ;   in Loop: Header=BB7_62 Depth=1
	v_lshrrev_b16 v103, 3, v96
	v_lshrrev_b16 v112, 7, v96
	s_delay_alu instid0(VALU_DEP_2) | instskip(NEXT) | instid1(VALU_DEP_1)
	v_and_b32_e32 v103, 15, v103
	v_cmp_eq_u16_e32 vcc_lo, 0, v103
	v_and_b32_e32 v100, 7, v96
	s_delay_alu instid0(VALU_DEP_1) | instskip(NEXT) | instid1(VALU_DEP_1)
	v_clz_i32_u32_e32 v101, v100
	v_min_u32_e32 v101, 32, v101
	s_delay_alu instid0(VALU_DEP_1) | instskip(SKIP_2) | instid1(VALU_DEP_1)
	v_subrev_nc_u32_e32 v102, 28, v101
	v_sub_nc_u32_e32 v101, 29, v101
	s_wait_alu 0xfffd
	v_dual_cndmask_b32 v101, v103, v101 :: v_dual_lshlrev_b32 v102, v102, v100
	s_delay_alu instid0(VALU_DEP_1) | instskip(NEXT) | instid1(VALU_DEP_2)
	v_lshl_add_u32 v101, v101, 23, 0x3b800000
	v_and_b32_e32 v102, 7, v102
	s_delay_alu instid0(VALU_DEP_1) | instskip(SKIP_1) | instid1(VALU_DEP_2)
	v_cndmask_b32_e32 v100, v100, v102, vcc_lo
	v_lshlrev_b32_e32 v102, 31, v112
	v_lshlrev_b32_e32 v100, 20, v100
	s_delay_alu instid0(VALU_DEP_1)
	v_or3_b32 v100, v102, v101, v100
.LBB7_574:                              ;   in Loop: Header=BB7_62 Depth=1
	s_wait_alu 0xfffe
	s_or_b32 exec_lo, exec_lo, s1
	v_lshrrev_b32_e32 v103, 8, v96
	v_lshrrev_b32_e32 v101, 24, v99
	;; [unrolled: 1-line block ×12, first 2 shown]
	v_and_b32_e32 v129, 0xff, v103
	s_mov_b32 s0, 0
	s_mov_b32 s1, exec_lo
	s_delay_alu instid0(VALU_DEP_1)
	v_cmpx_lt_i16_e64 0x7f, v129
	s_wait_alu 0xfffe
	s_xor_b32 s1, exec_lo, s1
	s_cbranch_execnz .LBB7_1597
; %bb.575:                              ;   in Loop: Header=BB7_62 Depth=1
	s_wait_alu 0xfffe
	s_or_saveexec_b32 s1, s1
	v_mov_b32_e32 v96, 0x7f800001
	s_wait_alu 0xfffe
	s_xor_b32 exec_lo, exec_lo, s1
	s_cbranch_execnz .LBB7_1600
.LBB7_576:                              ;   in Loop: Header=BB7_62 Depth=1
	s_or_b32 exec_lo, exec_lo, s1
	s_and_saveexec_b32 s1, s0
	s_cbranch_execz .LBB7_578
.LBB7_577:                              ;   in Loop: Header=BB7_62 Depth=1
	v_lshrrev_b16 v131, 3, v103
	s_delay_alu instid0(VALU_DEP_1) | instskip(NEXT) | instid1(VALU_DEP_1)
	v_and_b32_e32 v131, 15, v131
	v_cmp_eq_u16_e64 vcc_lo, 0, v131
	v_and_b32_e32 v96, 7, v103
	v_lshrrev_b16 v103, 7, v103
	s_delay_alu instid0(VALU_DEP_2) | instskip(NEXT) | instid1(VALU_DEP_2)
	v_clz_i32_u32_e32 v129, v96
	v_lshlrev_b32_e32 v103, 31, v103
	s_delay_alu instid0(VALU_DEP_2) | instskip(NEXT) | instid1(VALU_DEP_1)
	v_min_u32_e32 v129, 32, v129
	v_subrev_nc_u32_e32 v130, 28, v129
	v_sub_nc_u32_e32 v129, 29, v129
	s_wait_alu 0xfffd
	s_delay_alu instid0(VALU_DEP_1) | instskip(NEXT) | instid1(VALU_DEP_1)
	v_dual_cndmask_b32 v129, v131, v129 :: v_dual_lshlrev_b32 v130, v130, v96
	v_lshl_add_u32 v129, v129, 23, 0x3b800000
	s_delay_alu instid0(VALU_DEP_2) | instskip(NEXT) | instid1(VALU_DEP_1)
	v_and_b32_e32 v130, 7, v130
	v_cndmask_b32_e32 v96, v96, v130, vcc_lo
	s_delay_alu instid0(VALU_DEP_1) | instskip(NEXT) | instid1(VALU_DEP_1)
	v_lshlrev_b32_e32 v96, 20, v96
	v_or3_b32 v96, v103, v129, v96
.LBB7_578:                              ;   in Loop: Header=BB7_62 Depth=1
	s_wait_alu 0xfffe
	s_or_b32 exec_lo, exec_lo, s1
	v_and_b32_e32 v129, 0xff, v113
	s_mov_b32 s0, 0
	s_mov_b32 s1, exec_lo
	s_delay_alu instid0(VALU_DEP_1)
	v_cmpx_lt_i16_e64 0x7f, v129
	s_wait_alu 0xfffe
	s_xor_b32 s1, exec_lo, s1
	s_cbranch_execnz .LBB7_1601
; %bb.579:                              ;   in Loop: Header=BB7_62 Depth=1
	s_wait_alu 0xfffe
	s_or_saveexec_b32 s1, s1
	v_mov_b32_e32 v103, 0x7f800001
	s_wait_alu 0xfffe
	s_xor_b32 exec_lo, exec_lo, s1
	s_cbranch_execnz .LBB7_1604
.LBB7_580:                              ;   in Loop: Header=BB7_62 Depth=1
	s_or_b32 exec_lo, exec_lo, s1
	s_and_saveexec_b32 s1, s0
	s_cbranch_execz .LBB7_582
.LBB7_581:                              ;   in Loop: Header=BB7_62 Depth=1
	v_and_b32_e32 v103, 7, v113
	v_lshrrev_b16 v131, 3, v113
	v_lshrrev_b16 v113, 7, v113
	s_delay_alu instid0(VALU_DEP_3) | instskip(NEXT) | instid1(VALU_DEP_3)
	v_clz_i32_u32_e32 v129, v103
	v_and_b32_e32 v131, 15, v131
	s_delay_alu instid0(VALU_DEP_3) | instskip(NEXT) | instid1(VALU_DEP_3)
	v_lshlrev_b32_e32 v113, 31, v113
	v_min_u32_e32 v129, 32, v129
	s_delay_alu instid0(VALU_DEP_3) | instskip(NEXT) | instid1(VALU_DEP_2)
	v_cmp_eq_u16_e64 vcc_lo, 0, v131
	v_subrev_nc_u32_e32 v130, 28, v129
	v_sub_nc_u32_e32 v129, 29, v129
	s_wait_alu 0xfffd
	s_delay_alu instid0(VALU_DEP_1) | instskip(NEXT) | instid1(VALU_DEP_1)
	v_dual_cndmask_b32 v129, v131, v129 :: v_dual_lshlrev_b32 v130, v130, v103
	v_and_b32_e32 v130, 7, v130
	s_delay_alu instid0(VALU_DEP_2) | instskip(NEXT) | instid1(VALU_DEP_2)
	v_lshl_add_u32 v129, v129, 23, 0x3b800000
	v_cndmask_b32_e32 v103, v103, v130, vcc_lo
	s_delay_alu instid0(VALU_DEP_1) | instskip(NEXT) | instid1(VALU_DEP_1)
	v_lshlrev_b32_e32 v103, 20, v103
	v_or3_b32 v103, v113, v129, v103
.LBB7_582:                              ;   in Loop: Header=BB7_62 Depth=1
	s_wait_alu 0xfffe
	s_or_b32 exec_lo, exec_lo, s1
	s_mov_b32 s0, 0
	s_mov_b32 s1, exec_lo
	v_cmpx_lt_i16_e32 0x7f, v114
	s_wait_alu 0xfffe
	s_xor_b32 s1, exec_lo, s1
	s_cbranch_execnz .LBB7_1605
; %bb.583:                              ;   in Loop: Header=BB7_62 Depth=1
	s_wait_alu 0xfffe
	s_or_saveexec_b32 s1, s1
	v_mov_b32_e32 v113, 0x7f800001
	s_wait_alu 0xfffe
	s_xor_b32 exec_lo, exec_lo, s1
	s_cbranch_execnz .LBB7_1608
.LBB7_584:                              ;   in Loop: Header=BB7_62 Depth=1
	s_or_b32 exec_lo, exec_lo, s1
	s_and_saveexec_b32 s1, s0
	s_cbranch_execz .LBB7_586
.LBB7_585:                              ;   in Loop: Header=BB7_62 Depth=1
	v_and_b32_e32 v113, 7, v114
	v_lshrrev_b16 v131, 3, v114
	v_lshrrev_b16 v114, 7, v114
	s_delay_alu instid0(VALU_DEP_3) | instskip(NEXT) | instid1(VALU_DEP_3)
	v_clz_i32_u32_e32 v129, v113
	v_and_b32_e32 v131, 15, v131
	s_delay_alu instid0(VALU_DEP_3) | instskip(NEXT) | instid1(VALU_DEP_3)
	v_lshlrev_b32_e32 v114, 31, v114
	v_min_u32_e32 v129, 32, v129
	s_delay_alu instid0(VALU_DEP_3) | instskip(NEXT) | instid1(VALU_DEP_2)
	v_cmp_eq_u16_e64 vcc_lo, 0, v131
	v_subrev_nc_u32_e32 v130, 28, v129
	v_sub_nc_u32_e32 v129, 29, v129
	s_delay_alu instid0(VALU_DEP_2) | instskip(SKIP_1) | instid1(VALU_DEP_1)
	v_lshlrev_b32_e32 v130, v130, v113
	s_wait_alu 0xfffd
	v_dual_cndmask_b32 v129, v131, v129 :: v_dual_and_b32 v130, 7, v130
	s_delay_alu instid0(VALU_DEP_1) | instskip(NEXT) | instid1(VALU_DEP_2)
	v_lshl_add_u32 v129, v129, 23, 0x3b800000
	v_cndmask_b32_e32 v113, v113, v130, vcc_lo
	s_delay_alu instid0(VALU_DEP_1) | instskip(NEXT) | instid1(VALU_DEP_1)
	v_lshlrev_b32_e32 v113, 20, v113
	v_or3_b32 v113, v114, v129, v113
.LBB7_586:                              ;   in Loop: Header=BB7_62 Depth=1
	s_wait_alu 0xfffe
	s_or_b32 exec_lo, exec_lo, s1
	v_and_b32_e32 v129, 0xff, v97
	s_mov_b32 s0, 0
	s_mov_b32 s1, exec_lo
	s_delay_alu instid0(VALU_DEP_1)
	v_cmpx_lt_i16_e64 0x7f, v129
	s_wait_alu 0xfffe
	s_xor_b32 s1, exec_lo, s1
	s_cbranch_execnz .LBB7_1609
; %bb.587:                              ;   in Loop: Header=BB7_62 Depth=1
	s_wait_alu 0xfffe
	s_or_saveexec_b32 s1, s1
	v_mov_b32_e32 v114, 0x7f800001
	s_wait_alu 0xfffe
	s_xor_b32 exec_lo, exec_lo, s1
	s_cbranch_execnz .LBB7_1612
.LBB7_588:                              ;   in Loop: Header=BB7_62 Depth=1
	s_or_b32 exec_lo, exec_lo, s1
	s_and_saveexec_b32 s1, s0
	s_cbranch_execz .LBB7_590
.LBB7_589:                              ;   in Loop: Header=BB7_62 Depth=1
	v_and_b32_e32 v114, 7, v97
	v_lshrrev_b16 v131, 3, v97
	v_lshrrev_b16 v97, 7, v97
	s_delay_alu instid0(VALU_DEP_3) | instskip(NEXT) | instid1(VALU_DEP_3)
	v_clz_i32_u32_e32 v129, v114
	v_and_b32_e32 v131, 15, v131
	s_delay_alu instid0(VALU_DEP_3) | instskip(NEXT) | instid1(VALU_DEP_3)
	v_lshlrev_b32_e32 v97, 31, v97
	v_min_u32_e32 v129, 32, v129
	s_delay_alu instid0(VALU_DEP_3) | instskip(NEXT) | instid1(VALU_DEP_2)
	v_cmp_eq_u16_e64 vcc_lo, 0, v131
	v_subrev_nc_u32_e32 v130, 28, v129
	v_sub_nc_u32_e32 v129, 29, v129
	s_wait_alu 0xfffd
	s_delay_alu instid0(VALU_DEP_1) | instskip(NEXT) | instid1(VALU_DEP_1)
	v_dual_cndmask_b32 v129, v131, v129 :: v_dual_lshlrev_b32 v130, v130, v114
	v_and_b32_e32 v130, 7, v130
	s_delay_alu instid0(VALU_DEP_2) | instskip(NEXT) | instid1(VALU_DEP_2)
	v_lshl_add_u32 v129, v129, 23, 0x3b800000
	v_cndmask_b32_e32 v114, v114, v130, vcc_lo
	s_delay_alu instid0(VALU_DEP_1) | instskip(NEXT) | instid1(VALU_DEP_1)
	v_lshlrev_b32_e32 v114, 20, v114
	v_or3_b32 v114, v97, v129, v114
.LBB7_590:                              ;   in Loop: Header=BB7_62 Depth=1
	s_wait_alu 0xfffe
	s_or_b32 exec_lo, exec_lo, s1
	v_and_b32_e32 v129, 0xff, v117
	s_mov_b32 s0, 0
	s_mov_b32 s1, exec_lo
	s_delay_alu instid0(VALU_DEP_1)
	v_cmpx_lt_i16_e64 0x7f, v129
	s_wait_alu 0xfffe
	s_xor_b32 s1, exec_lo, s1
	s_cbranch_execnz .LBB7_1613
; %bb.591:                              ;   in Loop: Header=BB7_62 Depth=1
	s_wait_alu 0xfffe
	s_or_saveexec_b32 s1, s1
	v_mov_b32_e32 v97, 0x7f800001
	s_wait_alu 0xfffe
	s_xor_b32 exec_lo, exec_lo, s1
	s_cbranch_execnz .LBB7_1616
.LBB7_592:                              ;   in Loop: Header=BB7_62 Depth=1
	s_or_b32 exec_lo, exec_lo, s1
	s_and_saveexec_b32 s1, s0
	s_cbranch_execz .LBB7_594
.LBB7_593:                              ;   in Loop: Header=BB7_62 Depth=1
	v_and_b32_e32 v97, 7, v117
	v_lshrrev_b16 v131, 3, v117
	v_lshrrev_b16 v117, 7, v117
	s_delay_alu instid0(VALU_DEP_3) | instskip(NEXT) | instid1(VALU_DEP_3)
	v_clz_i32_u32_e32 v129, v97
	v_and_b32_e32 v131, 15, v131
	s_delay_alu instid0(VALU_DEP_3) | instskip(NEXT) | instid1(VALU_DEP_3)
	v_lshlrev_b32_e32 v117, 31, v117
	v_min_u32_e32 v129, 32, v129
	s_delay_alu instid0(VALU_DEP_3) | instskip(NEXT) | instid1(VALU_DEP_2)
	v_cmp_eq_u16_e64 vcc_lo, 0, v131
	v_subrev_nc_u32_e32 v130, 28, v129
	v_sub_nc_u32_e32 v129, 29, v129
	s_delay_alu instid0(VALU_DEP_2) | instskip(SKIP_1) | instid1(VALU_DEP_1)
	v_lshlrev_b32_e32 v130, v130, v97
	s_wait_alu 0xfffd
	v_dual_cndmask_b32 v129, v131, v129 :: v_dual_and_b32 v130, 7, v130
	s_delay_alu instid0(VALU_DEP_1) | instskip(NEXT) | instid1(VALU_DEP_2)
	v_lshl_add_u32 v129, v129, 23, 0x3b800000
	v_cndmask_b32_e32 v97, v97, v130, vcc_lo
	s_delay_alu instid0(VALU_DEP_1) | instskip(NEXT) | instid1(VALU_DEP_1)
	v_lshlrev_b32_e32 v97, 20, v97
	v_or3_b32 v97, v117, v129, v97
.LBB7_594:                              ;   in Loop: Header=BB7_62 Depth=1
	s_wait_alu 0xfffe
	s_or_b32 exec_lo, exec_lo, s1
	v_and_b32_e32 v129, 0xff, v119
	s_mov_b32 s0, 0
	s_mov_b32 s1, exec_lo
	s_delay_alu instid0(VALU_DEP_1)
	v_cmpx_lt_i16_e64 0x7f, v129
	s_wait_alu 0xfffe
	s_xor_b32 s1, exec_lo, s1
	s_cbranch_execnz .LBB7_1617
; %bb.595:                              ;   in Loop: Header=BB7_62 Depth=1
	s_wait_alu 0xfffe
	s_or_saveexec_b32 s1, s1
	v_mov_b32_e32 v117, 0x7f800001
	s_wait_alu 0xfffe
	s_xor_b32 exec_lo, exec_lo, s1
	s_cbranch_execnz .LBB7_1620
.LBB7_596:                              ;   in Loop: Header=BB7_62 Depth=1
	s_or_b32 exec_lo, exec_lo, s1
	s_and_saveexec_b32 s1, s0
	s_cbranch_execz .LBB7_598
.LBB7_597:                              ;   in Loop: Header=BB7_62 Depth=1
	v_and_b32_e32 v117, 7, v119
	v_lshrrev_b16 v131, 3, v119
	v_lshrrev_b16 v119, 7, v119
	s_delay_alu instid0(VALU_DEP_3) | instskip(NEXT) | instid1(VALU_DEP_3)
	v_clz_i32_u32_e32 v129, v117
	v_and_b32_e32 v131, 15, v131
	s_delay_alu instid0(VALU_DEP_3) | instskip(NEXT) | instid1(VALU_DEP_3)
	v_lshlrev_b32_e32 v119, 31, v119
	v_min_u32_e32 v129, 32, v129
	s_delay_alu instid0(VALU_DEP_3) | instskip(NEXT) | instid1(VALU_DEP_2)
	v_cmp_eq_u16_e64 vcc_lo, 0, v131
	v_subrev_nc_u32_e32 v130, 28, v129
	v_sub_nc_u32_e32 v129, 29, v129
	s_delay_alu instid0(VALU_DEP_2) | instskip(SKIP_1) | instid1(VALU_DEP_1)
	v_lshlrev_b32_e32 v130, v130, v117
	s_wait_alu 0xfffd
	v_dual_cndmask_b32 v129, v131, v129 :: v_dual_and_b32 v130, 7, v130
	s_delay_alu instid0(VALU_DEP_1) | instskip(NEXT) | instid1(VALU_DEP_2)
	v_lshl_add_u32 v129, v129, 23, 0x3b800000
	v_cndmask_b32_e32 v117, v117, v130, vcc_lo
	s_delay_alu instid0(VALU_DEP_1) | instskip(NEXT) | instid1(VALU_DEP_1)
	v_lshlrev_b32_e32 v117, 20, v117
	v_or3_b32 v117, v119, v129, v117
.LBB7_598:                              ;   in Loop: Header=BB7_62 Depth=1
	s_wait_alu 0xfffe
	s_or_b32 exec_lo, exec_lo, s1
	s_mov_b32 s0, 0
	s_mov_b32 s1, exec_lo
	v_cmpx_lt_i16_e64 0x7f, v128
	s_wait_alu 0xfffe
	s_xor_b32 s1, exec_lo, s1
	s_cbranch_execnz .LBB7_1621
; %bb.599:                              ;   in Loop: Header=BB7_62 Depth=1
	s_wait_alu 0xfffe
	s_or_saveexec_b32 s1, s1
	v_mov_b32_e32 v119, 0x7f800001
	s_wait_alu 0xfffe
	s_xor_b32 exec_lo, exec_lo, s1
	s_cbranch_execnz .LBB7_1624
.LBB7_600:                              ;   in Loop: Header=BB7_62 Depth=1
	s_or_b32 exec_lo, exec_lo, s1
	s_and_saveexec_b32 s1, s0
	s_cbranch_execz .LBB7_602
.LBB7_601:                              ;   in Loop: Header=BB7_62 Depth=1
	v_and_b32_e32 v119, 7, v128
	v_lshrrev_b16 v131, 3, v128
	v_lshrrev_b16 v128, 7, v128
	s_delay_alu instid0(VALU_DEP_3) | instskip(NEXT) | instid1(VALU_DEP_3)
	v_clz_i32_u32_e32 v129, v119
	v_and_b32_e32 v131, 15, v131
	s_delay_alu instid0(VALU_DEP_3) | instskip(NEXT) | instid1(VALU_DEP_3)
	v_lshlrev_b32_e32 v128, 31, v128
	v_min_u32_e32 v129, 32, v129
	s_delay_alu instid0(VALU_DEP_3) | instskip(NEXT) | instid1(VALU_DEP_2)
	v_cmp_eq_u16_e64 vcc_lo, 0, v131
	v_subrev_nc_u32_e32 v130, 28, v129
	v_sub_nc_u32_e32 v129, 29, v129
	s_wait_alu 0xfffd
	s_delay_alu instid0(VALU_DEP_1) | instskip(NEXT) | instid1(VALU_DEP_1)
	v_dual_cndmask_b32 v129, v131, v129 :: v_dual_lshlrev_b32 v130, v130, v119
	v_and_b32_e32 v130, 7, v130
	s_delay_alu instid0(VALU_DEP_2) | instskip(NEXT) | instid1(VALU_DEP_2)
	v_lshl_add_u32 v129, v129, 23, 0x3b800000
	v_cndmask_b32_e32 v119, v119, v130, vcc_lo
	s_delay_alu instid0(VALU_DEP_1) | instskip(NEXT) | instid1(VALU_DEP_1)
	v_lshlrev_b32_e32 v119, 20, v119
	v_or3_b32 v119, v128, v129, v119
.LBB7_602:                              ;   in Loop: Header=BB7_62 Depth=1
	s_wait_alu 0xfffe
	s_or_b32 exec_lo, exec_lo, s1
	v_and_b32_e32 v129, 0xff, v98
	s_mov_b32 s0, 0
	s_mov_b32 s1, exec_lo
	s_delay_alu instid0(VALU_DEP_1)
	v_cmpx_lt_i16_e64 0x7f, v129
	s_wait_alu 0xfffe
	s_xor_b32 s1, exec_lo, s1
	s_cbranch_execnz .LBB7_1625
; %bb.603:                              ;   in Loop: Header=BB7_62 Depth=1
	s_wait_alu 0xfffe
	s_or_saveexec_b32 s1, s1
	v_mov_b32_e32 v128, 0x7f800001
	s_wait_alu 0xfffe
	s_xor_b32 exec_lo, exec_lo, s1
	s_cbranch_execnz .LBB7_1628
.LBB7_604:                              ;   in Loop: Header=BB7_62 Depth=1
	s_or_b32 exec_lo, exec_lo, s1
	s_and_saveexec_b32 s1, s0
	s_cbranch_execz .LBB7_606
.LBB7_605:                              ;   in Loop: Header=BB7_62 Depth=1
	v_lshrrev_b16 v131, 3, v98
	s_delay_alu instid0(VALU_DEP_1) | instskip(NEXT) | instid1(VALU_DEP_1)
	v_and_b32_e32 v131, 15, v131
	v_cmp_eq_u16_e64 vcc_lo, 0, v131
	v_and_b32_e32 v128, 7, v98
	v_lshrrev_b16 v98, 7, v98
	s_delay_alu instid0(VALU_DEP_2) | instskip(NEXT) | instid1(VALU_DEP_2)
	v_clz_i32_u32_e32 v129, v128
	v_lshlrev_b32_e32 v98, 31, v98
	s_delay_alu instid0(VALU_DEP_2) | instskip(NEXT) | instid1(VALU_DEP_1)
	v_min_u32_e32 v129, 32, v129
	v_subrev_nc_u32_e32 v130, 28, v129
	v_sub_nc_u32_e32 v129, 29, v129
	s_wait_alu 0xfffd
	s_delay_alu instid0(VALU_DEP_1) | instskip(NEXT) | instid1(VALU_DEP_1)
	v_dual_cndmask_b32 v129, v131, v129 :: v_dual_lshlrev_b32 v130, v130, v128
	v_lshl_add_u32 v129, v129, 23, 0x3b800000
	s_delay_alu instid0(VALU_DEP_2) | instskip(NEXT) | instid1(VALU_DEP_1)
	v_and_b32_e32 v130, 7, v130
	v_cndmask_b32_e32 v128, v128, v130, vcc_lo
	s_delay_alu instid0(VALU_DEP_1) | instskip(NEXT) | instid1(VALU_DEP_1)
	v_lshlrev_b32_e32 v128, 20, v128
	v_or3_b32 v128, v98, v129, v128
.LBB7_606:                              ;   in Loop: Header=BB7_62 Depth=1
	s_wait_alu 0xfffe
	s_or_b32 exec_lo, exec_lo, s1
	v_and_b32_e32 v129, 0xff, v118
	s_mov_b32 s0, 0
	s_mov_b32 s1, exec_lo
	s_delay_alu instid0(VALU_DEP_1)
	v_cmpx_lt_i16_e64 0x7f, v129
	s_wait_alu 0xfffe
	s_xor_b32 s1, exec_lo, s1
	s_cbranch_execnz .LBB7_1629
; %bb.607:                              ;   in Loop: Header=BB7_62 Depth=1
	s_wait_alu 0xfffe
	s_or_saveexec_b32 s1, s1
	v_mov_b32_e32 v98, 0x7f800001
	s_wait_alu 0xfffe
	s_xor_b32 exec_lo, exec_lo, s1
	s_cbranch_execnz .LBB7_1632
.LBB7_608:                              ;   in Loop: Header=BB7_62 Depth=1
	s_or_b32 exec_lo, exec_lo, s1
	s_and_saveexec_b32 s1, s0
	s_cbranch_execz .LBB7_610
.LBB7_609:                              ;   in Loop: Header=BB7_62 Depth=1
	v_lshrrev_b16 v131, 3, v118
	s_delay_alu instid0(VALU_DEP_1) | instskip(NEXT) | instid1(VALU_DEP_1)
	v_and_b32_e32 v131, 15, v131
	v_cmp_eq_u16_e64 vcc_lo, 0, v131
	v_and_b32_e32 v98, 7, v118
	v_lshrrev_b16 v118, 7, v118
	s_delay_alu instid0(VALU_DEP_2) | instskip(NEXT) | instid1(VALU_DEP_2)
	v_clz_i32_u32_e32 v129, v98
	v_lshlrev_b32_e32 v118, 31, v118
	s_delay_alu instid0(VALU_DEP_2) | instskip(NEXT) | instid1(VALU_DEP_1)
	v_min_u32_e32 v129, 32, v129
	v_subrev_nc_u32_e32 v130, 28, v129
	v_sub_nc_u32_e32 v129, 29, v129
	s_wait_alu 0xfffd
	s_delay_alu instid0(VALU_DEP_1) | instskip(NEXT) | instid1(VALU_DEP_1)
	v_dual_cndmask_b32 v129, v131, v129 :: v_dual_lshlrev_b32 v130, v130, v98
	v_lshl_add_u32 v129, v129, 23, 0x3b800000
	s_delay_alu instid0(VALU_DEP_2) | instskip(NEXT) | instid1(VALU_DEP_1)
	v_and_b32_e32 v130, 7, v130
	v_cndmask_b32_e32 v98, v98, v130, vcc_lo
	s_delay_alu instid0(VALU_DEP_1) | instskip(NEXT) | instid1(VALU_DEP_1)
	v_lshlrev_b32_e32 v98, 20, v98
	v_or3_b32 v98, v118, v129, v98
.LBB7_610:                              ;   in Loop: Header=BB7_62 Depth=1
	s_wait_alu 0xfffe
	s_or_b32 exec_lo, exec_lo, s1
	v_and_b32_e32 v129, 0xff, v116
	s_mov_b32 s0, 0
	s_mov_b32 s1, exec_lo
	s_delay_alu instid0(VALU_DEP_1)
	v_cmpx_lt_i16_e64 0x7f, v129
	s_wait_alu 0xfffe
	s_xor_b32 s1, exec_lo, s1
	s_cbranch_execnz .LBB7_1633
; %bb.611:                              ;   in Loop: Header=BB7_62 Depth=1
	s_wait_alu 0xfffe
	s_or_saveexec_b32 s1, s1
	v_mov_b32_e32 v118, 0x7f800001
	s_wait_alu 0xfffe
	s_xor_b32 exec_lo, exec_lo, s1
	s_cbranch_execnz .LBB7_1636
.LBB7_612:                              ;   in Loop: Header=BB7_62 Depth=1
	s_or_b32 exec_lo, exec_lo, s1
	s_and_saveexec_b32 s1, s0
	s_cbranch_execz .LBB7_614
.LBB7_613:                              ;   in Loop: Header=BB7_62 Depth=1
	v_lshrrev_b16 v131, 3, v116
	s_delay_alu instid0(VALU_DEP_1) | instskip(NEXT) | instid1(VALU_DEP_1)
	v_and_b32_e32 v131, 15, v131
	v_cmp_eq_u16_e64 vcc_lo, 0, v131
	v_and_b32_e32 v118, 7, v116
	v_lshrrev_b16 v116, 7, v116
	s_delay_alu instid0(VALU_DEP_2) | instskip(NEXT) | instid1(VALU_DEP_2)
	v_clz_i32_u32_e32 v129, v118
	v_lshlrev_b32_e32 v116, 31, v116
	s_delay_alu instid0(VALU_DEP_2) | instskip(NEXT) | instid1(VALU_DEP_1)
	v_min_u32_e32 v129, 32, v129
	v_subrev_nc_u32_e32 v130, 28, v129
	v_sub_nc_u32_e32 v129, 29, v129
	s_wait_alu 0xfffd
	s_delay_alu instid0(VALU_DEP_1) | instskip(NEXT) | instid1(VALU_DEP_1)
	v_dual_cndmask_b32 v129, v131, v129 :: v_dual_lshlrev_b32 v130, v130, v118
	v_lshl_add_u32 v129, v129, 23, 0x3b800000
	s_delay_alu instid0(VALU_DEP_2) | instskip(NEXT) | instid1(VALU_DEP_1)
	v_and_b32_e32 v130, 7, v130
	v_cndmask_b32_e32 v118, v118, v130, vcc_lo
	s_delay_alu instid0(VALU_DEP_1) | instskip(NEXT) | instid1(VALU_DEP_1)
	v_lshlrev_b32_e32 v118, 20, v118
	v_or3_b32 v118, v116, v129, v118
.LBB7_614:                              ;   in Loop: Header=BB7_62 Depth=1
	s_wait_alu 0xfffe
	s_or_b32 exec_lo, exec_lo, s1
	s_mov_b32 s0, 0
	s_mov_b32 s1, exec_lo
	v_cmpx_lt_i16_e32 0x7f, v115
	s_wait_alu 0xfffe
	s_xor_b32 s1, exec_lo, s1
	s_cbranch_execnz .LBB7_1637
; %bb.615:                              ;   in Loop: Header=BB7_62 Depth=1
	s_wait_alu 0xfffe
	s_or_saveexec_b32 s1, s1
	v_mov_b32_e32 v116, 0x7f800001
	s_wait_alu 0xfffe
	s_xor_b32 exec_lo, exec_lo, s1
	s_cbranch_execnz .LBB7_1640
.LBB7_616:                              ;   in Loop: Header=BB7_62 Depth=1
	s_or_b32 exec_lo, exec_lo, s1
	s_and_saveexec_b32 s1, s0
	s_cbranch_execz .LBB7_618
.LBB7_617:                              ;   in Loop: Header=BB7_62 Depth=1
	v_lshrrev_b16 v131, 3, v115
	s_delay_alu instid0(VALU_DEP_1) | instskip(NEXT) | instid1(VALU_DEP_1)
	v_and_b32_e32 v131, 15, v131
	v_cmp_eq_u16_e64 vcc_lo, 0, v131
	v_and_b32_e32 v116, 7, v115
	v_lshrrev_b16 v115, 7, v115
	s_delay_alu instid0(VALU_DEP_2) | instskip(NEXT) | instid1(VALU_DEP_2)
	v_clz_i32_u32_e32 v129, v116
	v_lshlrev_b32_e32 v115, 31, v115
	s_delay_alu instid0(VALU_DEP_2) | instskip(NEXT) | instid1(VALU_DEP_1)
	v_min_u32_e32 v129, 32, v129
	v_subrev_nc_u32_e32 v130, 28, v129
	v_sub_nc_u32_e32 v129, 29, v129
	s_wait_alu 0xfffd
	s_delay_alu instid0(VALU_DEP_1) | instskip(NEXT) | instid1(VALU_DEP_1)
	v_dual_cndmask_b32 v129, v131, v129 :: v_dual_lshlrev_b32 v130, v130, v116
	v_lshl_add_u32 v129, v129, 23, 0x3b800000
	s_delay_alu instid0(VALU_DEP_2) | instskip(NEXT) | instid1(VALU_DEP_1)
	v_and_b32_e32 v130, 7, v130
	v_cndmask_b32_e32 v116, v116, v130, vcc_lo
	s_delay_alu instid0(VALU_DEP_1) | instskip(NEXT) | instid1(VALU_DEP_1)
	v_lshlrev_b32_e32 v116, 20, v116
	v_or3_b32 v116, v115, v129, v116
.LBB7_618:                              ;   in Loop: Header=BB7_62 Depth=1
	s_wait_alu 0xfffe
	s_or_b32 exec_lo, exec_lo, s1
	v_and_b32_e32 v129, 0xff, v99
	s_mov_b32 s0, 0
	s_mov_b32 s1, exec_lo
	s_delay_alu instid0(VALU_DEP_1)
	v_cmpx_lt_i16_e64 0x7f, v129
	s_wait_alu 0xfffe
	s_xor_b32 s1, exec_lo, s1
	s_cbranch_execnz .LBB7_1641
; %bb.619:                              ;   in Loop: Header=BB7_62 Depth=1
	s_wait_alu 0xfffe
	s_or_saveexec_b32 s1, s1
	v_mov_b32_e32 v115, 0x7f800001
	s_wait_alu 0xfffe
	s_xor_b32 exec_lo, exec_lo, s1
	s_cbranch_execnz .LBB7_1644
.LBB7_620:                              ;   in Loop: Header=BB7_62 Depth=1
	s_or_b32 exec_lo, exec_lo, s1
	s_and_saveexec_b32 s1, s0
	s_cbranch_execz .LBB7_622
.LBB7_621:                              ;   in Loop: Header=BB7_62 Depth=1
	v_and_b32_e32 v115, 7, v99
	v_lshrrev_b16 v131, 3, v99
	v_lshrrev_b16 v99, 7, v99
	s_delay_alu instid0(VALU_DEP_3) | instskip(NEXT) | instid1(VALU_DEP_3)
	v_clz_i32_u32_e32 v129, v115
	v_and_b32_e32 v131, 15, v131
	s_delay_alu instid0(VALU_DEP_3) | instskip(NEXT) | instid1(VALU_DEP_3)
	v_lshlrev_b32_e32 v99, 31, v99
	v_min_u32_e32 v129, 32, v129
	s_delay_alu instid0(VALU_DEP_3) | instskip(NEXT) | instid1(VALU_DEP_2)
	v_cmp_eq_u16_e64 vcc_lo, 0, v131
	v_subrev_nc_u32_e32 v130, 28, v129
	v_sub_nc_u32_e32 v129, 29, v129
	s_wait_alu 0xfffd
	s_delay_alu instid0(VALU_DEP_1) | instskip(NEXT) | instid1(VALU_DEP_1)
	v_dual_cndmask_b32 v129, v131, v129 :: v_dual_lshlrev_b32 v130, v130, v115
	v_and_b32_e32 v130, 7, v130
	s_delay_alu instid0(VALU_DEP_2) | instskip(NEXT) | instid1(VALU_DEP_2)
	v_lshl_add_u32 v129, v129, 23, 0x3b800000
	v_cndmask_b32_e32 v115, v115, v130, vcc_lo
	s_delay_alu instid0(VALU_DEP_1) | instskip(NEXT) | instid1(VALU_DEP_1)
	v_lshlrev_b32_e32 v115, 20, v115
	v_or3_b32 v115, v99, v129, v115
.LBB7_622:                              ;   in Loop: Header=BB7_62 Depth=1
	s_wait_alu 0xfffe
	s_or_b32 exec_lo, exec_lo, s1
	v_and_b32_e32 v129, 0xff, v112
	s_mov_b32 s0, 0
	s_mov_b32 s1, exec_lo
	s_delay_alu instid0(VALU_DEP_1)
	v_cmpx_lt_i16_e64 0x7f, v129
	s_wait_alu 0xfffe
	s_xor_b32 s1, exec_lo, s1
	s_cbranch_execnz .LBB7_1645
; %bb.623:                              ;   in Loop: Header=BB7_62 Depth=1
	s_wait_alu 0xfffe
	s_or_saveexec_b32 s1, s1
	v_mov_b32_e32 v99, 0x7f800001
	s_wait_alu 0xfffe
	s_xor_b32 exec_lo, exec_lo, s1
	s_cbranch_execnz .LBB7_1648
.LBB7_624:                              ;   in Loop: Header=BB7_62 Depth=1
	s_or_b32 exec_lo, exec_lo, s1
	s_and_saveexec_b32 s1, s0
	s_cbranch_execz .LBB7_626
.LBB7_625:                              ;   in Loop: Header=BB7_62 Depth=1
	v_and_b32_e32 v99, 7, v112
	v_lshrrev_b16 v131, 3, v112
	v_lshrrev_b16 v112, 7, v112
	s_delay_alu instid0(VALU_DEP_3) | instskip(NEXT) | instid1(VALU_DEP_3)
	v_clz_i32_u32_e32 v129, v99
	v_and_b32_e32 v131, 15, v131
	s_delay_alu instid0(VALU_DEP_3) | instskip(NEXT) | instid1(VALU_DEP_3)
	v_lshlrev_b32_e32 v112, 31, v112
	v_min_u32_e32 v129, 32, v129
	s_delay_alu instid0(VALU_DEP_3) | instskip(NEXT) | instid1(VALU_DEP_2)
	v_cmp_eq_u16_e64 vcc_lo, 0, v131
	v_subrev_nc_u32_e32 v130, 28, v129
	v_sub_nc_u32_e32 v129, 29, v129
	s_wait_alu 0xfffd
	s_delay_alu instid0(VALU_DEP_1) | instskip(NEXT) | instid1(VALU_DEP_1)
	v_dual_cndmask_b32 v129, v131, v129 :: v_dual_lshlrev_b32 v130, v130, v99
	v_and_b32_e32 v130, 7, v130
	s_delay_alu instid0(VALU_DEP_2) | instskip(NEXT) | instid1(VALU_DEP_2)
	v_lshl_add_u32 v129, v129, 23, 0x3b800000
	v_cndmask_b32_e32 v99, v99, v130, vcc_lo
	s_delay_alu instid0(VALU_DEP_1) | instskip(NEXT) | instid1(VALU_DEP_1)
	v_lshlrev_b32_e32 v99, 20, v99
	v_or3_b32 v99, v112, v129, v99
.LBB7_626:                              ;   in Loop: Header=BB7_62 Depth=1
	s_wait_alu 0xfffe
	s_or_b32 exec_lo, exec_lo, s1
	v_and_b32_e32 v129, 0xff, v102
	s_mov_b32 s0, 0
	s_mov_b32 s1, exec_lo
	s_delay_alu instid0(VALU_DEP_1)
	v_cmpx_lt_i16_e64 0x7f, v129
	s_wait_alu 0xfffe
	s_xor_b32 s1, exec_lo, s1
	s_cbranch_execnz .LBB7_1649
; %bb.627:                              ;   in Loop: Header=BB7_62 Depth=1
	s_wait_alu 0xfffe
	s_or_saveexec_b32 s1, s1
	v_mov_b32_e32 v112, 0x7f800001
	s_wait_alu 0xfffe
	s_xor_b32 exec_lo, exec_lo, s1
	s_cbranch_execnz .LBB7_1652
.LBB7_628:                              ;   in Loop: Header=BB7_62 Depth=1
	s_or_b32 exec_lo, exec_lo, s1
	s_and_saveexec_b32 s1, s0
	s_cbranch_execz .LBB7_630
.LBB7_629:                              ;   in Loop: Header=BB7_62 Depth=1
	v_lshrrev_b16 v131, 3, v102
	s_delay_alu instid0(VALU_DEP_1) | instskip(NEXT) | instid1(VALU_DEP_1)
	v_and_b32_e32 v131, 15, v131
	v_cmp_eq_u16_e64 vcc_lo, 0, v131
	v_and_b32_e32 v112, 7, v102
	v_lshrrev_b16 v102, 7, v102
	s_delay_alu instid0(VALU_DEP_2) | instskip(NEXT) | instid1(VALU_DEP_2)
	v_clz_i32_u32_e32 v129, v112
	v_lshlrev_b32_e32 v102, 31, v102
	s_delay_alu instid0(VALU_DEP_2) | instskip(NEXT) | instid1(VALU_DEP_1)
	v_min_u32_e32 v129, 32, v129
	v_subrev_nc_u32_e32 v130, 28, v129
	v_sub_nc_u32_e32 v129, 29, v129
	s_wait_alu 0xfffd
	s_delay_alu instid0(VALU_DEP_1) | instskip(NEXT) | instid1(VALU_DEP_1)
	v_dual_cndmask_b32 v129, v131, v129 :: v_dual_lshlrev_b32 v130, v130, v112
	v_lshl_add_u32 v129, v129, 23, 0x3b800000
	s_delay_alu instid0(VALU_DEP_2) | instskip(NEXT) | instid1(VALU_DEP_1)
	v_and_b32_e32 v130, 7, v130
	v_cndmask_b32_e32 v112, v112, v130, vcc_lo
	s_delay_alu instid0(VALU_DEP_1) | instskip(NEXT) | instid1(VALU_DEP_1)
	v_lshlrev_b32_e32 v112, 20, v112
	v_or3_b32 v112, v102, v129, v112
.LBB7_630:                              ;   in Loop: Header=BB7_62 Depth=1
	s_wait_alu 0xfffe
	s_or_b32 exec_lo, exec_lo, s1
	s_mov_b32 s0, 0
	s_mov_b32 s1, exec_lo
	v_cmpx_lt_i16_e32 0x7f, v101
	s_wait_alu 0xfffe
	s_xor_b32 s1, exec_lo, s1
	s_cbranch_execnz .LBB7_1653
; %bb.631:                              ;   in Loop: Header=BB7_62 Depth=1
	s_wait_alu 0xfffe
	s_or_saveexec_b32 s1, s1
	v_mov_b32_e32 v102, 0x7f800001
	s_wait_alu 0xfffe
	s_xor_b32 exec_lo, exec_lo, s1
	s_cbranch_execnz .LBB7_1656
.LBB7_632:                              ;   in Loop: Header=BB7_62 Depth=1
	s_or_b32 exec_lo, exec_lo, s1
	s_and_saveexec_b32 s1, s0
	s_cbranch_execz .LBB7_634
.LBB7_633:                              ;   in Loop: Header=BB7_62 Depth=1
	v_and_b32_e32 v102, 7, v101
	v_lshrrev_b16 v131, 3, v101
	v_lshrrev_b16 v101, 7, v101
	s_delay_alu instid0(VALU_DEP_3) | instskip(NEXT) | instid1(VALU_DEP_3)
	v_clz_i32_u32_e32 v129, v102
	v_and_b32_e32 v131, 15, v131
	s_delay_alu instid0(VALU_DEP_3) | instskip(NEXT) | instid1(VALU_DEP_3)
	v_lshlrev_b32_e32 v101, 31, v101
	v_min_u32_e32 v129, 32, v129
	s_delay_alu instid0(VALU_DEP_3) | instskip(NEXT) | instid1(VALU_DEP_2)
	v_cmp_eq_u16_e64 vcc_lo, 0, v131
	v_subrev_nc_u32_e32 v130, 28, v129
	v_sub_nc_u32_e32 v129, 29, v129
	s_wait_alu 0xfffd
	s_delay_alu instid0(VALU_DEP_1) | instskip(NEXT) | instid1(VALU_DEP_1)
	v_dual_cndmask_b32 v129, v131, v129 :: v_dual_lshlrev_b32 v130, v130, v102
	v_and_b32_e32 v130, 7, v130
	s_delay_alu instid0(VALU_DEP_2) | instskip(NEXT) | instid1(VALU_DEP_2)
	v_lshl_add_u32 v129, v129, 23, 0x3b800000
	v_cndmask_b32_e32 v102, v102, v130, vcc_lo
	s_delay_alu instid0(VALU_DEP_1) | instskip(NEXT) | instid1(VALU_DEP_1)
	v_lshlrev_b32_e32 v102, 20, v102
	v_or3_b32 v102, v101, v129, v102
.LBB7_634:                              ;   in Loop: Header=BB7_62 Depth=1
	s_wait_alu 0xfffe
	s_or_b32 exec_lo, exec_lo, s1
	v_cvt_pk_rtz_f16_f32_e32 v192, v100, v96
	v_cvt_pk_rtz_f16_f32_e32 v193, v103, v113
	;; [unrolled: 1-line block ×8, first 2 shown]
	s_clause 0x1
	scratch_store_b128 off, v[192:195], s33 offset:224
	scratch_store_b128 off, v[97:100], s33 offset:240
	s_clause 0x3
	flat_load_b64 v[101:102], v[146:147] offset:224
	flat_load_b64 v[116:117], v[146:147] offset:240
	flat_load_b128 v[112:115], v[146:147] offset:252
	flat_load_b96 v[96:98], v[146:147] offset:208
	flat_load_b64 v[99:100], v[144:145]
	v_ashrrev_i32_e32 v103, 31, v93
	v_add_co_u32 v118, vcc_lo, v75, v93
	s_mov_b32 s0, 0
	s_mov_b32 s1, exec_lo
	s_wait_alu 0xfffd
	v_add_co_ci_u32_e64 v119, null, v76, v103, vcc_lo
	flat_load_b128 v[60:63], v[118:119]
	s_wait_loadcnt_dscnt 0x404
	v_sub_nc_u32_e32 v101, v101, v117
	s_wait_loadcnt_dscnt 0x303
	v_add_nc_u32_e32 v117, 8, v115
	v_sub_nc_u32_e32 v103, v102, v116
	v_add_nc_u32_e32 v112, v116, v112
	v_add_nc_u32_e32 v116, 16, v115
	v_add3_u32 v101, v101, v113, 16
	v_add_nc_u32_e32 v118, 24, v115
	v_add_nc_u32_e32 v119, 32, v115
	;; [unrolled: 1-line block ×13, first 2 shown]
	v_ashrrev_i32_e32 v227, 31, v101
	v_ashrrev_i32_e32 v113, 31, v117
	v_sub_nc_u32_e32 v102, v102, v112
	v_ashrrev_i32_e32 v112, 31, v116
	v_ashrrev_i32_e32 v198, 31, v118
	;; [unrolled: 1-line block ×14, first 2 shown]
	v_lshrrev_b32_e32 v227, 27, v227
	v_lshrrev_b32_e32 v113, 29, v113
	s_wait_loadcnt_dscnt 0x202
	v_sub_nc_u32_e32 v98, v101, v98
	v_lshrrev_b32_e32 v112, 29, v112
	v_lshrrev_b32_e32 v198, 29, v198
	;; [unrolled: 1-line block ×14, first 2 shown]
	v_add_nc_u32_e32 v227, v101, v227
	v_add_nc_u32_e32 v113, v117, v113
	v_sub_nc_u32_e32 v114, v96, v114
	v_lshlrev_b32_e32 v98, 8, v98
	v_add_nc_u32_e32 v112, v116, v112
	v_add_nc_u32_e32 v198, v118, v198
	;; [unrolled: 1-line block ×14, first 2 shown]
	v_and_b32_e32 v227, 0xffffffe0, v227
	v_lshrrev_b32_e32 v228, 3, v113
	v_and_b32_e32 v113, -8, v113
	v_add_nc_u32_e32 v229, v114, v98
	v_lshrrev_b32_e32 v114, 3, v112
	v_and_b32_e32 v112, -8, v112
	v_lshrrev_b32_e32 v230, 3, v198
	v_and_b32_e32 v198, -8, v198
	;; [unrolled: 2-line block ×12, first 2 shown]
	v_lshrrev_b32_e32 v41, 3, v225
	v_lshrrev_b32_e32 v42, 3, v226
	v_sub_nc_u32_e32 v101, v101, v227
	v_sub_nc_u32_e32 v113, v117, v113
	v_add_nc_u32_e32 v117, v228, v102
	v_add_nc_u32_e32 v114, v114, v102
	v_sub_nc_u32_e32 v112, v116, v112
	v_sub_nc_u32_e32 v116, v118, v198
	v_add_nc_u32_e32 v118, v230, v102
	v_sub_nc_u32_e32 v119, v119, v199
	v_add_nc_u32_e32 v198, v231, v102
	;; [unrolled: 2-line block ×11, first 2 shown]
	v_add_nc_u32_e32 v224, v41, v102
	v_add_nc_u32_e32 v102, v42, v102
	v_xor_b32_e32 v103, v101, v103
	v_xor_b32_e32 v117, v117, v101
	;; [unrolled: 1-line block ×16, first 2 shown]
	v_sub_nc_u32_e32 v102, v103, v97
	v_sub_nc_u32_e32 v103, v117, v97
	;; [unrolled: 1-line block ×3, first 2 shown]
	v_and_b32_e32 v225, -8, v225
	v_and_b32_e32 v226, -8, v226
	v_sub_nc_u32_e32 v117, v118, v97
	v_sub_nc_u32_e32 v118, v198, v97
	;; [unrolled: 1-line block ×13, first 2 shown]
	v_lshlrev_b32_e32 v101, 3, v102
	v_lshlrev_b32_e32 v102, 3, v103
	;; [unrolled: 1-line block ×3, first 2 shown]
	v_sub_nc_u32_e32 v197, v197, v225
	v_sub_nc_u32_e32 v115, v115, v226
	v_lshlrev_b32_e32 v114, 3, v117
	v_lshlrev_b32_e32 v117, 3, v118
	;; [unrolled: 1-line block ×9, first 2 shown]
	v_add3_u32 v96, v98, v96, v101
	v_add3_u32 v101, v113, v229, v102
	;; [unrolled: 1-line block ×3, first 2 shown]
	v_lshlrev_b32_e32 v209, 3, v192
	v_add3_u32 v192, v131, v229, v208
	v_add3_u32 v208, v195, v229, v212
	;; [unrolled: 1-line block ×4, first 2 shown]
	v_ashrrev_i32_e32 v97, 31, v96
	v_add3_u32 v114, v116, v229, v114
	v_ashrrev_i32_e32 v102, 31, v101
	v_add3_u32 v116, v119, v229, v117
	;; [unrolled: 2-line block ×3, first 2 shown]
	v_lshlrev_b64_e32 v[96:97], 1, v[96:97]
	v_ashrrev_i32_e32 v115, 31, v114
	v_add3_u32 v128, v129, v229, v198
	v_lshlrev_b64_e32 v[101:102], 1, v[101:102]
	v_ashrrev_i32_e32 v117, 31, v116
	v_add3_u32 v130, v130, v229, v199
	v_lshlrev_b64_e32 v[112:113], 1, v[112:113]
	v_lshlrev_b32_e32 v210, 3, v210
	v_ashrrev_i32_e32 v119, 31, v118
	v_lshlrev_b64_e32 v[114:115], 1, v[114:115]
	s_wait_loadcnt_dscnt 0x101
	v_add_co_u32 v96, vcc_lo, v99, v96
	v_lshlrev_b32_e32 v224, 3, v194
	v_ashrrev_i32_e32 v129, 31, v128
	v_add3_u32 v194, v211, v229, v209
	v_lshlrev_b64_e32 v[116:117], 1, v[116:117]
	s_wait_alu 0xfffd
	v_add_co_ci_u32_e64 v97, null, v100, v97, vcc_lo
	v_add_co_u32 v101, vcc_lo, v99, v101
	v_ashrrev_i32_e32 v131, 31, v130
	v_lshlrev_b32_e32 v225, 3, v196
	v_add3_u32 v196, v193, v229, v210
	v_lshlrev_b64_e32 v[118:119], 1, v[118:119]
	s_wait_alu 0xfffd
	v_add_co_ci_u32_e64 v102, null, v100, v102, vcc_lo
	v_add_co_u32 v112, vcc_lo, v99, v112
	v_ashrrev_i32_e32 v193, 31, v192
	v_add3_u32 v198, v213, v229, v224
	v_lshlrev_b64_e32 v[128:129], 1, v[128:129]
	s_wait_alu 0xfffd
	v_add_co_ci_u32_e64 v113, null, v100, v113, vcc_lo
	v_add_co_u32 v114, vcc_lo, v99, v114
	v_ashrrev_i32_e32 v195, 31, v194
	v_lshlrev_b64_e32 v[130:131], 1, v[130:131]
	s_wait_alu 0xfffd
	v_add_co_ci_u32_e64 v115, null, v100, v115, vcc_lo
	v_add_co_u32 v116, vcc_lo, v99, v116
	v_ashrrev_i32_e32 v197, 31, v196
	v_add3_u32 v210, v215, v229, v225
	v_lshlrev_b64_e32 v[192:193], 1, v[192:193]
	s_wait_alu 0xfffd
	v_add_co_ci_u32_e64 v117, null, v100, v117, vcc_lo
	v_add_co_u32 v118, vcc_lo, v99, v118
	v_ashrrev_i32_e32 v199, 31, v198
	v_lshlrev_b64_e32 v[194:195], 1, v[194:195]
	s_wait_alu 0xfffd
	v_add_co_ci_u32_e64 v119, null, v100, v119, vcc_lo
	v_add_co_u32 v128, vcc_lo, v99, v128
	v_ashrrev_i32_e32 v209, 31, v208
	;; [unrolled: 5-line block ×5, first 2 shown]
	v_lshlrev_b64_e32 v[210:211], 1, v[210:211]
	s_wait_alu 0xfffd
	v_add_co_ci_u32_e64 v195, null, v100, v195, vcc_lo
	v_add_co_u32 v77, vcc_lo, v99, v196
	v_lshlrev_b64_e32 v[212:213], 1, v[212:213]
	s_wait_alu 0xfffd
	v_add_co_ci_u32_e64 v78, null, v100, v197, vcc_lo
	v_add_co_u32 v88, vcc_lo, v99, v198
	;; [unrolled: 4-line block ×3, first 2 shown]
	s_wait_alu 0xfffd
	v_add_co_ci_u32_e64 v92, null, v100, v209, vcc_lo
	v_add_co_u32 v94, vcc_lo, v99, v210
	s_wait_alu 0xfffd
	v_add_co_ci_u32_e64 v95, null, v100, v211, vcc_lo
	v_add_co_u32 v103, vcc_lo, v99, v212
	;; [unrolled: 3-line block ×3, first 2 shown]
	s_wait_alu 0xfffd
	v_add_co_ci_u32_e64 v99, null, v100, v215, vcc_lo
	s_clause 0xf
	flat_load_b128 v[44:47], v[96:97]
	flat_load_b128 v[56:59], v[101:102]
	;; [unrolled: 1-line block ×16, first 2 shown]
	s_wait_loadcnt_dscnt 0x1010
	v_and_b32_e32 v78, 0xff, v60
	s_delay_alu instid0(VALU_DEP_1)
	v_cmpx_lt_i16_e32 0x7f, v78
	s_wait_alu 0xfffe
	s_xor_b32 s1, exec_lo, s1
	s_cbranch_execnz .LBB7_1657
; %bb.635:                              ;   in Loop: Header=BB7_62 Depth=1
	s_wait_alu 0xfffe
	s_or_saveexec_b32 s1, s1
	v_mov_b32_e32 v77, 0x7f800001
	s_wait_alu 0xfffe
	s_xor_b32 exec_lo, exec_lo, s1
	s_cbranch_execnz .LBB7_1660
.LBB7_636:                              ;   in Loop: Header=BB7_62 Depth=1
	s_or_b32 exec_lo, exec_lo, s1
	s_and_saveexec_b32 s1, s0
	s_cbranch_execz .LBB7_638
.LBB7_637:                              ;   in Loop: Header=BB7_62 Depth=1
	v_lshrrev_b16 v89, 3, v60
	v_lshrrev_b16 v91, 7, v60
	s_delay_alu instid0(VALU_DEP_2) | instskip(NEXT) | instid1(VALU_DEP_1)
	v_and_b32_e32 v89, 15, v89
	v_cmp_eq_u16_e32 vcc_lo, 0, v89
	v_and_b32_e32 v77, 7, v60
	s_delay_alu instid0(VALU_DEP_1) | instskip(NEXT) | instid1(VALU_DEP_1)
	v_clz_i32_u32_e32 v78, v77
	v_min_u32_e32 v78, 32, v78
	s_delay_alu instid0(VALU_DEP_1) | instskip(SKIP_2) | instid1(VALU_DEP_1)
	v_subrev_nc_u32_e32 v88, 28, v78
	v_sub_nc_u32_e32 v78, 29, v78
	s_wait_alu 0xfffd
	v_cndmask_b32_e32 v78, v89, v78, vcc_lo
	s_delay_alu instid0(VALU_DEP_3) | instskip(NEXT) | instid1(VALU_DEP_2)
	v_lshlrev_b32_e32 v88, v88, v77
	v_lshl_add_u32 v78, v78, 23, 0x3b800000
	s_delay_alu instid0(VALU_DEP_2) | instskip(NEXT) | instid1(VALU_DEP_1)
	v_and_b32_e32 v88, 7, v88
	v_dual_cndmask_b32 v77, v77, v88 :: v_dual_lshlrev_b32 v88, 31, v91
	s_delay_alu instid0(VALU_DEP_1) | instskip(NEXT) | instid1(VALU_DEP_1)
	v_lshlrev_b32_e32 v77, 20, v77
	v_or3_b32 v77, v88, v78, v77
.LBB7_638:                              ;   in Loop: Header=BB7_62 Depth=1
	s_wait_alu 0xfffe
	s_or_b32 exec_lo, exec_lo, s1
	v_lshrrev_b32_e32 v89, 8, v60
	v_lshrrev_b32_e32 v78, 24, v63
	;; [unrolled: 1-line block ×12, first 2 shown]
	v_and_b32_e32 v109, 0xff, v89
	s_mov_b32 s0, 0
	s_mov_b32 s1, exec_lo
	s_delay_alu instid0(VALU_DEP_1)
	v_cmpx_lt_i16_e32 0x7f, v109
	s_wait_alu 0xfffe
	s_xor_b32 s1, exec_lo, s1
	s_cbranch_execnz .LBB7_1661
; %bb.639:                              ;   in Loop: Header=BB7_62 Depth=1
	s_wait_alu 0xfffe
	s_or_saveexec_b32 s1, s1
	v_mov_b32_e32 v60, 0x7f800001
	s_wait_alu 0xfffe
	s_xor_b32 exec_lo, exec_lo, s1
	s_cbranch_execnz .LBB7_1664
.LBB7_640:                              ;   in Loop: Header=BB7_62 Depth=1
	s_or_b32 exec_lo, exec_lo, s1
	s_and_saveexec_b32 s1, s0
	s_cbranch_execz .LBB7_642
.LBB7_641:                              ;   in Loop: Header=BB7_62 Depth=1
	v_and_b32_e32 v60, 7, v89
	v_lshrrev_b16 v111, 3, v89
	v_lshrrev_b16 v89, 7, v89
	s_delay_alu instid0(VALU_DEP_3) | instskip(NEXT) | instid1(VALU_DEP_3)
	v_clz_i32_u32_e32 v109, v60
	v_and_b32_e32 v111, 15, v111
	s_delay_alu instid0(VALU_DEP_3) | instskip(NEXT) | instid1(VALU_DEP_3)
	v_lshlrev_b32_e32 v89, 31, v89
	v_min_u32_e32 v109, 32, v109
	s_delay_alu instid0(VALU_DEP_3) | instskip(NEXT) | instid1(VALU_DEP_2)
	v_cmp_eq_u16_e32 vcc_lo, 0, v111
	v_subrev_nc_u32_e32 v110, 28, v109
	v_sub_nc_u32_e32 v109, 29, v109
	s_wait_alu 0xfffd
	s_delay_alu instid0(VALU_DEP_1) | instskip(NEXT) | instid1(VALU_DEP_1)
	v_dual_cndmask_b32 v109, v111, v109 :: v_dual_lshlrev_b32 v110, v110, v60
	v_and_b32_e32 v110, 7, v110
	s_delay_alu instid0(VALU_DEP_2) | instskip(NEXT) | instid1(VALU_DEP_2)
	v_lshl_add_u32 v109, v109, 23, 0x3b800000
	v_cndmask_b32_e32 v60, v60, v110, vcc_lo
	s_delay_alu instid0(VALU_DEP_1) | instskip(NEXT) | instid1(VALU_DEP_1)
	v_lshlrev_b32_e32 v60, 20, v60
	v_or3_b32 v60, v89, v109, v60
.LBB7_642:                              ;   in Loop: Header=BB7_62 Depth=1
	s_wait_alu 0xfffe
	s_or_b32 exec_lo, exec_lo, s1
	v_and_b32_e32 v109, 0xff, v92
	s_mov_b32 s0, 0
	s_mov_b32 s1, exec_lo
	s_delay_alu instid0(VALU_DEP_1)
	v_cmpx_lt_i16_e32 0x7f, v109
	s_wait_alu 0xfffe
	s_xor_b32 s1, exec_lo, s1
	s_cbranch_execnz .LBB7_1665
; %bb.643:                              ;   in Loop: Header=BB7_62 Depth=1
	s_wait_alu 0xfffe
	s_or_saveexec_b32 s1, s1
	v_mov_b32_e32 v89, 0x7f800001
	s_wait_alu 0xfffe
	s_xor_b32 exec_lo, exec_lo, s1
	s_cbranch_execnz .LBB7_1668
.LBB7_644:                              ;   in Loop: Header=BB7_62 Depth=1
	s_or_b32 exec_lo, exec_lo, s1
	s_and_saveexec_b32 s1, s0
	s_cbranch_execz .LBB7_646
.LBB7_645:                              ;   in Loop: Header=BB7_62 Depth=1
	v_and_b32_e32 v89, 7, v92
	v_lshrrev_b16 v111, 3, v92
	v_lshrrev_b16 v92, 7, v92
	s_delay_alu instid0(VALU_DEP_3) | instskip(NEXT) | instid1(VALU_DEP_3)
	v_clz_i32_u32_e32 v109, v89
	v_and_b32_e32 v111, 15, v111
	s_delay_alu instid0(VALU_DEP_3) | instskip(NEXT) | instid1(VALU_DEP_3)
	v_lshlrev_b32_e32 v92, 31, v92
	v_min_u32_e32 v109, 32, v109
	s_delay_alu instid0(VALU_DEP_3) | instskip(NEXT) | instid1(VALU_DEP_2)
	v_cmp_eq_u16_e32 vcc_lo, 0, v111
	v_subrev_nc_u32_e32 v110, 28, v109
	v_sub_nc_u32_e32 v109, 29, v109
	s_delay_alu instid0(VALU_DEP_2) | instskip(SKIP_1) | instid1(VALU_DEP_1)
	v_lshlrev_b32_e32 v110, v110, v89
	s_wait_alu 0xfffd
	v_dual_cndmask_b32 v109, v111, v109 :: v_dual_and_b32 v110, 7, v110
	s_delay_alu instid0(VALU_DEP_1) | instskip(NEXT) | instid1(VALU_DEP_2)
	v_lshl_add_u32 v109, v109, 23, 0x3b800000
	v_cndmask_b32_e32 v89, v89, v110, vcc_lo
	s_delay_alu instid0(VALU_DEP_1) | instskip(NEXT) | instid1(VALU_DEP_1)
	v_lshlrev_b32_e32 v89, 20, v89
	v_or3_b32 v89, v92, v109, v89
.LBB7_646:                              ;   in Loop: Header=BB7_62 Depth=1
	s_wait_alu 0xfffe
	s_or_b32 exec_lo, exec_lo, s1
	s_mov_b32 s0, 0
	s_mov_b32 s1, exec_lo
	v_cmpx_lt_i16_e32 0x7f, v94
	s_wait_alu 0xfffe
	s_xor_b32 s1, exec_lo, s1
	s_cbranch_execnz .LBB7_1669
; %bb.647:                              ;   in Loop: Header=BB7_62 Depth=1
	s_wait_alu 0xfffe
	s_or_saveexec_b32 s1, s1
	v_mov_b32_e32 v92, 0x7f800001
	s_wait_alu 0xfffe
	s_xor_b32 exec_lo, exec_lo, s1
	s_cbranch_execnz .LBB7_1672
.LBB7_648:                              ;   in Loop: Header=BB7_62 Depth=1
	s_or_b32 exec_lo, exec_lo, s1
	s_and_saveexec_b32 s1, s0
	s_cbranch_execz .LBB7_650
.LBB7_649:                              ;   in Loop: Header=BB7_62 Depth=1
	v_lshrrev_b16 v111, 3, v94
	s_delay_alu instid0(VALU_DEP_1) | instskip(NEXT) | instid1(VALU_DEP_1)
	v_and_b32_e32 v111, 15, v111
	v_cmp_eq_u16_e32 vcc_lo, 0, v111
	v_and_b32_e32 v92, 7, v94
	v_lshrrev_b16 v94, 7, v94
	s_delay_alu instid0(VALU_DEP_2) | instskip(NEXT) | instid1(VALU_DEP_2)
	v_clz_i32_u32_e32 v109, v92
	v_lshlrev_b32_e32 v94, 31, v94
	s_delay_alu instid0(VALU_DEP_2) | instskip(NEXT) | instid1(VALU_DEP_1)
	v_min_u32_e32 v109, 32, v109
	v_subrev_nc_u32_e32 v110, 28, v109
	v_sub_nc_u32_e32 v109, 29, v109
	s_wait_alu 0xfffd
	s_delay_alu instid0(VALU_DEP_1) | instskip(NEXT) | instid1(VALU_DEP_1)
	v_dual_cndmask_b32 v109, v111, v109 :: v_dual_lshlrev_b32 v110, v110, v92
	v_lshl_add_u32 v109, v109, 23, 0x3b800000
	s_delay_alu instid0(VALU_DEP_2) | instskip(NEXT) | instid1(VALU_DEP_1)
	v_and_b32_e32 v110, 7, v110
	v_cndmask_b32_e32 v92, v92, v110, vcc_lo
	s_delay_alu instid0(VALU_DEP_1) | instskip(NEXT) | instid1(VALU_DEP_1)
	v_lshlrev_b32_e32 v92, 20, v92
	v_or3_b32 v92, v94, v109, v92
.LBB7_650:                              ;   in Loop: Header=BB7_62 Depth=1
	s_wait_alu 0xfffe
	s_or_b32 exec_lo, exec_lo, s1
	v_and_b32_e32 v109, 0xff, v61
	s_mov_b32 s0, 0
	s_mov_b32 s1, exec_lo
	s_delay_alu instid0(VALU_DEP_1)
	v_cmpx_lt_i16_e32 0x7f, v109
	s_wait_alu 0xfffe
	s_xor_b32 s1, exec_lo, s1
	s_cbranch_execnz .LBB7_1673
; %bb.651:                              ;   in Loop: Header=BB7_62 Depth=1
	s_wait_alu 0xfffe
	s_or_saveexec_b32 s1, s1
	v_mov_b32_e32 v94, 0x7f800001
	s_wait_alu 0xfffe
	s_xor_b32 exec_lo, exec_lo, s1
	s_cbranch_execnz .LBB7_1676
.LBB7_652:                              ;   in Loop: Header=BB7_62 Depth=1
	s_or_b32 exec_lo, exec_lo, s1
	s_and_saveexec_b32 s1, s0
	s_cbranch_execz .LBB7_654
.LBB7_653:                              ;   in Loop: Header=BB7_62 Depth=1
	v_and_b32_e32 v94, 7, v61
	v_lshrrev_b16 v111, 3, v61
	v_lshrrev_b16 v61, 7, v61
	s_delay_alu instid0(VALU_DEP_3) | instskip(NEXT) | instid1(VALU_DEP_3)
	v_clz_i32_u32_e32 v109, v94
	v_and_b32_e32 v111, 15, v111
	s_delay_alu instid0(VALU_DEP_3) | instskip(NEXT) | instid1(VALU_DEP_3)
	v_lshlrev_b32_e32 v61, 31, v61
	v_min_u32_e32 v109, 32, v109
	s_delay_alu instid0(VALU_DEP_3) | instskip(NEXT) | instid1(VALU_DEP_2)
	v_cmp_eq_u16_e32 vcc_lo, 0, v111
	v_subrev_nc_u32_e32 v110, 28, v109
	v_sub_nc_u32_e32 v109, 29, v109
	s_wait_alu 0xfffd
	s_delay_alu instid0(VALU_DEP_1) | instskip(NEXT) | instid1(VALU_DEP_1)
	v_dual_cndmask_b32 v109, v111, v109 :: v_dual_lshlrev_b32 v110, v110, v94
	v_and_b32_e32 v110, 7, v110
	s_delay_alu instid0(VALU_DEP_2) | instskip(NEXT) | instid1(VALU_DEP_2)
	v_lshl_add_u32 v109, v109, 23, 0x3b800000
	v_cndmask_b32_e32 v94, v94, v110, vcc_lo
	s_delay_alu instid0(VALU_DEP_1) | instskip(NEXT) | instid1(VALU_DEP_1)
	v_lshlrev_b32_e32 v94, 20, v94
	v_or3_b32 v94, v61, v109, v94
.LBB7_654:                              ;   in Loop: Header=BB7_62 Depth=1
	s_wait_alu 0xfffe
	s_or_b32 exec_lo, exec_lo, s1
	v_and_b32_e32 v109, 0xff, v105
	s_mov_b32 s0, 0
	s_mov_b32 s1, exec_lo
	s_delay_alu instid0(VALU_DEP_1)
	v_cmpx_lt_i16_e32 0x7f, v109
	s_wait_alu 0xfffe
	s_xor_b32 s1, exec_lo, s1
	s_cbranch_execnz .LBB7_1677
; %bb.655:                              ;   in Loop: Header=BB7_62 Depth=1
	s_wait_alu 0xfffe
	s_or_saveexec_b32 s1, s1
	v_mov_b32_e32 v61, 0x7f800001
	s_wait_alu 0xfffe
	s_xor_b32 exec_lo, exec_lo, s1
	s_cbranch_execnz .LBB7_1680
.LBB7_656:                              ;   in Loop: Header=BB7_62 Depth=1
	s_or_b32 exec_lo, exec_lo, s1
	s_and_saveexec_b32 s1, s0
	s_cbranch_execz .LBB7_658
.LBB7_657:                              ;   in Loop: Header=BB7_62 Depth=1
	v_and_b32_e32 v61, 7, v105
	v_lshrrev_b16 v111, 3, v105
	v_lshrrev_b16 v105, 7, v105
	s_delay_alu instid0(VALU_DEP_3) | instskip(NEXT) | instid1(VALU_DEP_3)
	v_clz_i32_u32_e32 v109, v61
	v_and_b32_e32 v111, 15, v111
	s_delay_alu instid0(VALU_DEP_3) | instskip(NEXT) | instid1(VALU_DEP_3)
	v_lshlrev_b32_e32 v105, 31, v105
	v_min_u32_e32 v109, 32, v109
	s_delay_alu instid0(VALU_DEP_3) | instskip(NEXT) | instid1(VALU_DEP_2)
	v_cmp_eq_u16_e32 vcc_lo, 0, v111
	v_subrev_nc_u32_e32 v110, 28, v109
	v_sub_nc_u32_e32 v109, 29, v109
	s_delay_alu instid0(VALU_DEP_2) | instskip(SKIP_1) | instid1(VALU_DEP_1)
	v_lshlrev_b32_e32 v110, v110, v61
	s_wait_alu 0xfffd
	v_dual_cndmask_b32 v109, v111, v109 :: v_dual_and_b32 v110, 7, v110
	s_delay_alu instid0(VALU_DEP_1) | instskip(NEXT) | instid1(VALU_DEP_2)
	v_lshl_add_u32 v109, v109, 23, 0x3b800000
	v_cndmask_b32_e32 v61, v61, v110, vcc_lo
	s_delay_alu instid0(VALU_DEP_1) | instskip(NEXT) | instid1(VALU_DEP_1)
	v_lshlrev_b32_e32 v61, 20, v61
	v_or3_b32 v61, v105, v109, v61
.LBB7_658:                              ;   in Loop: Header=BB7_62 Depth=1
	s_wait_alu 0xfffe
	s_or_b32 exec_lo, exec_lo, s1
	v_and_b32_e32 v109, 0xff, v107
	s_mov_b32 s0, 0
	s_mov_b32 s1, exec_lo
	s_delay_alu instid0(VALU_DEP_1)
	v_cmpx_lt_i16_e32 0x7f, v109
	s_wait_alu 0xfffe
	s_xor_b32 s1, exec_lo, s1
	s_cbranch_execnz .LBB7_1681
; %bb.659:                              ;   in Loop: Header=BB7_62 Depth=1
	s_wait_alu 0xfffe
	s_or_saveexec_b32 s1, s1
	v_mov_b32_e32 v105, 0x7f800001
	s_wait_alu 0xfffe
	s_xor_b32 exec_lo, exec_lo, s1
	s_cbranch_execnz .LBB7_1684
.LBB7_660:                              ;   in Loop: Header=BB7_62 Depth=1
	s_or_b32 exec_lo, exec_lo, s1
	s_and_saveexec_b32 s1, s0
	s_cbranch_execz .LBB7_662
.LBB7_661:                              ;   in Loop: Header=BB7_62 Depth=1
	v_and_b32_e32 v105, 7, v107
	v_lshrrev_b16 v111, 3, v107
	v_lshrrev_b16 v107, 7, v107
	s_delay_alu instid0(VALU_DEP_3) | instskip(NEXT) | instid1(VALU_DEP_3)
	v_clz_i32_u32_e32 v109, v105
	v_and_b32_e32 v111, 15, v111
	s_delay_alu instid0(VALU_DEP_3) | instskip(NEXT) | instid1(VALU_DEP_3)
	v_lshlrev_b32_e32 v107, 31, v107
	v_min_u32_e32 v109, 32, v109
	s_delay_alu instid0(VALU_DEP_3) | instskip(NEXT) | instid1(VALU_DEP_2)
	v_cmp_eq_u16_e32 vcc_lo, 0, v111
	v_subrev_nc_u32_e32 v110, 28, v109
	v_sub_nc_u32_e32 v109, 29, v109
	s_delay_alu instid0(VALU_DEP_2) | instskip(SKIP_1) | instid1(VALU_DEP_1)
	v_lshlrev_b32_e32 v110, v110, v105
	s_wait_alu 0xfffd
	v_dual_cndmask_b32 v109, v111, v109 :: v_dual_and_b32 v110, 7, v110
	s_delay_alu instid0(VALU_DEP_1) | instskip(NEXT) | instid1(VALU_DEP_2)
	v_lshl_add_u32 v109, v109, 23, 0x3b800000
	v_cndmask_b32_e32 v105, v105, v110, vcc_lo
	s_delay_alu instid0(VALU_DEP_1) | instskip(NEXT) | instid1(VALU_DEP_1)
	v_lshlrev_b32_e32 v105, 20, v105
	v_or3_b32 v105, v107, v109, v105
.LBB7_662:                              ;   in Loop: Header=BB7_62 Depth=1
	s_wait_alu 0xfffe
	s_or_b32 exec_lo, exec_lo, s1
	s_mov_b32 s0, 0
	s_mov_b32 s1, exec_lo
	v_cmpx_lt_i16_e32 0x7f, v108
	s_wait_alu 0xfffe
	s_xor_b32 s1, exec_lo, s1
	s_cbranch_execnz .LBB7_1685
; %bb.663:                              ;   in Loop: Header=BB7_62 Depth=1
	s_wait_alu 0xfffe
	s_or_saveexec_b32 s1, s1
	v_mov_b32_e32 v107, 0x7f800001
	s_wait_alu 0xfffe
	s_xor_b32 exec_lo, exec_lo, s1
	s_cbranch_execnz .LBB7_1688
.LBB7_664:                              ;   in Loop: Header=BB7_62 Depth=1
	s_or_b32 exec_lo, exec_lo, s1
	s_and_saveexec_b32 s1, s0
	s_cbranch_execz .LBB7_666
.LBB7_665:                              ;   in Loop: Header=BB7_62 Depth=1
	v_and_b32_e32 v107, 7, v108
	v_lshrrev_b16 v111, 3, v108
	v_lshrrev_b16 v108, 7, v108
	s_delay_alu instid0(VALU_DEP_3) | instskip(NEXT) | instid1(VALU_DEP_3)
	v_clz_i32_u32_e32 v109, v107
	v_and_b32_e32 v111, 15, v111
	s_delay_alu instid0(VALU_DEP_3) | instskip(NEXT) | instid1(VALU_DEP_3)
	v_lshlrev_b32_e32 v108, 31, v108
	v_min_u32_e32 v109, 32, v109
	s_delay_alu instid0(VALU_DEP_3) | instskip(NEXT) | instid1(VALU_DEP_2)
	v_cmp_eq_u16_e32 vcc_lo, 0, v111
	v_subrev_nc_u32_e32 v110, 28, v109
	v_sub_nc_u32_e32 v109, 29, v109
	s_wait_alu 0xfffd
	s_delay_alu instid0(VALU_DEP_1) | instskip(NEXT) | instid1(VALU_DEP_1)
	v_dual_cndmask_b32 v109, v111, v109 :: v_dual_lshlrev_b32 v110, v110, v107
	v_and_b32_e32 v110, 7, v110
	s_delay_alu instid0(VALU_DEP_2) | instskip(NEXT) | instid1(VALU_DEP_2)
	v_lshl_add_u32 v109, v109, 23, 0x3b800000
	v_cndmask_b32_e32 v107, v107, v110, vcc_lo
	s_delay_alu instid0(VALU_DEP_1) | instskip(NEXT) | instid1(VALU_DEP_1)
	v_lshlrev_b32_e32 v107, 20, v107
	v_or3_b32 v107, v108, v109, v107
.LBB7_666:                              ;   in Loop: Header=BB7_62 Depth=1
	s_wait_alu 0xfffe
	s_or_b32 exec_lo, exec_lo, s1
	v_and_b32_e32 v109, 0xff, v62
	s_mov_b32 s0, 0
	s_mov_b32 s1, exec_lo
	s_delay_alu instid0(VALU_DEP_1)
	v_cmpx_lt_i16_e32 0x7f, v109
	s_wait_alu 0xfffe
	s_xor_b32 s1, exec_lo, s1
	s_cbranch_execnz .LBB7_1689
; %bb.667:                              ;   in Loop: Header=BB7_62 Depth=1
	s_wait_alu 0xfffe
	s_or_saveexec_b32 s1, s1
	v_mov_b32_e32 v108, 0x7f800001
	s_wait_alu 0xfffe
	s_xor_b32 exec_lo, exec_lo, s1
	s_cbranch_execnz .LBB7_1692
.LBB7_668:                              ;   in Loop: Header=BB7_62 Depth=1
	s_or_b32 exec_lo, exec_lo, s1
	s_and_saveexec_b32 s1, s0
	s_cbranch_execz .LBB7_670
.LBB7_669:                              ;   in Loop: Header=BB7_62 Depth=1
	v_lshrrev_b16 v111, 3, v62
	s_delay_alu instid0(VALU_DEP_1) | instskip(NEXT) | instid1(VALU_DEP_1)
	v_and_b32_e32 v111, 15, v111
	v_cmp_eq_u16_e32 vcc_lo, 0, v111
	v_and_b32_e32 v108, 7, v62
	v_lshrrev_b16 v62, 7, v62
	s_delay_alu instid0(VALU_DEP_2) | instskip(NEXT) | instid1(VALU_DEP_2)
	v_clz_i32_u32_e32 v109, v108
	v_lshlrev_b32_e32 v62, 31, v62
	s_delay_alu instid0(VALU_DEP_2) | instskip(NEXT) | instid1(VALU_DEP_1)
	v_min_u32_e32 v109, 32, v109
	v_subrev_nc_u32_e32 v110, 28, v109
	v_sub_nc_u32_e32 v109, 29, v109
	s_wait_alu 0xfffd
	s_delay_alu instid0(VALU_DEP_1) | instskip(NEXT) | instid1(VALU_DEP_1)
	v_dual_cndmask_b32 v109, v111, v109 :: v_dual_lshlrev_b32 v110, v110, v108
	v_lshl_add_u32 v109, v109, 23, 0x3b800000
	s_delay_alu instid0(VALU_DEP_2) | instskip(NEXT) | instid1(VALU_DEP_1)
	v_and_b32_e32 v110, 7, v110
	v_cndmask_b32_e32 v108, v108, v110, vcc_lo
	s_delay_alu instid0(VALU_DEP_1) | instskip(NEXT) | instid1(VALU_DEP_1)
	v_lshlrev_b32_e32 v108, 20, v108
	v_or3_b32 v108, v62, v109, v108
.LBB7_670:                              ;   in Loop: Header=BB7_62 Depth=1
	s_wait_alu 0xfffe
	s_or_b32 exec_lo, exec_lo, s1
	v_and_b32_e32 v109, 0xff, v106
	s_mov_b32 s0, 0
	s_mov_b32 s1, exec_lo
	s_delay_alu instid0(VALU_DEP_1)
	v_cmpx_lt_i16_e32 0x7f, v109
	s_wait_alu 0xfffe
	s_xor_b32 s1, exec_lo, s1
	s_cbranch_execnz .LBB7_1693
; %bb.671:                              ;   in Loop: Header=BB7_62 Depth=1
	s_wait_alu 0xfffe
	s_or_saveexec_b32 s1, s1
	v_mov_b32_e32 v62, 0x7f800001
	s_wait_alu 0xfffe
	s_xor_b32 exec_lo, exec_lo, s1
	s_cbranch_execnz .LBB7_1696
.LBB7_672:                              ;   in Loop: Header=BB7_62 Depth=1
	s_or_b32 exec_lo, exec_lo, s1
	s_and_saveexec_b32 s1, s0
	s_cbranch_execz .LBB7_674
.LBB7_673:                              ;   in Loop: Header=BB7_62 Depth=1
	v_lshrrev_b16 v111, 3, v106
	s_delay_alu instid0(VALU_DEP_1) | instskip(NEXT) | instid1(VALU_DEP_1)
	v_and_b32_e32 v111, 15, v111
	v_cmp_eq_u16_e32 vcc_lo, 0, v111
	v_and_b32_e32 v62, 7, v106
	v_lshrrev_b16 v106, 7, v106
	s_delay_alu instid0(VALU_DEP_2) | instskip(NEXT) | instid1(VALU_DEP_2)
	v_clz_i32_u32_e32 v109, v62
	v_lshlrev_b32_e32 v106, 31, v106
	s_delay_alu instid0(VALU_DEP_2) | instskip(NEXT) | instid1(VALU_DEP_1)
	v_min_u32_e32 v109, 32, v109
	v_subrev_nc_u32_e32 v110, 28, v109
	v_sub_nc_u32_e32 v109, 29, v109
	s_wait_alu 0xfffd
	s_delay_alu instid0(VALU_DEP_1) | instskip(NEXT) | instid1(VALU_DEP_1)
	v_dual_cndmask_b32 v109, v111, v109 :: v_dual_lshlrev_b32 v110, v110, v62
	v_lshl_add_u32 v109, v109, 23, 0x3b800000
	s_delay_alu instid0(VALU_DEP_2) | instskip(NEXT) | instid1(VALU_DEP_1)
	v_and_b32_e32 v110, 7, v110
	v_cndmask_b32_e32 v62, v62, v110, vcc_lo
	s_delay_alu instid0(VALU_DEP_1) | instskip(NEXT) | instid1(VALU_DEP_1)
	v_lshlrev_b32_e32 v62, 20, v62
	v_or3_b32 v62, v106, v109, v62
.LBB7_674:                              ;   in Loop: Header=BB7_62 Depth=1
	s_wait_alu 0xfffe
	s_or_b32 exec_lo, exec_lo, s1
	v_and_b32_e32 v109, 0xff, v104
	s_mov_b32 s0, 0
	s_mov_b32 s1, exec_lo
	s_delay_alu instid0(VALU_DEP_1)
	v_cmpx_lt_i16_e32 0x7f, v109
	s_wait_alu 0xfffe
	s_xor_b32 s1, exec_lo, s1
	s_cbranch_execnz .LBB7_1697
; %bb.675:                              ;   in Loop: Header=BB7_62 Depth=1
	s_wait_alu 0xfffe
	s_or_saveexec_b32 s1, s1
	v_mov_b32_e32 v106, 0x7f800001
	s_wait_alu 0xfffe
	s_xor_b32 exec_lo, exec_lo, s1
	s_cbranch_execnz .LBB7_1700
.LBB7_676:                              ;   in Loop: Header=BB7_62 Depth=1
	s_or_b32 exec_lo, exec_lo, s1
	s_and_saveexec_b32 s1, s0
	s_cbranch_execz .LBB7_678
.LBB7_677:                              ;   in Loop: Header=BB7_62 Depth=1
	v_lshrrev_b16 v111, 3, v104
	s_delay_alu instid0(VALU_DEP_1) | instskip(NEXT) | instid1(VALU_DEP_1)
	v_and_b32_e32 v111, 15, v111
	v_cmp_eq_u16_e32 vcc_lo, 0, v111
	v_and_b32_e32 v106, 7, v104
	v_lshrrev_b16 v104, 7, v104
	s_delay_alu instid0(VALU_DEP_2) | instskip(NEXT) | instid1(VALU_DEP_2)
	v_clz_i32_u32_e32 v109, v106
	v_lshlrev_b32_e32 v104, 31, v104
	s_delay_alu instid0(VALU_DEP_2) | instskip(NEXT) | instid1(VALU_DEP_1)
	v_min_u32_e32 v109, 32, v109
	v_subrev_nc_u32_e32 v110, 28, v109
	v_sub_nc_u32_e32 v109, 29, v109
	s_wait_alu 0xfffd
	s_delay_alu instid0(VALU_DEP_1) | instskip(NEXT) | instid1(VALU_DEP_1)
	v_dual_cndmask_b32 v109, v111, v109 :: v_dual_lshlrev_b32 v110, v110, v106
	v_lshl_add_u32 v109, v109, 23, 0x3b800000
	s_delay_alu instid0(VALU_DEP_2) | instskip(NEXT) | instid1(VALU_DEP_1)
	v_and_b32_e32 v110, 7, v110
	v_cndmask_b32_e32 v106, v106, v110, vcc_lo
	s_delay_alu instid0(VALU_DEP_1) | instskip(NEXT) | instid1(VALU_DEP_1)
	v_lshlrev_b32_e32 v106, 20, v106
	v_or3_b32 v106, v104, v109, v106
.LBB7_678:                              ;   in Loop: Header=BB7_62 Depth=1
	s_wait_alu 0xfffe
	s_or_b32 exec_lo, exec_lo, s1
	s_mov_b32 s0, 0
	s_mov_b32 s1, exec_lo
	v_cmpx_lt_i16_e32 0x7f, v95
	s_wait_alu 0xfffe
	s_xor_b32 s1, exec_lo, s1
	s_cbranch_execnz .LBB7_1701
; %bb.679:                              ;   in Loop: Header=BB7_62 Depth=1
	s_wait_alu 0xfffe
	s_or_saveexec_b32 s1, s1
	v_mov_b32_e32 v104, 0x7f800001
	s_wait_alu 0xfffe
	s_xor_b32 exec_lo, exec_lo, s1
	s_cbranch_execnz .LBB7_1704
.LBB7_680:                              ;   in Loop: Header=BB7_62 Depth=1
	s_or_b32 exec_lo, exec_lo, s1
	s_and_saveexec_b32 s1, s0
	s_cbranch_execz .LBB7_682
.LBB7_681:                              ;   in Loop: Header=BB7_62 Depth=1
	v_lshrrev_b16 v111, 3, v95
	s_delay_alu instid0(VALU_DEP_1) | instskip(NEXT) | instid1(VALU_DEP_1)
	v_and_b32_e32 v111, 15, v111
	v_cmp_eq_u16_e32 vcc_lo, 0, v111
	v_and_b32_e32 v104, 7, v95
	v_lshrrev_b16 v95, 7, v95
	s_delay_alu instid0(VALU_DEP_2) | instskip(NEXT) | instid1(VALU_DEP_2)
	v_clz_i32_u32_e32 v109, v104
	v_lshlrev_b32_e32 v95, 31, v95
	s_delay_alu instid0(VALU_DEP_2) | instskip(NEXT) | instid1(VALU_DEP_1)
	v_min_u32_e32 v109, 32, v109
	v_subrev_nc_u32_e32 v110, 28, v109
	v_sub_nc_u32_e32 v109, 29, v109
	s_wait_alu 0xfffd
	s_delay_alu instid0(VALU_DEP_1) | instskip(NEXT) | instid1(VALU_DEP_1)
	v_dual_cndmask_b32 v109, v111, v109 :: v_dual_lshlrev_b32 v110, v110, v104
	v_lshl_add_u32 v109, v109, 23, 0x3b800000
	s_delay_alu instid0(VALU_DEP_2) | instskip(NEXT) | instid1(VALU_DEP_1)
	v_and_b32_e32 v110, 7, v110
	v_cndmask_b32_e32 v104, v104, v110, vcc_lo
	s_delay_alu instid0(VALU_DEP_1) | instskip(NEXT) | instid1(VALU_DEP_1)
	v_lshlrev_b32_e32 v104, 20, v104
	v_or3_b32 v104, v95, v109, v104
.LBB7_682:                              ;   in Loop: Header=BB7_62 Depth=1
	s_wait_alu 0xfffe
	s_or_b32 exec_lo, exec_lo, s1
	v_and_b32_e32 v109, 0xff, v63
	s_mov_b32 s0, 0
	s_mov_b32 s1, exec_lo
	s_delay_alu instid0(VALU_DEP_1)
	v_cmpx_lt_i16_e32 0x7f, v109
	s_wait_alu 0xfffe
	s_xor_b32 s1, exec_lo, s1
	s_cbranch_execnz .LBB7_1705
; %bb.683:                              ;   in Loop: Header=BB7_62 Depth=1
	s_wait_alu 0xfffe
	s_or_saveexec_b32 s1, s1
	v_mov_b32_e32 v95, 0x7f800001
	s_wait_alu 0xfffe
	s_xor_b32 exec_lo, exec_lo, s1
	s_cbranch_execnz .LBB7_1708
.LBB7_684:                              ;   in Loop: Header=BB7_62 Depth=1
	s_or_b32 exec_lo, exec_lo, s1
	s_and_saveexec_b32 s1, s0
	s_cbranch_execz .LBB7_686
.LBB7_685:                              ;   in Loop: Header=BB7_62 Depth=1
	v_and_b32_e32 v95, 7, v63
	v_lshrrev_b16 v111, 3, v63
	v_lshrrev_b16 v63, 7, v63
	s_delay_alu instid0(VALU_DEP_3) | instskip(NEXT) | instid1(VALU_DEP_3)
	v_clz_i32_u32_e32 v109, v95
	v_and_b32_e32 v111, 15, v111
	s_delay_alu instid0(VALU_DEP_3) | instskip(NEXT) | instid1(VALU_DEP_3)
	v_lshlrev_b32_e32 v63, 31, v63
	v_min_u32_e32 v109, 32, v109
	s_delay_alu instid0(VALU_DEP_3) | instskip(NEXT) | instid1(VALU_DEP_2)
	v_cmp_eq_u16_e32 vcc_lo, 0, v111
	v_subrev_nc_u32_e32 v110, 28, v109
	v_sub_nc_u32_e32 v109, 29, v109
	s_wait_alu 0xfffd
	s_delay_alu instid0(VALU_DEP_1) | instskip(NEXT) | instid1(VALU_DEP_1)
	v_dual_cndmask_b32 v109, v111, v109 :: v_dual_lshlrev_b32 v110, v110, v95
	v_and_b32_e32 v110, 7, v110
	s_delay_alu instid0(VALU_DEP_2) | instskip(NEXT) | instid1(VALU_DEP_2)
	v_lshl_add_u32 v109, v109, 23, 0x3b800000
	v_cndmask_b32_e32 v95, v95, v110, vcc_lo
	s_delay_alu instid0(VALU_DEP_1) | instskip(NEXT) | instid1(VALU_DEP_1)
	v_lshlrev_b32_e32 v95, 20, v95
	v_or3_b32 v95, v63, v109, v95
.LBB7_686:                              ;   in Loop: Header=BB7_62 Depth=1
	s_wait_alu 0xfffe
	s_or_b32 exec_lo, exec_lo, s1
	v_and_b32_e32 v109, 0xff, v91
	s_mov_b32 s0, 0
	s_mov_b32 s1, exec_lo
	s_delay_alu instid0(VALU_DEP_1)
	v_cmpx_lt_i16_e32 0x7f, v109
	s_wait_alu 0xfffe
	s_xor_b32 s1, exec_lo, s1
	s_cbranch_execnz .LBB7_1709
; %bb.687:                              ;   in Loop: Header=BB7_62 Depth=1
	s_wait_alu 0xfffe
	s_or_saveexec_b32 s1, s1
	v_mov_b32_e32 v63, 0x7f800001
	s_wait_alu 0xfffe
	s_xor_b32 exec_lo, exec_lo, s1
	s_cbranch_execnz .LBB7_1712
.LBB7_688:                              ;   in Loop: Header=BB7_62 Depth=1
	s_or_b32 exec_lo, exec_lo, s1
	s_and_saveexec_b32 s1, s0
	s_cbranch_execz .LBB7_690
.LBB7_689:                              ;   in Loop: Header=BB7_62 Depth=1
	v_and_b32_e32 v63, 7, v91
	v_lshrrev_b16 v111, 3, v91
	v_lshrrev_b16 v91, 7, v91
	s_delay_alu instid0(VALU_DEP_3) | instskip(NEXT) | instid1(VALU_DEP_3)
	v_clz_i32_u32_e32 v109, v63
	v_and_b32_e32 v111, 15, v111
	s_delay_alu instid0(VALU_DEP_3) | instskip(NEXT) | instid1(VALU_DEP_3)
	v_lshlrev_b32_e32 v91, 31, v91
	v_min_u32_e32 v109, 32, v109
	s_delay_alu instid0(VALU_DEP_3) | instskip(NEXT) | instid1(VALU_DEP_2)
	v_cmp_eq_u16_e32 vcc_lo, 0, v111
	v_subrev_nc_u32_e32 v110, 28, v109
	v_sub_nc_u32_e32 v109, 29, v109
	s_wait_alu 0xfffd
	s_delay_alu instid0(VALU_DEP_1) | instskip(NEXT) | instid1(VALU_DEP_1)
	v_dual_cndmask_b32 v109, v111, v109 :: v_dual_lshlrev_b32 v110, v110, v63
	v_and_b32_e32 v110, 7, v110
	s_delay_alu instid0(VALU_DEP_2) | instskip(NEXT) | instid1(VALU_DEP_2)
	v_lshl_add_u32 v109, v109, 23, 0x3b800000
	v_cndmask_b32_e32 v63, v63, v110, vcc_lo
	s_delay_alu instid0(VALU_DEP_1) | instskip(NEXT) | instid1(VALU_DEP_1)
	v_lshlrev_b32_e32 v63, 20, v63
	v_or3_b32 v63, v91, v109, v63
.LBB7_690:                              ;   in Loop: Header=BB7_62 Depth=1
	s_wait_alu 0xfffe
	s_or_b32 exec_lo, exec_lo, s1
	v_and_b32_e32 v109, 0xff, v88
	s_mov_b32 s0, 0
	s_mov_b32 s1, exec_lo
	s_delay_alu instid0(VALU_DEP_1)
	v_cmpx_lt_i16_e32 0x7f, v109
	s_wait_alu 0xfffe
	s_xor_b32 s1, exec_lo, s1
	s_cbranch_execnz .LBB7_1713
; %bb.691:                              ;   in Loop: Header=BB7_62 Depth=1
	s_wait_alu 0xfffe
	s_or_saveexec_b32 s1, s1
	v_mov_b32_e32 v91, 0x7f800001
	s_wait_alu 0xfffe
	s_xor_b32 exec_lo, exec_lo, s1
	s_cbranch_execnz .LBB7_1716
.LBB7_692:                              ;   in Loop: Header=BB7_62 Depth=1
	s_or_b32 exec_lo, exec_lo, s1
	s_and_saveexec_b32 s1, s0
	s_cbranch_execz .LBB7_694
.LBB7_693:                              ;   in Loop: Header=BB7_62 Depth=1
	v_and_b32_e32 v91, 7, v88
	v_lshrrev_b16 v111, 3, v88
	v_lshrrev_b16 v88, 7, v88
	s_delay_alu instid0(VALU_DEP_3) | instskip(NEXT) | instid1(VALU_DEP_3)
	v_clz_i32_u32_e32 v109, v91
	v_and_b32_e32 v111, 15, v111
	s_delay_alu instid0(VALU_DEP_3) | instskip(NEXT) | instid1(VALU_DEP_3)
	v_lshlrev_b32_e32 v88, 31, v88
	v_min_u32_e32 v109, 32, v109
	s_delay_alu instid0(VALU_DEP_3) | instskip(NEXT) | instid1(VALU_DEP_2)
	v_cmp_eq_u16_e32 vcc_lo, 0, v111
	v_subrev_nc_u32_e32 v110, 28, v109
	v_sub_nc_u32_e32 v109, 29, v109
	s_wait_alu 0xfffd
	s_delay_alu instid0(VALU_DEP_1) | instskip(NEXT) | instid1(VALU_DEP_1)
	v_dual_cndmask_b32 v109, v111, v109 :: v_dual_lshlrev_b32 v110, v110, v91
	v_and_b32_e32 v110, 7, v110
	s_delay_alu instid0(VALU_DEP_2) | instskip(NEXT) | instid1(VALU_DEP_2)
	v_lshl_add_u32 v109, v109, 23, 0x3b800000
	v_cndmask_b32_e32 v91, v91, v110, vcc_lo
	s_delay_alu instid0(VALU_DEP_1) | instskip(NEXT) | instid1(VALU_DEP_1)
	v_lshlrev_b32_e32 v91, 20, v91
	v_or3_b32 v91, v88, v109, v91
.LBB7_694:                              ;   in Loop: Header=BB7_62 Depth=1
	s_wait_alu 0xfffe
	s_or_b32 exec_lo, exec_lo, s1
	s_mov_b32 s0, 0
	s_mov_b32 s1, exec_lo
	v_cmpx_lt_i16_e32 0x7f, v78
	s_wait_alu 0xfffe
	s_xor_b32 s1, exec_lo, s1
	s_cbranch_execnz .LBB7_1717
; %bb.695:                              ;   in Loop: Header=BB7_62 Depth=1
	s_wait_alu 0xfffe
	s_or_saveexec_b32 s1, s1
	v_mov_b32_e32 v88, 0x7f800001
	s_wait_alu 0xfffe
	s_xor_b32 exec_lo, exec_lo, s1
	s_cbranch_execnz .LBB7_1720
.LBB7_696:                              ;   in Loop: Header=BB7_62 Depth=1
	s_or_b32 exec_lo, exec_lo, s1
	s_and_saveexec_b32 s1, s0
	s_cbranch_execz .LBB7_698
.LBB7_697:                              ;   in Loop: Header=BB7_62 Depth=1
	v_lshrrev_b16 v111, 3, v78
	s_delay_alu instid0(VALU_DEP_1) | instskip(NEXT) | instid1(VALU_DEP_1)
	v_and_b32_e32 v111, 15, v111
	v_cmp_eq_u16_e32 vcc_lo, 0, v111
	v_and_b32_e32 v88, 7, v78
	v_lshrrev_b16 v78, 7, v78
	s_delay_alu instid0(VALU_DEP_2) | instskip(NEXT) | instid1(VALU_DEP_2)
	v_clz_i32_u32_e32 v109, v88
	v_lshlrev_b32_e32 v78, 31, v78
	s_delay_alu instid0(VALU_DEP_2) | instskip(NEXT) | instid1(VALU_DEP_1)
	v_min_u32_e32 v109, 32, v109
	v_subrev_nc_u32_e32 v110, 28, v109
	v_sub_nc_u32_e32 v109, 29, v109
	s_wait_alu 0xfffd
	s_delay_alu instid0(VALU_DEP_1) | instskip(NEXT) | instid1(VALU_DEP_1)
	v_dual_cndmask_b32 v109, v111, v109 :: v_dual_lshlrev_b32 v110, v110, v88
	v_lshl_add_u32 v109, v109, 23, 0x3b800000
	s_delay_alu instid0(VALU_DEP_2) | instskip(NEXT) | instid1(VALU_DEP_1)
	v_and_b32_e32 v110, 7, v110
	v_cndmask_b32_e32 v88, v88, v110, vcc_lo
	s_delay_alu instid0(VALU_DEP_1) | instskip(NEXT) | instid1(VALU_DEP_1)
	v_lshlrev_b32_e32 v88, 20, v88
	v_or3_b32 v88, v78, v109, v88
.LBB7_698:                              ;   in Loop: Header=BB7_62 Depth=1
	s_wait_alu 0xfffe
	s_or_b32 exec_lo, exec_lo, s1
	v_cvt_pk_rtz_f16_f32_e32 v120, v77, v60
	v_cvt_pk_rtz_f16_f32_e32 v121, v89, v92
	v_cvt_pk_rtz_f16_f32_e32 v122, v94, v61
	v_cvt_pk_rtz_f16_f32_e32 v123, v105, v107
	v_cvt_pk_rtz_f16_f32_e32 v109, v95, v63
	v_cvt_pk_rtz_f16_f32_e32 v107, v108, v62
	v_cvt_pk_rtz_f16_f32_e32 v108, v106, v104
	v_cvt_pk_rtz_f16_f32_e32 v110, v91, v88
	s_clause 0x1
	scratch_store_b128 off, v[120:123], s33
	scratch_store_b128 off, v[107:110], s33 offset:16
	s_clause 0x3
	flat_load_b64 v[88:89], v[146:147] offset:332
	flat_load_b64 v[60:61], v[146:147] offset:296
	flat_load_b32 v62, v[146:147] offset:324
	flat_load_b64 v[77:78], v[146:147] offset:284
	s_mov_b32 s0, 0
	s_mov_b32 s1, exec_lo
	s_wait_loadcnt_dscnt 0x303
	v_add_nc_u32_e32 v63, 16, v89
	s_wait_loadcnt_dscnt 0x202
	v_ashrrev_i32_e32 v91, 31, v60
	s_delay_alu instid0(VALU_DEP_2) | instskip(NEXT) | instid1(VALU_DEP_2)
	v_ashrrev_i32_e32 v92, 31, v63
	v_lshrrev_b32_e32 v91, 28, v91
	s_delay_alu instid0(VALU_DEP_2) | instskip(NEXT) | instid1(VALU_DEP_2)
	v_lshrrev_b32_e32 v92, 28, v92
	v_add_nc_u32_e32 v94, v60, v91
	s_wait_loadcnt_dscnt 0x101
	v_sub_nc_u32_e32 v91, v61, v62
	s_delay_alu instid0(VALU_DEP_3) | instskip(NEXT) | instid1(VALU_DEP_3)
	v_add_nc_u32_e32 v95, v63, v92
	v_and_b32_e32 v61, -16, v94
	s_delay_alu instid0(VALU_DEP_2) | instskip(NEXT) | instid1(VALU_DEP_2)
	v_lshrrev_b32_e32 v62, 4, v95
	v_sub_nc_u32_e32 v92, v60, v61
	s_wait_loadcnt_dscnt 0x0
	v_sub_nc_u32_e32 v60, v60, v78
	s_delay_alu instid0(VALU_DEP_3) | instskip(NEXT) | instid1(VALU_DEP_2)
	v_add_nc_u32_e32 v61, v62, v91
	v_lshlrev_b32_e32 v78, 8, v60
	v_and_b32_e32 v60, -16, v95
	s_delay_alu instid0(VALU_DEP_3) | instskip(NEXT) | instid1(VALU_DEP_3)
	v_xor_b32_e32 v61, v61, v92
	v_add_nc_u32_e32 v62, v78, v93
	s_delay_alu instid0(VALU_DEP_3) | instskip(NEXT) | instid1(VALU_DEP_3)
	v_sub_nc_u32_e32 v60, v63, v60
	v_sub_nc_u32_e32 v61, v61, v77
	s_delay_alu instid0(VALU_DEP_3) | instskip(NEXT) | instid1(VALU_DEP_2)
	v_sub_nc_u32_e32 v93, v62, v88
	v_lshlrev_b32_e32 v61, 4, v61
	s_delay_alu instid0(VALU_DEP_1) | instskip(NEXT) | instid1(VALU_DEP_1)
	v_add3_u32 v60, v60, v93, v61
	v_ashrrev_i32_e32 v61, 31, v60
	v_add_co_u32 v60, vcc_lo, v75, v60
	s_wait_alu 0xfffd
	s_delay_alu instid0(VALU_DEP_2) | instskip(SKIP_3) | instid1(VALU_DEP_1)
	v_add_co_ci_u32_e64 v61, null, v76, v61, vcc_lo
	flat_load_b128 v[60:63], v[60:61]
	s_wait_loadcnt_dscnt 0x0
	v_and_b32_e32 v95, 0xff, v60
	v_cmpx_lt_i16_e32 0x7f, v95
	s_wait_alu 0xfffe
	s_xor_b32 s1, exec_lo, s1
	s_cbranch_execnz .LBB7_1721
; %bb.699:                              ;   in Loop: Header=BB7_62 Depth=1
	s_wait_alu 0xfffe
	s_or_saveexec_b32 s1, s1
	v_mov_b32_e32 v94, 0x7f800001
	s_wait_alu 0xfffe
	s_xor_b32 exec_lo, exec_lo, s1
	s_cbranch_execnz .LBB7_1724
.LBB7_700:                              ;   in Loop: Header=BB7_62 Depth=1
	s_or_b32 exec_lo, exec_lo, s1
	s_and_saveexec_b32 s1, s0
	s_cbranch_execz .LBB7_702
.LBB7_701:                              ;   in Loop: Header=BB7_62 Depth=1
	v_lshrrev_b16 v105, 3, v60
	v_lshrrev_b16 v106, 7, v60
	s_delay_alu instid0(VALU_DEP_2) | instskip(NEXT) | instid1(VALU_DEP_1)
	v_and_b32_e32 v105, 15, v105
	v_cmp_eq_u16_e32 vcc_lo, 0, v105
	v_and_b32_e32 v94, 7, v60
	s_delay_alu instid0(VALU_DEP_1) | instskip(NEXT) | instid1(VALU_DEP_1)
	v_clz_i32_u32_e32 v95, v94
	v_min_u32_e32 v95, 32, v95
	s_delay_alu instid0(VALU_DEP_1) | instskip(SKIP_2) | instid1(VALU_DEP_1)
	v_subrev_nc_u32_e32 v104, 28, v95
	v_sub_nc_u32_e32 v95, 29, v95
	s_wait_alu 0xfffd
	v_dual_cndmask_b32 v95, v105, v95 :: v_dual_lshlrev_b32 v104, v104, v94
	s_delay_alu instid0(VALU_DEP_1) | instskip(NEXT) | instid1(VALU_DEP_2)
	v_lshl_add_u32 v95, v95, 23, 0x3b800000
	v_and_b32_e32 v104, 7, v104
	s_delay_alu instid0(VALU_DEP_1) | instskip(SKIP_1) | instid1(VALU_DEP_2)
	v_cndmask_b32_e32 v94, v94, v104, vcc_lo
	v_lshlrev_b32_e32 v104, 31, v106
	v_lshlrev_b32_e32 v94, 20, v94
	s_delay_alu instid0(VALU_DEP_1)
	v_or3_b32 v94, v104, v95, v94
.LBB7_702:                              ;   in Loop: Header=BB7_62 Depth=1
	s_wait_alu 0xfffe
	s_or_b32 exec_lo, exec_lo, s1
	v_lshrrev_b32_e32 v105, 8, v60
	v_lshrrev_b32_e32 v95, 24, v63
	v_lshrrev_b32_e32 v104, 16, v63
	v_lshrrev_b32_e32 v106, 8, v63
	v_lshrrev_b32_e32 v109, 24, v62
	v_lshrrev_b32_e32 v110, 16, v62
	v_lshrrev_b32_e32 v120, 8, v62
	v_lshrrev_b32_e32 v122, 24, v61
	v_lshrrev_b32_e32 v121, 16, v61
	v_lshrrev_b32_e32 v111, 8, v61
	v_lshrrev_b32_e32 v108, 24, v60
	v_lshrrev_b32_e32 v107, 16, v60
	v_and_b32_e32 v123, 0xff, v105
	s_mov_b32 s0, 0
	s_mov_b32 s1, exec_lo
	s_delay_alu instid0(VALU_DEP_1)
	v_cmpx_lt_i16_e32 0x7f, v123
	s_wait_alu 0xfffe
	s_xor_b32 s1, exec_lo, s1
	s_cbranch_execnz .LBB7_1725
; %bb.703:                              ;   in Loop: Header=BB7_62 Depth=1
	s_wait_alu 0xfffe
	s_or_saveexec_b32 s1, s1
	v_mov_b32_e32 v60, 0x7f800001
	s_wait_alu 0xfffe
	s_xor_b32 exec_lo, exec_lo, s1
	s_cbranch_execnz .LBB7_1728
.LBB7_704:                              ;   in Loop: Header=BB7_62 Depth=1
	s_or_b32 exec_lo, exec_lo, s1
	s_and_saveexec_b32 s1, s0
	s_cbranch_execz .LBB7_706
.LBB7_705:                              ;   in Loop: Header=BB7_62 Depth=1
	v_lshrrev_b16 v125, 3, v105
	s_delay_alu instid0(VALU_DEP_1) | instskip(NEXT) | instid1(VALU_DEP_1)
	v_and_b32_e32 v125, 15, v125
	v_cmp_eq_u16_e32 vcc_lo, 0, v125
	v_and_b32_e32 v60, 7, v105
	v_lshrrev_b16 v105, 7, v105
	s_delay_alu instid0(VALU_DEP_2) | instskip(NEXT) | instid1(VALU_DEP_2)
	v_clz_i32_u32_e32 v123, v60
	v_lshlrev_b32_e32 v105, 31, v105
	s_delay_alu instid0(VALU_DEP_2) | instskip(NEXT) | instid1(VALU_DEP_1)
	v_min_u32_e32 v123, 32, v123
	v_subrev_nc_u32_e32 v124, 28, v123
	v_sub_nc_u32_e32 v123, 29, v123
	s_wait_alu 0xfffd
	s_delay_alu instid0(VALU_DEP_1) | instskip(NEXT) | instid1(VALU_DEP_1)
	v_dual_cndmask_b32 v123, v125, v123 :: v_dual_lshlrev_b32 v124, v124, v60
	v_lshl_add_u32 v123, v123, 23, 0x3b800000
	s_delay_alu instid0(VALU_DEP_2) | instskip(NEXT) | instid1(VALU_DEP_1)
	v_and_b32_e32 v124, 7, v124
	v_cndmask_b32_e32 v60, v60, v124, vcc_lo
	s_delay_alu instid0(VALU_DEP_1) | instskip(NEXT) | instid1(VALU_DEP_1)
	v_lshlrev_b32_e32 v60, 20, v60
	v_or3_b32 v60, v105, v123, v60
.LBB7_706:                              ;   in Loop: Header=BB7_62 Depth=1
	s_wait_alu 0xfffe
	s_or_b32 exec_lo, exec_lo, s1
	v_and_b32_e32 v123, 0xff, v107
	s_mov_b32 s0, 0
	s_mov_b32 s1, exec_lo
	s_delay_alu instid0(VALU_DEP_1)
	v_cmpx_lt_i16_e32 0x7f, v123
	s_wait_alu 0xfffe
	s_xor_b32 s1, exec_lo, s1
	s_cbranch_execnz .LBB7_1729
; %bb.707:                              ;   in Loop: Header=BB7_62 Depth=1
	s_wait_alu 0xfffe
	s_or_saveexec_b32 s1, s1
	v_mov_b32_e32 v105, 0x7f800001
	s_wait_alu 0xfffe
	s_xor_b32 exec_lo, exec_lo, s1
	s_cbranch_execnz .LBB7_1732
.LBB7_708:                              ;   in Loop: Header=BB7_62 Depth=1
	s_or_b32 exec_lo, exec_lo, s1
	s_and_saveexec_b32 s1, s0
	s_cbranch_execz .LBB7_710
.LBB7_709:                              ;   in Loop: Header=BB7_62 Depth=1
	v_and_b32_e32 v105, 7, v107
	v_lshrrev_b16 v125, 3, v107
	v_lshrrev_b16 v107, 7, v107
	s_delay_alu instid0(VALU_DEP_3) | instskip(NEXT) | instid1(VALU_DEP_3)
	v_clz_i32_u32_e32 v123, v105
	v_and_b32_e32 v125, 15, v125
	s_delay_alu instid0(VALU_DEP_3) | instskip(NEXT) | instid1(VALU_DEP_3)
	v_lshlrev_b32_e32 v107, 31, v107
	v_min_u32_e32 v123, 32, v123
	s_delay_alu instid0(VALU_DEP_3) | instskip(NEXT) | instid1(VALU_DEP_2)
	v_cmp_eq_u16_e32 vcc_lo, 0, v125
	v_subrev_nc_u32_e32 v124, 28, v123
	v_sub_nc_u32_e32 v123, 29, v123
	s_wait_alu 0xfffd
	s_delay_alu instid0(VALU_DEP_1) | instskip(NEXT) | instid1(VALU_DEP_1)
	v_dual_cndmask_b32 v123, v125, v123 :: v_dual_lshlrev_b32 v124, v124, v105
	v_and_b32_e32 v124, 7, v124
	s_delay_alu instid0(VALU_DEP_2) | instskip(NEXT) | instid1(VALU_DEP_2)
	v_lshl_add_u32 v123, v123, 23, 0x3b800000
	v_cndmask_b32_e32 v105, v105, v124, vcc_lo
	s_delay_alu instid0(VALU_DEP_1) | instskip(NEXT) | instid1(VALU_DEP_1)
	v_lshlrev_b32_e32 v105, 20, v105
	v_or3_b32 v105, v107, v123, v105
.LBB7_710:                              ;   in Loop: Header=BB7_62 Depth=1
	s_wait_alu 0xfffe
	s_or_b32 exec_lo, exec_lo, s1
	s_mov_b32 s0, 0
	s_mov_b32 s1, exec_lo
	v_cmpx_lt_i16_e32 0x7f, v108
	s_wait_alu 0xfffe
	s_xor_b32 s1, exec_lo, s1
	s_cbranch_execnz .LBB7_1733
; %bb.711:                              ;   in Loop: Header=BB7_62 Depth=1
	s_wait_alu 0xfffe
	s_or_saveexec_b32 s1, s1
	v_mov_b32_e32 v107, 0x7f800001
	s_wait_alu 0xfffe
	s_xor_b32 exec_lo, exec_lo, s1
	s_cbranch_execnz .LBB7_1736
.LBB7_712:                              ;   in Loop: Header=BB7_62 Depth=1
	s_or_b32 exec_lo, exec_lo, s1
	s_and_saveexec_b32 s1, s0
	s_cbranch_execz .LBB7_714
.LBB7_713:                              ;   in Loop: Header=BB7_62 Depth=1
	v_and_b32_e32 v107, 7, v108
	v_lshrrev_b16 v125, 3, v108
	v_lshrrev_b16 v108, 7, v108
	s_delay_alu instid0(VALU_DEP_3) | instskip(NEXT) | instid1(VALU_DEP_3)
	v_clz_i32_u32_e32 v123, v107
	v_and_b32_e32 v125, 15, v125
	s_delay_alu instid0(VALU_DEP_3) | instskip(NEXT) | instid1(VALU_DEP_3)
	v_lshlrev_b32_e32 v108, 31, v108
	v_min_u32_e32 v123, 32, v123
	s_delay_alu instid0(VALU_DEP_3) | instskip(NEXT) | instid1(VALU_DEP_2)
	v_cmp_eq_u16_e32 vcc_lo, 0, v125
	v_subrev_nc_u32_e32 v124, 28, v123
	v_sub_nc_u32_e32 v123, 29, v123
	s_delay_alu instid0(VALU_DEP_2) | instskip(SKIP_1) | instid1(VALU_DEP_1)
	v_lshlrev_b32_e32 v124, v124, v107
	s_wait_alu 0xfffd
	v_dual_cndmask_b32 v123, v125, v123 :: v_dual_and_b32 v124, 7, v124
	s_delay_alu instid0(VALU_DEP_1) | instskip(NEXT) | instid1(VALU_DEP_2)
	v_lshl_add_u32 v123, v123, 23, 0x3b800000
	v_cndmask_b32_e32 v107, v107, v124, vcc_lo
	s_delay_alu instid0(VALU_DEP_1) | instskip(NEXT) | instid1(VALU_DEP_1)
	v_lshlrev_b32_e32 v107, 20, v107
	v_or3_b32 v107, v108, v123, v107
.LBB7_714:                              ;   in Loop: Header=BB7_62 Depth=1
	s_wait_alu 0xfffe
	s_or_b32 exec_lo, exec_lo, s1
	v_and_b32_e32 v123, 0xff, v61
	s_mov_b32 s0, 0
	s_mov_b32 s1, exec_lo
	s_delay_alu instid0(VALU_DEP_1)
	v_cmpx_lt_i16_e32 0x7f, v123
	s_wait_alu 0xfffe
	s_xor_b32 s1, exec_lo, s1
	s_cbranch_execnz .LBB7_1737
; %bb.715:                              ;   in Loop: Header=BB7_62 Depth=1
	s_wait_alu 0xfffe
	s_or_saveexec_b32 s1, s1
	v_mov_b32_e32 v108, 0x7f800001
	s_wait_alu 0xfffe
	s_xor_b32 exec_lo, exec_lo, s1
	s_cbranch_execnz .LBB7_1740
.LBB7_716:                              ;   in Loop: Header=BB7_62 Depth=1
	s_or_b32 exec_lo, exec_lo, s1
	s_and_saveexec_b32 s1, s0
	s_cbranch_execz .LBB7_718
.LBB7_717:                              ;   in Loop: Header=BB7_62 Depth=1
	v_lshrrev_b16 v125, 3, v61
	s_delay_alu instid0(VALU_DEP_1) | instskip(NEXT) | instid1(VALU_DEP_1)
	v_and_b32_e32 v125, 15, v125
	v_cmp_eq_u16_e32 vcc_lo, 0, v125
	v_and_b32_e32 v108, 7, v61
	v_lshrrev_b16 v61, 7, v61
	s_delay_alu instid0(VALU_DEP_2) | instskip(NEXT) | instid1(VALU_DEP_2)
	v_clz_i32_u32_e32 v123, v108
	v_lshlrev_b32_e32 v61, 31, v61
	s_delay_alu instid0(VALU_DEP_2) | instskip(NEXT) | instid1(VALU_DEP_1)
	v_min_u32_e32 v123, 32, v123
	v_subrev_nc_u32_e32 v124, 28, v123
	v_sub_nc_u32_e32 v123, 29, v123
	s_wait_alu 0xfffd
	s_delay_alu instid0(VALU_DEP_1) | instskip(NEXT) | instid1(VALU_DEP_1)
	v_dual_cndmask_b32 v123, v125, v123 :: v_dual_lshlrev_b32 v124, v124, v108
	v_lshl_add_u32 v123, v123, 23, 0x3b800000
	s_delay_alu instid0(VALU_DEP_2) | instskip(NEXT) | instid1(VALU_DEP_1)
	v_and_b32_e32 v124, 7, v124
	v_cndmask_b32_e32 v108, v108, v124, vcc_lo
	s_delay_alu instid0(VALU_DEP_1) | instskip(NEXT) | instid1(VALU_DEP_1)
	v_lshlrev_b32_e32 v108, 20, v108
	v_or3_b32 v108, v61, v123, v108
.LBB7_718:                              ;   in Loop: Header=BB7_62 Depth=1
	s_wait_alu 0xfffe
	s_or_b32 exec_lo, exec_lo, s1
	v_and_b32_e32 v123, 0xff, v111
	s_mov_b32 s0, 0
	s_mov_b32 s1, exec_lo
	s_delay_alu instid0(VALU_DEP_1)
	v_cmpx_lt_i16_e32 0x7f, v123
	s_wait_alu 0xfffe
	s_xor_b32 s1, exec_lo, s1
	s_cbranch_execnz .LBB7_1741
; %bb.719:                              ;   in Loop: Header=BB7_62 Depth=1
	s_wait_alu 0xfffe
	s_or_saveexec_b32 s1, s1
	v_mov_b32_e32 v61, 0x7f800001
	s_wait_alu 0xfffe
	s_xor_b32 exec_lo, exec_lo, s1
	s_cbranch_execnz .LBB7_1744
.LBB7_720:                              ;   in Loop: Header=BB7_62 Depth=1
	s_or_b32 exec_lo, exec_lo, s1
	s_and_saveexec_b32 s1, s0
	s_cbranch_execz .LBB7_722
.LBB7_721:                              ;   in Loop: Header=BB7_62 Depth=1
	v_and_b32_e32 v61, 7, v111
	v_lshrrev_b16 v125, 3, v111
	v_lshrrev_b16 v111, 7, v111
	s_delay_alu instid0(VALU_DEP_3) | instskip(NEXT) | instid1(VALU_DEP_3)
	v_clz_i32_u32_e32 v123, v61
	v_and_b32_e32 v125, 15, v125
	s_delay_alu instid0(VALU_DEP_3) | instskip(NEXT) | instid1(VALU_DEP_3)
	v_lshlrev_b32_e32 v111, 31, v111
	v_min_u32_e32 v123, 32, v123
	s_delay_alu instid0(VALU_DEP_3) | instskip(NEXT) | instid1(VALU_DEP_2)
	v_cmp_eq_u16_e32 vcc_lo, 0, v125
	v_subrev_nc_u32_e32 v124, 28, v123
	v_sub_nc_u32_e32 v123, 29, v123
	s_wait_alu 0xfffd
	s_delay_alu instid0(VALU_DEP_1) | instskip(NEXT) | instid1(VALU_DEP_1)
	v_dual_cndmask_b32 v123, v125, v123 :: v_dual_lshlrev_b32 v124, v124, v61
	v_and_b32_e32 v124, 7, v124
	s_delay_alu instid0(VALU_DEP_2) | instskip(NEXT) | instid1(VALU_DEP_2)
	v_lshl_add_u32 v123, v123, 23, 0x3b800000
	v_cndmask_b32_e32 v61, v61, v124, vcc_lo
	s_delay_alu instid0(VALU_DEP_1) | instskip(NEXT) | instid1(VALU_DEP_1)
	v_lshlrev_b32_e32 v61, 20, v61
	v_or3_b32 v61, v111, v123, v61
.LBB7_722:                              ;   in Loop: Header=BB7_62 Depth=1
	s_wait_alu 0xfffe
	s_or_b32 exec_lo, exec_lo, s1
	v_and_b32_e32 v123, 0xff, v121
	s_mov_b32 s0, 0
	s_mov_b32 s1, exec_lo
	s_delay_alu instid0(VALU_DEP_1)
	v_cmpx_lt_i16_e32 0x7f, v123
	s_wait_alu 0xfffe
	s_xor_b32 s1, exec_lo, s1
	s_cbranch_execnz .LBB7_1745
; %bb.723:                              ;   in Loop: Header=BB7_62 Depth=1
	s_wait_alu 0xfffe
	s_or_saveexec_b32 s1, s1
	v_mov_b32_e32 v111, 0x7f800001
	s_wait_alu 0xfffe
	s_xor_b32 exec_lo, exec_lo, s1
	s_cbranch_execnz .LBB7_1748
.LBB7_724:                              ;   in Loop: Header=BB7_62 Depth=1
	s_or_b32 exec_lo, exec_lo, s1
	s_and_saveexec_b32 s1, s0
	s_cbranch_execz .LBB7_726
.LBB7_725:                              ;   in Loop: Header=BB7_62 Depth=1
	v_and_b32_e32 v111, 7, v121
	v_lshrrev_b16 v125, 3, v121
	v_lshrrev_b16 v121, 7, v121
	s_delay_alu instid0(VALU_DEP_3) | instskip(NEXT) | instid1(VALU_DEP_3)
	v_clz_i32_u32_e32 v123, v111
	v_and_b32_e32 v125, 15, v125
	s_delay_alu instid0(VALU_DEP_3) | instskip(NEXT) | instid1(VALU_DEP_3)
	v_lshlrev_b32_e32 v121, 31, v121
	v_min_u32_e32 v123, 32, v123
	s_delay_alu instid0(VALU_DEP_3) | instskip(NEXT) | instid1(VALU_DEP_2)
	v_cmp_eq_u16_e32 vcc_lo, 0, v125
	v_subrev_nc_u32_e32 v124, 28, v123
	v_sub_nc_u32_e32 v123, 29, v123
	s_delay_alu instid0(VALU_DEP_2) | instskip(SKIP_1) | instid1(VALU_DEP_1)
	v_lshlrev_b32_e32 v124, v124, v111
	s_wait_alu 0xfffd
	v_dual_cndmask_b32 v123, v125, v123 :: v_dual_and_b32 v124, 7, v124
	s_delay_alu instid0(VALU_DEP_1) | instskip(NEXT) | instid1(VALU_DEP_2)
	v_lshl_add_u32 v123, v123, 23, 0x3b800000
	v_cndmask_b32_e32 v111, v111, v124, vcc_lo
	s_delay_alu instid0(VALU_DEP_1) | instskip(NEXT) | instid1(VALU_DEP_1)
	v_lshlrev_b32_e32 v111, 20, v111
	v_or3_b32 v111, v121, v123, v111
.LBB7_726:                              ;   in Loop: Header=BB7_62 Depth=1
	s_wait_alu 0xfffe
	s_or_b32 exec_lo, exec_lo, s1
	s_mov_b32 s0, 0
	s_mov_b32 s1, exec_lo
	v_cmpx_lt_i16_e32 0x7f, v122
	s_wait_alu 0xfffe
	s_xor_b32 s1, exec_lo, s1
	s_cbranch_execnz .LBB7_1749
; %bb.727:                              ;   in Loop: Header=BB7_62 Depth=1
	s_wait_alu 0xfffe
	s_or_saveexec_b32 s1, s1
	v_mov_b32_e32 v121, 0x7f800001
	s_wait_alu 0xfffe
	s_xor_b32 exec_lo, exec_lo, s1
	s_cbranch_execnz .LBB7_1752
.LBB7_728:                              ;   in Loop: Header=BB7_62 Depth=1
	s_or_b32 exec_lo, exec_lo, s1
	s_and_saveexec_b32 s1, s0
	s_cbranch_execz .LBB7_730
.LBB7_729:                              ;   in Loop: Header=BB7_62 Depth=1
	v_and_b32_e32 v121, 7, v122
	v_lshrrev_b16 v125, 3, v122
	v_lshrrev_b16 v122, 7, v122
	s_delay_alu instid0(VALU_DEP_3) | instskip(NEXT) | instid1(VALU_DEP_3)
	v_clz_i32_u32_e32 v123, v121
	v_and_b32_e32 v125, 15, v125
	s_delay_alu instid0(VALU_DEP_3) | instskip(NEXT) | instid1(VALU_DEP_3)
	v_lshlrev_b32_e32 v122, 31, v122
	v_min_u32_e32 v123, 32, v123
	s_delay_alu instid0(VALU_DEP_3) | instskip(NEXT) | instid1(VALU_DEP_2)
	v_cmp_eq_u16_e32 vcc_lo, 0, v125
	v_subrev_nc_u32_e32 v124, 28, v123
	v_sub_nc_u32_e32 v123, 29, v123
	s_wait_alu 0xfffd
	s_delay_alu instid0(VALU_DEP_1) | instskip(NEXT) | instid1(VALU_DEP_1)
	v_dual_cndmask_b32 v123, v125, v123 :: v_dual_lshlrev_b32 v124, v124, v121
	v_and_b32_e32 v124, 7, v124
	s_delay_alu instid0(VALU_DEP_2) | instskip(NEXT) | instid1(VALU_DEP_2)
	v_lshl_add_u32 v123, v123, 23, 0x3b800000
	v_cndmask_b32_e32 v121, v121, v124, vcc_lo
	s_delay_alu instid0(VALU_DEP_1) | instskip(NEXT) | instid1(VALU_DEP_1)
	v_lshlrev_b32_e32 v121, 20, v121
	v_or3_b32 v121, v122, v123, v121
.LBB7_730:                              ;   in Loop: Header=BB7_62 Depth=1
	s_wait_alu 0xfffe
	s_or_b32 exec_lo, exec_lo, s1
	v_and_b32_e32 v123, 0xff, v62
	s_mov_b32 s0, 0
	s_mov_b32 s1, exec_lo
	s_delay_alu instid0(VALU_DEP_1)
	v_cmpx_lt_i16_e32 0x7f, v123
	s_wait_alu 0xfffe
	s_xor_b32 s1, exec_lo, s1
	s_cbranch_execnz .LBB7_1753
; %bb.731:                              ;   in Loop: Header=BB7_62 Depth=1
	s_wait_alu 0xfffe
	s_or_saveexec_b32 s1, s1
	v_mov_b32_e32 v122, 0x7f800001
	s_wait_alu 0xfffe
	s_xor_b32 exec_lo, exec_lo, s1
	s_cbranch_execnz .LBB7_1756
.LBB7_732:                              ;   in Loop: Header=BB7_62 Depth=1
	s_or_b32 exec_lo, exec_lo, s1
	s_and_saveexec_b32 s1, s0
	s_cbranch_execz .LBB7_734
.LBB7_733:                              ;   in Loop: Header=BB7_62 Depth=1
	v_lshrrev_b16 v125, 3, v62
	s_delay_alu instid0(VALU_DEP_1) | instskip(NEXT) | instid1(VALU_DEP_1)
	v_and_b32_e32 v125, 15, v125
	v_cmp_eq_u16_e32 vcc_lo, 0, v125
	v_and_b32_e32 v122, 7, v62
	v_lshrrev_b16 v62, 7, v62
	s_delay_alu instid0(VALU_DEP_2) | instskip(NEXT) | instid1(VALU_DEP_2)
	v_clz_i32_u32_e32 v123, v122
	v_lshlrev_b32_e32 v62, 31, v62
	s_delay_alu instid0(VALU_DEP_2) | instskip(NEXT) | instid1(VALU_DEP_1)
	v_min_u32_e32 v123, 32, v123
	v_subrev_nc_u32_e32 v124, 28, v123
	v_sub_nc_u32_e32 v123, 29, v123
	s_wait_alu 0xfffd
	s_delay_alu instid0(VALU_DEP_1) | instskip(NEXT) | instid1(VALU_DEP_1)
	v_dual_cndmask_b32 v123, v125, v123 :: v_dual_lshlrev_b32 v124, v124, v122
	v_lshl_add_u32 v123, v123, 23, 0x3b800000
	s_delay_alu instid0(VALU_DEP_2) | instskip(NEXT) | instid1(VALU_DEP_1)
	v_and_b32_e32 v124, 7, v124
	v_cndmask_b32_e32 v122, v122, v124, vcc_lo
	s_delay_alu instid0(VALU_DEP_1) | instskip(NEXT) | instid1(VALU_DEP_1)
	v_lshlrev_b32_e32 v122, 20, v122
	v_or3_b32 v122, v62, v123, v122
.LBB7_734:                              ;   in Loop: Header=BB7_62 Depth=1
	s_wait_alu 0xfffe
	s_or_b32 exec_lo, exec_lo, s1
	v_and_b32_e32 v123, 0xff, v120
	s_mov_b32 s0, 0
	s_mov_b32 s1, exec_lo
	s_delay_alu instid0(VALU_DEP_1)
	v_cmpx_lt_i16_e32 0x7f, v123
	s_wait_alu 0xfffe
	s_xor_b32 s1, exec_lo, s1
	s_cbranch_execnz .LBB7_1757
; %bb.735:                              ;   in Loop: Header=BB7_62 Depth=1
	s_wait_alu 0xfffe
	s_or_saveexec_b32 s1, s1
	v_mov_b32_e32 v62, 0x7f800001
	s_wait_alu 0xfffe
	s_xor_b32 exec_lo, exec_lo, s1
	s_cbranch_execnz .LBB7_1760
.LBB7_736:                              ;   in Loop: Header=BB7_62 Depth=1
	s_or_b32 exec_lo, exec_lo, s1
	s_and_saveexec_b32 s1, s0
	s_cbranch_execz .LBB7_738
.LBB7_737:                              ;   in Loop: Header=BB7_62 Depth=1
	v_lshrrev_b16 v125, 3, v120
	s_delay_alu instid0(VALU_DEP_1) | instskip(NEXT) | instid1(VALU_DEP_1)
	v_and_b32_e32 v125, 15, v125
	v_cmp_eq_u16_e32 vcc_lo, 0, v125
	v_and_b32_e32 v62, 7, v120
	v_lshrrev_b16 v120, 7, v120
	s_delay_alu instid0(VALU_DEP_2) | instskip(NEXT) | instid1(VALU_DEP_2)
	v_clz_i32_u32_e32 v123, v62
	v_lshlrev_b32_e32 v120, 31, v120
	s_delay_alu instid0(VALU_DEP_2) | instskip(NEXT) | instid1(VALU_DEP_1)
	v_min_u32_e32 v123, 32, v123
	v_subrev_nc_u32_e32 v124, 28, v123
	v_sub_nc_u32_e32 v123, 29, v123
	s_wait_alu 0xfffd
	s_delay_alu instid0(VALU_DEP_1) | instskip(NEXT) | instid1(VALU_DEP_1)
	v_dual_cndmask_b32 v123, v125, v123 :: v_dual_lshlrev_b32 v124, v124, v62
	v_lshl_add_u32 v123, v123, 23, 0x3b800000
	s_delay_alu instid0(VALU_DEP_2) | instskip(NEXT) | instid1(VALU_DEP_1)
	v_and_b32_e32 v124, 7, v124
	v_cndmask_b32_e32 v62, v62, v124, vcc_lo
	s_delay_alu instid0(VALU_DEP_1) | instskip(NEXT) | instid1(VALU_DEP_1)
	v_lshlrev_b32_e32 v62, 20, v62
	v_or3_b32 v62, v120, v123, v62
.LBB7_738:                              ;   in Loop: Header=BB7_62 Depth=1
	s_wait_alu 0xfffe
	s_or_b32 exec_lo, exec_lo, s1
	v_and_b32_e32 v123, 0xff, v110
	s_mov_b32 s0, 0
	s_mov_b32 s1, exec_lo
	s_delay_alu instid0(VALU_DEP_1)
	v_cmpx_lt_i16_e32 0x7f, v123
	s_wait_alu 0xfffe
	s_xor_b32 s1, exec_lo, s1
	s_cbranch_execnz .LBB7_1761
; %bb.739:                              ;   in Loop: Header=BB7_62 Depth=1
	s_wait_alu 0xfffe
	s_or_saveexec_b32 s1, s1
	v_mov_b32_e32 v120, 0x7f800001
	s_wait_alu 0xfffe
	s_xor_b32 exec_lo, exec_lo, s1
	s_cbranch_execnz .LBB7_1764
.LBB7_740:                              ;   in Loop: Header=BB7_62 Depth=1
	s_or_b32 exec_lo, exec_lo, s1
	s_and_saveexec_b32 s1, s0
	s_cbranch_execz .LBB7_742
.LBB7_741:                              ;   in Loop: Header=BB7_62 Depth=1
	v_lshrrev_b16 v125, 3, v110
	s_delay_alu instid0(VALU_DEP_1) | instskip(NEXT) | instid1(VALU_DEP_1)
	v_and_b32_e32 v125, 15, v125
	v_cmp_eq_u16_e32 vcc_lo, 0, v125
	v_and_b32_e32 v120, 7, v110
	v_lshrrev_b16 v110, 7, v110
	s_delay_alu instid0(VALU_DEP_2) | instskip(NEXT) | instid1(VALU_DEP_2)
	v_clz_i32_u32_e32 v123, v120
	v_lshlrev_b32_e32 v110, 31, v110
	s_delay_alu instid0(VALU_DEP_2) | instskip(NEXT) | instid1(VALU_DEP_1)
	v_min_u32_e32 v123, 32, v123
	v_subrev_nc_u32_e32 v124, 28, v123
	v_sub_nc_u32_e32 v123, 29, v123
	s_wait_alu 0xfffd
	s_delay_alu instid0(VALU_DEP_1) | instskip(NEXT) | instid1(VALU_DEP_1)
	v_dual_cndmask_b32 v123, v125, v123 :: v_dual_lshlrev_b32 v124, v124, v120
	v_lshl_add_u32 v123, v123, 23, 0x3b800000
	s_delay_alu instid0(VALU_DEP_2) | instskip(NEXT) | instid1(VALU_DEP_1)
	v_and_b32_e32 v124, 7, v124
	v_cndmask_b32_e32 v120, v120, v124, vcc_lo
	s_delay_alu instid0(VALU_DEP_1) | instskip(NEXT) | instid1(VALU_DEP_1)
	v_lshlrev_b32_e32 v120, 20, v120
	v_or3_b32 v120, v110, v123, v120
.LBB7_742:                              ;   in Loop: Header=BB7_62 Depth=1
	s_wait_alu 0xfffe
	s_or_b32 exec_lo, exec_lo, s1
	s_mov_b32 s0, 0
	s_mov_b32 s1, exec_lo
	v_cmpx_lt_i16_e32 0x7f, v109
	s_wait_alu 0xfffe
	s_xor_b32 s1, exec_lo, s1
	s_cbranch_execnz .LBB7_1765
; %bb.743:                              ;   in Loop: Header=BB7_62 Depth=1
	s_wait_alu 0xfffe
	s_or_saveexec_b32 s1, s1
	v_mov_b32_e32 v110, 0x7f800001
	s_wait_alu 0xfffe
	s_xor_b32 exec_lo, exec_lo, s1
	s_cbranch_execnz .LBB7_1768
.LBB7_744:                              ;   in Loop: Header=BB7_62 Depth=1
	s_or_b32 exec_lo, exec_lo, s1
	s_and_saveexec_b32 s1, s0
	s_cbranch_execz .LBB7_746
.LBB7_745:                              ;   in Loop: Header=BB7_62 Depth=1
	v_lshrrev_b16 v125, 3, v109
	s_delay_alu instid0(VALU_DEP_1) | instskip(NEXT) | instid1(VALU_DEP_1)
	v_and_b32_e32 v125, 15, v125
	v_cmp_eq_u16_e32 vcc_lo, 0, v125
	v_and_b32_e32 v110, 7, v109
	v_lshrrev_b16 v109, 7, v109
	s_delay_alu instid0(VALU_DEP_2) | instskip(NEXT) | instid1(VALU_DEP_2)
	v_clz_i32_u32_e32 v123, v110
	v_lshlrev_b32_e32 v109, 31, v109
	s_delay_alu instid0(VALU_DEP_2) | instskip(NEXT) | instid1(VALU_DEP_1)
	v_min_u32_e32 v123, 32, v123
	v_subrev_nc_u32_e32 v124, 28, v123
	v_sub_nc_u32_e32 v123, 29, v123
	s_wait_alu 0xfffd
	s_delay_alu instid0(VALU_DEP_1) | instskip(NEXT) | instid1(VALU_DEP_1)
	v_dual_cndmask_b32 v123, v125, v123 :: v_dual_lshlrev_b32 v124, v124, v110
	v_lshl_add_u32 v123, v123, 23, 0x3b800000
	s_delay_alu instid0(VALU_DEP_2) | instskip(NEXT) | instid1(VALU_DEP_1)
	v_and_b32_e32 v124, 7, v124
	v_cndmask_b32_e32 v110, v110, v124, vcc_lo
	s_delay_alu instid0(VALU_DEP_1) | instskip(NEXT) | instid1(VALU_DEP_1)
	v_lshlrev_b32_e32 v110, 20, v110
	v_or3_b32 v110, v109, v123, v110
.LBB7_746:                              ;   in Loop: Header=BB7_62 Depth=1
	s_wait_alu 0xfffe
	s_or_b32 exec_lo, exec_lo, s1
	v_and_b32_e32 v123, 0xff, v63
	s_mov_b32 s0, 0
	s_mov_b32 s1, exec_lo
	s_delay_alu instid0(VALU_DEP_1)
	v_cmpx_lt_i16_e32 0x7f, v123
	s_wait_alu 0xfffe
	s_xor_b32 s1, exec_lo, s1
	s_cbranch_execnz .LBB7_1769
; %bb.747:                              ;   in Loop: Header=BB7_62 Depth=1
	s_wait_alu 0xfffe
	s_or_saveexec_b32 s1, s1
	v_mov_b32_e32 v109, 0x7f800001
	s_wait_alu 0xfffe
	s_xor_b32 exec_lo, exec_lo, s1
	s_cbranch_execnz .LBB7_1772
.LBB7_748:                              ;   in Loop: Header=BB7_62 Depth=1
	s_or_b32 exec_lo, exec_lo, s1
	s_and_saveexec_b32 s1, s0
	s_cbranch_execz .LBB7_750
.LBB7_749:                              ;   in Loop: Header=BB7_62 Depth=1
	v_and_b32_e32 v109, 7, v63
	v_lshrrev_b16 v125, 3, v63
	v_lshrrev_b16 v63, 7, v63
	s_delay_alu instid0(VALU_DEP_3) | instskip(NEXT) | instid1(VALU_DEP_3)
	v_clz_i32_u32_e32 v123, v109
	v_and_b32_e32 v125, 15, v125
	s_delay_alu instid0(VALU_DEP_3) | instskip(NEXT) | instid1(VALU_DEP_3)
	v_lshlrev_b32_e32 v63, 31, v63
	v_min_u32_e32 v123, 32, v123
	s_delay_alu instid0(VALU_DEP_3) | instskip(NEXT) | instid1(VALU_DEP_2)
	v_cmp_eq_u16_e32 vcc_lo, 0, v125
	v_subrev_nc_u32_e32 v124, 28, v123
	v_sub_nc_u32_e32 v123, 29, v123
	s_wait_alu 0xfffd
	s_delay_alu instid0(VALU_DEP_1) | instskip(NEXT) | instid1(VALU_DEP_1)
	v_dual_cndmask_b32 v123, v125, v123 :: v_dual_lshlrev_b32 v124, v124, v109
	v_and_b32_e32 v124, 7, v124
	s_delay_alu instid0(VALU_DEP_2) | instskip(NEXT) | instid1(VALU_DEP_2)
	v_lshl_add_u32 v123, v123, 23, 0x3b800000
	v_cndmask_b32_e32 v109, v109, v124, vcc_lo
	s_delay_alu instid0(VALU_DEP_1) | instskip(NEXT) | instid1(VALU_DEP_1)
	v_lshlrev_b32_e32 v109, 20, v109
	v_or3_b32 v109, v63, v123, v109
.LBB7_750:                              ;   in Loop: Header=BB7_62 Depth=1
	s_wait_alu 0xfffe
	s_or_b32 exec_lo, exec_lo, s1
	v_and_b32_e32 v123, 0xff, v106
	s_mov_b32 s0, 0
	s_mov_b32 s1, exec_lo
	s_delay_alu instid0(VALU_DEP_1)
	v_cmpx_lt_i16_e32 0x7f, v123
	s_wait_alu 0xfffe
	s_xor_b32 s1, exec_lo, s1
	s_cbranch_execnz .LBB7_1773
; %bb.751:                              ;   in Loop: Header=BB7_62 Depth=1
	s_wait_alu 0xfffe
	s_or_saveexec_b32 s1, s1
	v_mov_b32_e32 v63, 0x7f800001
	s_wait_alu 0xfffe
	s_xor_b32 exec_lo, exec_lo, s1
	s_cbranch_execnz .LBB7_1776
.LBB7_752:                              ;   in Loop: Header=BB7_62 Depth=1
	s_or_b32 exec_lo, exec_lo, s1
	s_and_saveexec_b32 s1, s0
	s_cbranch_execz .LBB7_754
.LBB7_753:                              ;   in Loop: Header=BB7_62 Depth=1
	v_and_b32_e32 v63, 7, v106
	v_lshrrev_b16 v125, 3, v106
	v_lshrrev_b16 v106, 7, v106
	s_delay_alu instid0(VALU_DEP_3) | instskip(NEXT) | instid1(VALU_DEP_3)
	v_clz_i32_u32_e32 v123, v63
	v_and_b32_e32 v125, 15, v125
	s_delay_alu instid0(VALU_DEP_3) | instskip(NEXT) | instid1(VALU_DEP_3)
	v_lshlrev_b32_e32 v106, 31, v106
	v_min_u32_e32 v123, 32, v123
	s_delay_alu instid0(VALU_DEP_3) | instskip(NEXT) | instid1(VALU_DEP_2)
	v_cmp_eq_u16_e32 vcc_lo, 0, v125
	v_subrev_nc_u32_e32 v124, 28, v123
	v_sub_nc_u32_e32 v123, 29, v123
	s_delay_alu instid0(VALU_DEP_2) | instskip(SKIP_1) | instid1(VALU_DEP_1)
	v_lshlrev_b32_e32 v124, v124, v63
	s_wait_alu 0xfffd
	v_dual_cndmask_b32 v123, v125, v123 :: v_dual_and_b32 v124, 7, v124
	s_delay_alu instid0(VALU_DEP_1) | instskip(NEXT) | instid1(VALU_DEP_2)
	v_lshl_add_u32 v123, v123, 23, 0x3b800000
	v_cndmask_b32_e32 v63, v63, v124, vcc_lo
	s_delay_alu instid0(VALU_DEP_1) | instskip(NEXT) | instid1(VALU_DEP_1)
	v_lshlrev_b32_e32 v63, 20, v63
	v_or3_b32 v63, v106, v123, v63
.LBB7_754:                              ;   in Loop: Header=BB7_62 Depth=1
	s_wait_alu 0xfffe
	s_or_b32 exec_lo, exec_lo, s1
	v_and_b32_e32 v123, 0xff, v104
	s_mov_b32 s0, 0
	s_mov_b32 s1, exec_lo
	s_delay_alu instid0(VALU_DEP_1)
	v_cmpx_lt_i16_e32 0x7f, v123
	s_wait_alu 0xfffe
	s_xor_b32 s1, exec_lo, s1
	s_cbranch_execnz .LBB7_1777
; %bb.755:                              ;   in Loop: Header=BB7_62 Depth=1
	s_wait_alu 0xfffe
	s_or_saveexec_b32 s1, s1
	v_mov_b32_e32 v106, 0x7f800001
	s_wait_alu 0xfffe
	s_xor_b32 exec_lo, exec_lo, s1
	s_cbranch_execnz .LBB7_1780
.LBB7_756:                              ;   in Loop: Header=BB7_62 Depth=1
	s_or_b32 exec_lo, exec_lo, s1
	s_and_saveexec_b32 s1, s0
	s_cbranch_execz .LBB7_758
.LBB7_757:                              ;   in Loop: Header=BB7_62 Depth=1
	v_lshrrev_b16 v125, 3, v104
	s_delay_alu instid0(VALU_DEP_1) | instskip(NEXT) | instid1(VALU_DEP_1)
	v_and_b32_e32 v125, 15, v125
	v_cmp_eq_u16_e32 vcc_lo, 0, v125
	v_and_b32_e32 v106, 7, v104
	v_lshrrev_b16 v104, 7, v104
	s_delay_alu instid0(VALU_DEP_2) | instskip(NEXT) | instid1(VALU_DEP_2)
	v_clz_i32_u32_e32 v123, v106
	v_lshlrev_b32_e32 v104, 31, v104
	s_delay_alu instid0(VALU_DEP_2) | instskip(NEXT) | instid1(VALU_DEP_1)
	v_min_u32_e32 v123, 32, v123
	v_subrev_nc_u32_e32 v124, 28, v123
	v_sub_nc_u32_e32 v123, 29, v123
	s_wait_alu 0xfffd
	s_delay_alu instid0(VALU_DEP_1) | instskip(NEXT) | instid1(VALU_DEP_1)
	v_dual_cndmask_b32 v123, v125, v123 :: v_dual_lshlrev_b32 v124, v124, v106
	v_lshl_add_u32 v123, v123, 23, 0x3b800000
	s_delay_alu instid0(VALU_DEP_2) | instskip(NEXT) | instid1(VALU_DEP_1)
	v_and_b32_e32 v124, 7, v124
	v_cndmask_b32_e32 v106, v106, v124, vcc_lo
	s_delay_alu instid0(VALU_DEP_1) | instskip(NEXT) | instid1(VALU_DEP_1)
	v_lshlrev_b32_e32 v106, 20, v106
	v_or3_b32 v106, v104, v123, v106
.LBB7_758:                              ;   in Loop: Header=BB7_62 Depth=1
	s_wait_alu 0xfffe
	s_or_b32 exec_lo, exec_lo, s1
	s_mov_b32 s0, 0
	s_mov_b32 s1, exec_lo
	v_cmpx_lt_i16_e32 0x7f, v95
	s_wait_alu 0xfffe
	s_xor_b32 s1, exec_lo, s1
	s_cbranch_execnz .LBB7_1781
; %bb.759:                              ;   in Loop: Header=BB7_62 Depth=1
	s_wait_alu 0xfffe
	s_or_saveexec_b32 s1, s1
	v_mov_b32_e32 v104, 0x7f800001
	s_wait_alu 0xfffe
	s_xor_b32 exec_lo, exec_lo, s1
	s_cbranch_execnz .LBB7_1784
.LBB7_760:                              ;   in Loop: Header=BB7_62 Depth=1
	s_or_b32 exec_lo, exec_lo, s1
	s_and_saveexec_b32 s1, s0
	s_cbranch_execz .LBB7_762
.LBB7_761:                              ;   in Loop: Header=BB7_62 Depth=1
	v_and_b32_e32 v104, 7, v95
	v_lshrrev_b16 v125, 3, v95
	v_lshrrev_b16 v95, 7, v95
	s_delay_alu instid0(VALU_DEP_3) | instskip(NEXT) | instid1(VALU_DEP_3)
	v_clz_i32_u32_e32 v123, v104
	v_and_b32_e32 v125, 15, v125
	s_delay_alu instid0(VALU_DEP_3) | instskip(NEXT) | instid1(VALU_DEP_3)
	v_lshlrev_b32_e32 v95, 31, v95
	v_min_u32_e32 v123, 32, v123
	s_delay_alu instid0(VALU_DEP_3) | instskip(NEXT) | instid1(VALU_DEP_2)
	v_cmp_eq_u16_e32 vcc_lo, 0, v125
	v_subrev_nc_u32_e32 v124, 28, v123
	v_sub_nc_u32_e32 v123, 29, v123
	s_wait_alu 0xfffd
	s_delay_alu instid0(VALU_DEP_1) | instskip(NEXT) | instid1(VALU_DEP_1)
	v_dual_cndmask_b32 v123, v125, v123 :: v_dual_lshlrev_b32 v124, v124, v104
	v_and_b32_e32 v124, 7, v124
	s_delay_alu instid0(VALU_DEP_2) | instskip(NEXT) | instid1(VALU_DEP_2)
	v_lshl_add_u32 v123, v123, 23, 0x3b800000
	v_cndmask_b32_e32 v104, v104, v124, vcc_lo
	s_delay_alu instid0(VALU_DEP_1) | instskip(NEXT) | instid1(VALU_DEP_1)
	v_lshlrev_b32_e32 v104, 20, v104
	v_or3_b32 v104, v95, v123, v104
.LBB7_762:                              ;   in Loop: Header=BB7_62 Depth=1
	s_wait_alu 0xfffe
	s_or_b32 exec_lo, exec_lo, s1
	v_cvt_pk_rtz_f16_f32_e32 v123, v94, v60
	v_add_nc_u32_e32 v60, 32, v89
	v_cvt_pk_rtz_f16_f32_e32 v125, v108, v61
	v_cvt_pk_rtz_f16_f32_e32 v124, v105, v107
	;; [unrolled: 1-line block ×4, first 2 shown]
	v_ashrrev_i32_e32 v61, 31, v60
	v_cvt_pk_rtz_f16_f32_e32 v109, v109, v63
	v_cvt_pk_rtz_f16_f32_e32 v108, v120, v110
	;; [unrolled: 1-line block ×3, first 2 shown]
	s_clause 0x1
	scratch_store_b128 off, v[123:126], s33 offset:32
	scratch_store_b128 off, v[107:110], s33 offset:48
	v_lshrrev_b32_e32 v61, 28, v61
	s_mov_b32 s0, 0
	s_mov_b32 s1, exec_lo
	s_delay_alu instid0(VALU_DEP_1) | instskip(NEXT) | instid1(VALU_DEP_1)
	v_add_nc_u32_e32 v61, v60, v61
	v_lshrrev_b32_e32 v62, 4, v61
	v_and_b32_e32 v61, -16, v61
	s_delay_alu instid0(VALU_DEP_2) | instskip(NEXT) | instid1(VALU_DEP_2)
	v_add_nc_u32_e32 v62, v62, v91
	v_sub_nc_u32_e32 v60, v60, v61
	s_delay_alu instid0(VALU_DEP_2) | instskip(NEXT) | instid1(VALU_DEP_1)
	v_xor_b32_e32 v62, v62, v92
	v_sub_nc_u32_e32 v62, v62, v77
	s_delay_alu instid0(VALU_DEP_1) | instskip(NEXT) | instid1(VALU_DEP_1)
	v_lshlrev_b32_e32 v61, 4, v62
	v_add3_u32 v60, v60, v93, v61
	s_delay_alu instid0(VALU_DEP_1) | instskip(SKIP_2) | instid1(VALU_DEP_2)
	v_ashrrev_i32_e32 v61, 31, v60
	v_add_co_u32 v60, vcc_lo, v75, v60
	s_wait_alu 0xfffd
	v_add_co_ci_u32_e64 v61, null, v76, v61, vcc_lo
	flat_load_b128 v[60:63], v[60:61]
	s_wait_loadcnt_dscnt 0x0
	v_and_b32_e32 v95, 0xff, v60
	s_delay_alu instid0(VALU_DEP_1)
	v_cmpx_lt_i16_e32 0x7f, v95
	s_wait_alu 0xfffe
	s_xor_b32 s1, exec_lo, s1
	s_cbranch_execnz .LBB7_1785
; %bb.763:                              ;   in Loop: Header=BB7_62 Depth=1
	s_wait_alu 0xfffe
	s_or_saveexec_b32 s1, s1
	v_mov_b32_e32 v94, 0x7f800001
	s_wait_alu 0xfffe
	s_xor_b32 exec_lo, exec_lo, s1
	s_cbranch_execnz .LBB7_1788
.LBB7_764:                              ;   in Loop: Header=BB7_62 Depth=1
	s_or_b32 exec_lo, exec_lo, s1
	s_and_saveexec_b32 s1, s0
	s_cbranch_execz .LBB7_766
.LBB7_765:                              ;   in Loop: Header=BB7_62 Depth=1
	v_lshrrev_b16 v105, 3, v60
	v_lshrrev_b16 v106, 7, v60
	s_delay_alu instid0(VALU_DEP_2) | instskip(NEXT) | instid1(VALU_DEP_1)
	v_and_b32_e32 v105, 15, v105
	v_cmp_eq_u16_e32 vcc_lo, 0, v105
	v_and_b32_e32 v94, 7, v60
	s_delay_alu instid0(VALU_DEP_1) | instskip(NEXT) | instid1(VALU_DEP_1)
	v_clz_i32_u32_e32 v95, v94
	v_min_u32_e32 v95, 32, v95
	s_delay_alu instid0(VALU_DEP_1) | instskip(SKIP_2) | instid1(VALU_DEP_1)
	v_subrev_nc_u32_e32 v104, 28, v95
	v_sub_nc_u32_e32 v95, 29, v95
	s_wait_alu 0xfffd
	v_dual_cndmask_b32 v95, v105, v95 :: v_dual_lshlrev_b32 v104, v104, v94
	s_delay_alu instid0(VALU_DEP_1) | instskip(NEXT) | instid1(VALU_DEP_2)
	v_lshl_add_u32 v95, v95, 23, 0x3b800000
	v_and_b32_e32 v104, 7, v104
	s_delay_alu instid0(VALU_DEP_1) | instskip(SKIP_1) | instid1(VALU_DEP_2)
	v_cndmask_b32_e32 v94, v94, v104, vcc_lo
	v_lshlrev_b32_e32 v104, 31, v106
	v_lshlrev_b32_e32 v94, 20, v94
	s_delay_alu instid0(VALU_DEP_1)
	v_or3_b32 v94, v104, v95, v94
.LBB7_766:                              ;   in Loop: Header=BB7_62 Depth=1
	s_wait_alu 0xfffe
	s_or_b32 exec_lo, exec_lo, s1
	v_lshrrev_b32_e32 v105, 8, v60
	v_lshrrev_b32_e32 v95, 24, v63
	;; [unrolled: 1-line block ×12, first 2 shown]
	v_and_b32_e32 v123, 0xff, v105
	s_mov_b32 s0, 0
	s_mov_b32 s1, exec_lo
	s_delay_alu instid0(VALU_DEP_1)
	v_cmpx_lt_i16_e32 0x7f, v123
	s_wait_alu 0xfffe
	s_xor_b32 s1, exec_lo, s1
	s_cbranch_execnz .LBB7_1789
; %bb.767:                              ;   in Loop: Header=BB7_62 Depth=1
	s_wait_alu 0xfffe
	s_or_saveexec_b32 s1, s1
	v_mov_b32_e32 v60, 0x7f800001
	s_wait_alu 0xfffe
	s_xor_b32 exec_lo, exec_lo, s1
	s_cbranch_execnz .LBB7_1792
.LBB7_768:                              ;   in Loop: Header=BB7_62 Depth=1
	s_or_b32 exec_lo, exec_lo, s1
	s_and_saveexec_b32 s1, s0
	s_cbranch_execz .LBB7_770
.LBB7_769:                              ;   in Loop: Header=BB7_62 Depth=1
	v_lshrrev_b16 v125, 3, v105
	s_delay_alu instid0(VALU_DEP_1) | instskip(NEXT) | instid1(VALU_DEP_1)
	v_and_b32_e32 v125, 15, v125
	v_cmp_eq_u16_e32 vcc_lo, 0, v125
	v_and_b32_e32 v60, 7, v105
	v_lshrrev_b16 v105, 7, v105
	s_delay_alu instid0(VALU_DEP_2) | instskip(NEXT) | instid1(VALU_DEP_2)
	v_clz_i32_u32_e32 v123, v60
	v_lshlrev_b32_e32 v105, 31, v105
	s_delay_alu instid0(VALU_DEP_2) | instskip(NEXT) | instid1(VALU_DEP_1)
	v_min_u32_e32 v123, 32, v123
	v_subrev_nc_u32_e32 v124, 28, v123
	v_sub_nc_u32_e32 v123, 29, v123
	s_wait_alu 0xfffd
	s_delay_alu instid0(VALU_DEP_1) | instskip(NEXT) | instid1(VALU_DEP_1)
	v_dual_cndmask_b32 v123, v125, v123 :: v_dual_lshlrev_b32 v124, v124, v60
	v_lshl_add_u32 v123, v123, 23, 0x3b800000
	s_delay_alu instid0(VALU_DEP_2) | instskip(NEXT) | instid1(VALU_DEP_1)
	v_and_b32_e32 v124, 7, v124
	v_cndmask_b32_e32 v60, v60, v124, vcc_lo
	s_delay_alu instid0(VALU_DEP_1) | instskip(NEXT) | instid1(VALU_DEP_1)
	v_lshlrev_b32_e32 v60, 20, v60
	v_or3_b32 v60, v105, v123, v60
.LBB7_770:                              ;   in Loop: Header=BB7_62 Depth=1
	s_wait_alu 0xfffe
	s_or_b32 exec_lo, exec_lo, s1
	v_and_b32_e32 v123, 0xff, v107
	s_mov_b32 s0, 0
	s_mov_b32 s1, exec_lo
	s_delay_alu instid0(VALU_DEP_1)
	v_cmpx_lt_i16_e32 0x7f, v123
	s_wait_alu 0xfffe
	s_xor_b32 s1, exec_lo, s1
	s_cbranch_execnz .LBB7_1793
; %bb.771:                              ;   in Loop: Header=BB7_62 Depth=1
	s_wait_alu 0xfffe
	s_or_saveexec_b32 s1, s1
	v_mov_b32_e32 v105, 0x7f800001
	s_wait_alu 0xfffe
	s_xor_b32 exec_lo, exec_lo, s1
	s_cbranch_execnz .LBB7_1796
.LBB7_772:                              ;   in Loop: Header=BB7_62 Depth=1
	s_or_b32 exec_lo, exec_lo, s1
	s_and_saveexec_b32 s1, s0
	s_cbranch_execz .LBB7_774
.LBB7_773:                              ;   in Loop: Header=BB7_62 Depth=1
	v_and_b32_e32 v105, 7, v107
	v_lshrrev_b16 v125, 3, v107
	v_lshrrev_b16 v107, 7, v107
	s_delay_alu instid0(VALU_DEP_3) | instskip(NEXT) | instid1(VALU_DEP_3)
	v_clz_i32_u32_e32 v123, v105
	v_and_b32_e32 v125, 15, v125
	s_delay_alu instid0(VALU_DEP_3) | instskip(NEXT) | instid1(VALU_DEP_3)
	v_lshlrev_b32_e32 v107, 31, v107
	v_min_u32_e32 v123, 32, v123
	s_delay_alu instid0(VALU_DEP_3) | instskip(NEXT) | instid1(VALU_DEP_2)
	v_cmp_eq_u16_e32 vcc_lo, 0, v125
	v_subrev_nc_u32_e32 v124, 28, v123
	v_sub_nc_u32_e32 v123, 29, v123
	s_wait_alu 0xfffd
	s_delay_alu instid0(VALU_DEP_1) | instskip(NEXT) | instid1(VALU_DEP_1)
	v_dual_cndmask_b32 v123, v125, v123 :: v_dual_lshlrev_b32 v124, v124, v105
	v_and_b32_e32 v124, 7, v124
	s_delay_alu instid0(VALU_DEP_2) | instskip(NEXT) | instid1(VALU_DEP_2)
	v_lshl_add_u32 v123, v123, 23, 0x3b800000
	v_cndmask_b32_e32 v105, v105, v124, vcc_lo
	s_delay_alu instid0(VALU_DEP_1) | instskip(NEXT) | instid1(VALU_DEP_1)
	v_lshlrev_b32_e32 v105, 20, v105
	v_or3_b32 v105, v107, v123, v105
.LBB7_774:                              ;   in Loop: Header=BB7_62 Depth=1
	s_wait_alu 0xfffe
	s_or_b32 exec_lo, exec_lo, s1
	s_mov_b32 s0, 0
	s_mov_b32 s1, exec_lo
	v_cmpx_lt_i16_e32 0x7f, v108
	s_wait_alu 0xfffe
	s_xor_b32 s1, exec_lo, s1
	s_cbranch_execnz .LBB7_1797
; %bb.775:                              ;   in Loop: Header=BB7_62 Depth=1
	s_wait_alu 0xfffe
	s_or_saveexec_b32 s1, s1
	v_mov_b32_e32 v107, 0x7f800001
	s_wait_alu 0xfffe
	s_xor_b32 exec_lo, exec_lo, s1
	s_cbranch_execnz .LBB7_1800
.LBB7_776:                              ;   in Loop: Header=BB7_62 Depth=1
	s_or_b32 exec_lo, exec_lo, s1
	s_and_saveexec_b32 s1, s0
	s_cbranch_execz .LBB7_778
.LBB7_777:                              ;   in Loop: Header=BB7_62 Depth=1
	v_and_b32_e32 v107, 7, v108
	v_lshrrev_b16 v125, 3, v108
	v_lshrrev_b16 v108, 7, v108
	s_delay_alu instid0(VALU_DEP_3) | instskip(NEXT) | instid1(VALU_DEP_3)
	v_clz_i32_u32_e32 v123, v107
	v_and_b32_e32 v125, 15, v125
	s_delay_alu instid0(VALU_DEP_3) | instskip(NEXT) | instid1(VALU_DEP_3)
	v_lshlrev_b32_e32 v108, 31, v108
	v_min_u32_e32 v123, 32, v123
	s_delay_alu instid0(VALU_DEP_3) | instskip(NEXT) | instid1(VALU_DEP_2)
	v_cmp_eq_u16_e32 vcc_lo, 0, v125
	v_subrev_nc_u32_e32 v124, 28, v123
	v_sub_nc_u32_e32 v123, 29, v123
	s_delay_alu instid0(VALU_DEP_2) | instskip(SKIP_1) | instid1(VALU_DEP_1)
	v_lshlrev_b32_e32 v124, v124, v107
	s_wait_alu 0xfffd
	v_dual_cndmask_b32 v123, v125, v123 :: v_dual_and_b32 v124, 7, v124
	s_delay_alu instid0(VALU_DEP_1) | instskip(NEXT) | instid1(VALU_DEP_2)
	v_lshl_add_u32 v123, v123, 23, 0x3b800000
	v_cndmask_b32_e32 v107, v107, v124, vcc_lo
	s_delay_alu instid0(VALU_DEP_1) | instskip(NEXT) | instid1(VALU_DEP_1)
	v_lshlrev_b32_e32 v107, 20, v107
	v_or3_b32 v107, v108, v123, v107
.LBB7_778:                              ;   in Loop: Header=BB7_62 Depth=1
	s_wait_alu 0xfffe
	s_or_b32 exec_lo, exec_lo, s1
	v_and_b32_e32 v123, 0xff, v61
	s_mov_b32 s0, 0
	s_mov_b32 s1, exec_lo
	s_delay_alu instid0(VALU_DEP_1)
	v_cmpx_lt_i16_e32 0x7f, v123
	s_wait_alu 0xfffe
	s_xor_b32 s1, exec_lo, s1
	s_cbranch_execnz .LBB7_1801
; %bb.779:                              ;   in Loop: Header=BB7_62 Depth=1
	s_wait_alu 0xfffe
	s_or_saveexec_b32 s1, s1
	v_mov_b32_e32 v108, 0x7f800001
	s_wait_alu 0xfffe
	s_xor_b32 exec_lo, exec_lo, s1
	s_cbranch_execnz .LBB7_1804
.LBB7_780:                              ;   in Loop: Header=BB7_62 Depth=1
	s_or_b32 exec_lo, exec_lo, s1
	s_and_saveexec_b32 s1, s0
	s_cbranch_execz .LBB7_782
.LBB7_781:                              ;   in Loop: Header=BB7_62 Depth=1
	v_lshrrev_b16 v125, 3, v61
	s_delay_alu instid0(VALU_DEP_1) | instskip(NEXT) | instid1(VALU_DEP_1)
	v_and_b32_e32 v125, 15, v125
	v_cmp_eq_u16_e32 vcc_lo, 0, v125
	v_and_b32_e32 v108, 7, v61
	v_lshrrev_b16 v61, 7, v61
	s_delay_alu instid0(VALU_DEP_2) | instskip(NEXT) | instid1(VALU_DEP_2)
	v_clz_i32_u32_e32 v123, v108
	v_lshlrev_b32_e32 v61, 31, v61
	s_delay_alu instid0(VALU_DEP_2) | instskip(NEXT) | instid1(VALU_DEP_1)
	v_min_u32_e32 v123, 32, v123
	v_subrev_nc_u32_e32 v124, 28, v123
	v_sub_nc_u32_e32 v123, 29, v123
	s_wait_alu 0xfffd
	s_delay_alu instid0(VALU_DEP_1) | instskip(NEXT) | instid1(VALU_DEP_1)
	v_dual_cndmask_b32 v123, v125, v123 :: v_dual_lshlrev_b32 v124, v124, v108
	v_lshl_add_u32 v123, v123, 23, 0x3b800000
	s_delay_alu instid0(VALU_DEP_2) | instskip(NEXT) | instid1(VALU_DEP_1)
	v_and_b32_e32 v124, 7, v124
	v_cndmask_b32_e32 v108, v108, v124, vcc_lo
	s_delay_alu instid0(VALU_DEP_1) | instskip(NEXT) | instid1(VALU_DEP_1)
	v_lshlrev_b32_e32 v108, 20, v108
	v_or3_b32 v108, v61, v123, v108
.LBB7_782:                              ;   in Loop: Header=BB7_62 Depth=1
	s_wait_alu 0xfffe
	s_or_b32 exec_lo, exec_lo, s1
	v_and_b32_e32 v123, 0xff, v111
	s_mov_b32 s0, 0
	s_mov_b32 s1, exec_lo
	s_delay_alu instid0(VALU_DEP_1)
	v_cmpx_lt_i16_e32 0x7f, v123
	s_wait_alu 0xfffe
	s_xor_b32 s1, exec_lo, s1
	s_cbranch_execnz .LBB7_1805
; %bb.783:                              ;   in Loop: Header=BB7_62 Depth=1
	s_wait_alu 0xfffe
	s_or_saveexec_b32 s1, s1
	v_mov_b32_e32 v61, 0x7f800001
	s_wait_alu 0xfffe
	s_xor_b32 exec_lo, exec_lo, s1
	s_cbranch_execnz .LBB7_1808
.LBB7_784:                              ;   in Loop: Header=BB7_62 Depth=1
	s_or_b32 exec_lo, exec_lo, s1
	s_and_saveexec_b32 s1, s0
	s_cbranch_execz .LBB7_786
.LBB7_785:                              ;   in Loop: Header=BB7_62 Depth=1
	v_and_b32_e32 v61, 7, v111
	v_lshrrev_b16 v125, 3, v111
	v_lshrrev_b16 v111, 7, v111
	s_delay_alu instid0(VALU_DEP_3) | instskip(NEXT) | instid1(VALU_DEP_3)
	v_clz_i32_u32_e32 v123, v61
	v_and_b32_e32 v125, 15, v125
	s_delay_alu instid0(VALU_DEP_3) | instskip(NEXT) | instid1(VALU_DEP_3)
	v_lshlrev_b32_e32 v111, 31, v111
	v_min_u32_e32 v123, 32, v123
	s_delay_alu instid0(VALU_DEP_3) | instskip(NEXT) | instid1(VALU_DEP_2)
	v_cmp_eq_u16_e32 vcc_lo, 0, v125
	v_subrev_nc_u32_e32 v124, 28, v123
	v_sub_nc_u32_e32 v123, 29, v123
	s_wait_alu 0xfffd
	s_delay_alu instid0(VALU_DEP_1) | instskip(NEXT) | instid1(VALU_DEP_1)
	v_dual_cndmask_b32 v123, v125, v123 :: v_dual_lshlrev_b32 v124, v124, v61
	v_and_b32_e32 v124, 7, v124
	s_delay_alu instid0(VALU_DEP_2) | instskip(NEXT) | instid1(VALU_DEP_2)
	v_lshl_add_u32 v123, v123, 23, 0x3b800000
	v_cndmask_b32_e32 v61, v61, v124, vcc_lo
	s_delay_alu instid0(VALU_DEP_1) | instskip(NEXT) | instid1(VALU_DEP_1)
	v_lshlrev_b32_e32 v61, 20, v61
	v_or3_b32 v61, v111, v123, v61
.LBB7_786:                              ;   in Loop: Header=BB7_62 Depth=1
	s_wait_alu 0xfffe
	s_or_b32 exec_lo, exec_lo, s1
	v_and_b32_e32 v123, 0xff, v121
	s_mov_b32 s0, 0
	s_mov_b32 s1, exec_lo
	s_delay_alu instid0(VALU_DEP_1)
	v_cmpx_lt_i16_e32 0x7f, v123
	s_wait_alu 0xfffe
	s_xor_b32 s1, exec_lo, s1
	s_cbranch_execnz .LBB7_1809
; %bb.787:                              ;   in Loop: Header=BB7_62 Depth=1
	s_wait_alu 0xfffe
	s_or_saveexec_b32 s1, s1
	v_mov_b32_e32 v111, 0x7f800001
	s_wait_alu 0xfffe
	s_xor_b32 exec_lo, exec_lo, s1
	s_cbranch_execnz .LBB7_1812
.LBB7_788:                              ;   in Loop: Header=BB7_62 Depth=1
	s_or_b32 exec_lo, exec_lo, s1
	s_and_saveexec_b32 s1, s0
	s_cbranch_execz .LBB7_790
.LBB7_789:                              ;   in Loop: Header=BB7_62 Depth=1
	v_and_b32_e32 v111, 7, v121
	v_lshrrev_b16 v125, 3, v121
	v_lshrrev_b16 v121, 7, v121
	s_delay_alu instid0(VALU_DEP_3) | instskip(NEXT) | instid1(VALU_DEP_3)
	v_clz_i32_u32_e32 v123, v111
	v_and_b32_e32 v125, 15, v125
	s_delay_alu instid0(VALU_DEP_3) | instskip(NEXT) | instid1(VALU_DEP_3)
	v_lshlrev_b32_e32 v121, 31, v121
	v_min_u32_e32 v123, 32, v123
	s_delay_alu instid0(VALU_DEP_3) | instskip(NEXT) | instid1(VALU_DEP_2)
	v_cmp_eq_u16_e32 vcc_lo, 0, v125
	v_subrev_nc_u32_e32 v124, 28, v123
	v_sub_nc_u32_e32 v123, 29, v123
	s_delay_alu instid0(VALU_DEP_2) | instskip(SKIP_1) | instid1(VALU_DEP_1)
	v_lshlrev_b32_e32 v124, v124, v111
	s_wait_alu 0xfffd
	v_dual_cndmask_b32 v123, v125, v123 :: v_dual_and_b32 v124, 7, v124
	s_delay_alu instid0(VALU_DEP_1) | instskip(NEXT) | instid1(VALU_DEP_2)
	v_lshl_add_u32 v123, v123, 23, 0x3b800000
	v_cndmask_b32_e32 v111, v111, v124, vcc_lo
	s_delay_alu instid0(VALU_DEP_1) | instskip(NEXT) | instid1(VALU_DEP_1)
	v_lshlrev_b32_e32 v111, 20, v111
	v_or3_b32 v111, v121, v123, v111
.LBB7_790:                              ;   in Loop: Header=BB7_62 Depth=1
	s_wait_alu 0xfffe
	s_or_b32 exec_lo, exec_lo, s1
	s_mov_b32 s0, 0
	s_mov_b32 s1, exec_lo
	v_cmpx_lt_i16_e32 0x7f, v122
	s_wait_alu 0xfffe
	s_xor_b32 s1, exec_lo, s1
	s_cbranch_execnz .LBB7_1813
; %bb.791:                              ;   in Loop: Header=BB7_62 Depth=1
	s_wait_alu 0xfffe
	s_or_saveexec_b32 s1, s1
	v_mov_b32_e32 v121, 0x7f800001
	s_wait_alu 0xfffe
	s_xor_b32 exec_lo, exec_lo, s1
	s_cbranch_execnz .LBB7_1816
.LBB7_792:                              ;   in Loop: Header=BB7_62 Depth=1
	s_or_b32 exec_lo, exec_lo, s1
	s_and_saveexec_b32 s1, s0
	s_cbranch_execz .LBB7_794
.LBB7_793:                              ;   in Loop: Header=BB7_62 Depth=1
	v_and_b32_e32 v121, 7, v122
	v_lshrrev_b16 v125, 3, v122
	v_lshrrev_b16 v122, 7, v122
	s_delay_alu instid0(VALU_DEP_3) | instskip(NEXT) | instid1(VALU_DEP_3)
	v_clz_i32_u32_e32 v123, v121
	v_and_b32_e32 v125, 15, v125
	s_delay_alu instid0(VALU_DEP_3) | instskip(NEXT) | instid1(VALU_DEP_3)
	v_lshlrev_b32_e32 v122, 31, v122
	v_min_u32_e32 v123, 32, v123
	s_delay_alu instid0(VALU_DEP_3) | instskip(NEXT) | instid1(VALU_DEP_2)
	v_cmp_eq_u16_e32 vcc_lo, 0, v125
	v_subrev_nc_u32_e32 v124, 28, v123
	v_sub_nc_u32_e32 v123, 29, v123
	s_wait_alu 0xfffd
	s_delay_alu instid0(VALU_DEP_1) | instskip(NEXT) | instid1(VALU_DEP_1)
	v_dual_cndmask_b32 v123, v125, v123 :: v_dual_lshlrev_b32 v124, v124, v121
	v_and_b32_e32 v124, 7, v124
	s_delay_alu instid0(VALU_DEP_2) | instskip(NEXT) | instid1(VALU_DEP_2)
	v_lshl_add_u32 v123, v123, 23, 0x3b800000
	v_cndmask_b32_e32 v121, v121, v124, vcc_lo
	s_delay_alu instid0(VALU_DEP_1) | instskip(NEXT) | instid1(VALU_DEP_1)
	v_lshlrev_b32_e32 v121, 20, v121
	v_or3_b32 v121, v122, v123, v121
.LBB7_794:                              ;   in Loop: Header=BB7_62 Depth=1
	s_wait_alu 0xfffe
	s_or_b32 exec_lo, exec_lo, s1
	v_and_b32_e32 v123, 0xff, v62
	s_mov_b32 s0, 0
	s_mov_b32 s1, exec_lo
	s_delay_alu instid0(VALU_DEP_1)
	v_cmpx_lt_i16_e32 0x7f, v123
	s_wait_alu 0xfffe
	s_xor_b32 s1, exec_lo, s1
	s_cbranch_execnz .LBB7_1817
; %bb.795:                              ;   in Loop: Header=BB7_62 Depth=1
	s_wait_alu 0xfffe
	s_or_saveexec_b32 s1, s1
	v_mov_b32_e32 v122, 0x7f800001
	s_wait_alu 0xfffe
	s_xor_b32 exec_lo, exec_lo, s1
	s_cbranch_execnz .LBB7_1820
.LBB7_796:                              ;   in Loop: Header=BB7_62 Depth=1
	s_or_b32 exec_lo, exec_lo, s1
	s_and_saveexec_b32 s1, s0
	s_cbranch_execz .LBB7_798
.LBB7_797:                              ;   in Loop: Header=BB7_62 Depth=1
	v_lshrrev_b16 v125, 3, v62
	s_delay_alu instid0(VALU_DEP_1) | instskip(NEXT) | instid1(VALU_DEP_1)
	v_and_b32_e32 v125, 15, v125
	v_cmp_eq_u16_e32 vcc_lo, 0, v125
	v_and_b32_e32 v122, 7, v62
	v_lshrrev_b16 v62, 7, v62
	s_delay_alu instid0(VALU_DEP_2) | instskip(NEXT) | instid1(VALU_DEP_2)
	v_clz_i32_u32_e32 v123, v122
	v_lshlrev_b32_e32 v62, 31, v62
	s_delay_alu instid0(VALU_DEP_2) | instskip(NEXT) | instid1(VALU_DEP_1)
	v_min_u32_e32 v123, 32, v123
	v_subrev_nc_u32_e32 v124, 28, v123
	v_sub_nc_u32_e32 v123, 29, v123
	s_wait_alu 0xfffd
	s_delay_alu instid0(VALU_DEP_1) | instskip(NEXT) | instid1(VALU_DEP_1)
	v_dual_cndmask_b32 v123, v125, v123 :: v_dual_lshlrev_b32 v124, v124, v122
	v_lshl_add_u32 v123, v123, 23, 0x3b800000
	s_delay_alu instid0(VALU_DEP_2) | instskip(NEXT) | instid1(VALU_DEP_1)
	v_and_b32_e32 v124, 7, v124
	v_cndmask_b32_e32 v122, v122, v124, vcc_lo
	s_delay_alu instid0(VALU_DEP_1) | instskip(NEXT) | instid1(VALU_DEP_1)
	v_lshlrev_b32_e32 v122, 20, v122
	v_or3_b32 v122, v62, v123, v122
.LBB7_798:                              ;   in Loop: Header=BB7_62 Depth=1
	s_wait_alu 0xfffe
	s_or_b32 exec_lo, exec_lo, s1
	v_and_b32_e32 v123, 0xff, v120
	s_mov_b32 s0, 0
	s_mov_b32 s1, exec_lo
	s_delay_alu instid0(VALU_DEP_1)
	v_cmpx_lt_i16_e32 0x7f, v123
	s_wait_alu 0xfffe
	s_xor_b32 s1, exec_lo, s1
	s_cbranch_execnz .LBB7_1821
; %bb.799:                              ;   in Loop: Header=BB7_62 Depth=1
	s_wait_alu 0xfffe
	s_or_saveexec_b32 s1, s1
	v_mov_b32_e32 v62, 0x7f800001
	s_wait_alu 0xfffe
	s_xor_b32 exec_lo, exec_lo, s1
	s_cbranch_execnz .LBB7_1824
.LBB7_800:                              ;   in Loop: Header=BB7_62 Depth=1
	s_or_b32 exec_lo, exec_lo, s1
	s_and_saveexec_b32 s1, s0
	s_cbranch_execz .LBB7_802
.LBB7_801:                              ;   in Loop: Header=BB7_62 Depth=1
	v_lshrrev_b16 v125, 3, v120
	s_delay_alu instid0(VALU_DEP_1) | instskip(NEXT) | instid1(VALU_DEP_1)
	v_and_b32_e32 v125, 15, v125
	v_cmp_eq_u16_e32 vcc_lo, 0, v125
	v_and_b32_e32 v62, 7, v120
	v_lshrrev_b16 v120, 7, v120
	s_delay_alu instid0(VALU_DEP_2) | instskip(NEXT) | instid1(VALU_DEP_2)
	v_clz_i32_u32_e32 v123, v62
	v_lshlrev_b32_e32 v120, 31, v120
	s_delay_alu instid0(VALU_DEP_2) | instskip(NEXT) | instid1(VALU_DEP_1)
	v_min_u32_e32 v123, 32, v123
	v_subrev_nc_u32_e32 v124, 28, v123
	v_sub_nc_u32_e32 v123, 29, v123
	s_wait_alu 0xfffd
	s_delay_alu instid0(VALU_DEP_1) | instskip(NEXT) | instid1(VALU_DEP_1)
	v_dual_cndmask_b32 v123, v125, v123 :: v_dual_lshlrev_b32 v124, v124, v62
	v_lshl_add_u32 v123, v123, 23, 0x3b800000
	s_delay_alu instid0(VALU_DEP_2) | instskip(NEXT) | instid1(VALU_DEP_1)
	v_and_b32_e32 v124, 7, v124
	v_cndmask_b32_e32 v62, v62, v124, vcc_lo
	s_delay_alu instid0(VALU_DEP_1) | instskip(NEXT) | instid1(VALU_DEP_1)
	v_lshlrev_b32_e32 v62, 20, v62
	v_or3_b32 v62, v120, v123, v62
.LBB7_802:                              ;   in Loop: Header=BB7_62 Depth=1
	s_wait_alu 0xfffe
	s_or_b32 exec_lo, exec_lo, s1
	v_and_b32_e32 v123, 0xff, v110
	s_mov_b32 s0, 0
	s_mov_b32 s1, exec_lo
	s_delay_alu instid0(VALU_DEP_1)
	v_cmpx_lt_i16_e32 0x7f, v123
	s_wait_alu 0xfffe
	s_xor_b32 s1, exec_lo, s1
	s_cbranch_execnz .LBB7_1825
; %bb.803:                              ;   in Loop: Header=BB7_62 Depth=1
	s_wait_alu 0xfffe
	s_or_saveexec_b32 s1, s1
	v_mov_b32_e32 v120, 0x7f800001
	s_wait_alu 0xfffe
	s_xor_b32 exec_lo, exec_lo, s1
	s_cbranch_execnz .LBB7_1828
.LBB7_804:                              ;   in Loop: Header=BB7_62 Depth=1
	s_or_b32 exec_lo, exec_lo, s1
	s_and_saveexec_b32 s1, s0
	s_cbranch_execz .LBB7_806
.LBB7_805:                              ;   in Loop: Header=BB7_62 Depth=1
	v_lshrrev_b16 v125, 3, v110
	s_delay_alu instid0(VALU_DEP_1) | instskip(NEXT) | instid1(VALU_DEP_1)
	v_and_b32_e32 v125, 15, v125
	v_cmp_eq_u16_e32 vcc_lo, 0, v125
	v_and_b32_e32 v120, 7, v110
	v_lshrrev_b16 v110, 7, v110
	s_delay_alu instid0(VALU_DEP_2) | instskip(NEXT) | instid1(VALU_DEP_2)
	v_clz_i32_u32_e32 v123, v120
	v_lshlrev_b32_e32 v110, 31, v110
	s_delay_alu instid0(VALU_DEP_2) | instskip(NEXT) | instid1(VALU_DEP_1)
	v_min_u32_e32 v123, 32, v123
	v_subrev_nc_u32_e32 v124, 28, v123
	v_sub_nc_u32_e32 v123, 29, v123
	s_wait_alu 0xfffd
	s_delay_alu instid0(VALU_DEP_1) | instskip(NEXT) | instid1(VALU_DEP_1)
	v_dual_cndmask_b32 v123, v125, v123 :: v_dual_lshlrev_b32 v124, v124, v120
	v_lshl_add_u32 v123, v123, 23, 0x3b800000
	s_delay_alu instid0(VALU_DEP_2) | instskip(NEXT) | instid1(VALU_DEP_1)
	v_and_b32_e32 v124, 7, v124
	v_cndmask_b32_e32 v120, v120, v124, vcc_lo
	s_delay_alu instid0(VALU_DEP_1) | instskip(NEXT) | instid1(VALU_DEP_1)
	v_lshlrev_b32_e32 v120, 20, v120
	v_or3_b32 v120, v110, v123, v120
.LBB7_806:                              ;   in Loop: Header=BB7_62 Depth=1
	s_wait_alu 0xfffe
	s_or_b32 exec_lo, exec_lo, s1
	s_mov_b32 s0, 0
	s_mov_b32 s1, exec_lo
	v_cmpx_lt_i16_e32 0x7f, v109
	s_wait_alu 0xfffe
	s_xor_b32 s1, exec_lo, s1
	s_cbranch_execnz .LBB7_1829
; %bb.807:                              ;   in Loop: Header=BB7_62 Depth=1
	s_wait_alu 0xfffe
	s_or_saveexec_b32 s1, s1
	v_mov_b32_e32 v110, 0x7f800001
	s_wait_alu 0xfffe
	s_xor_b32 exec_lo, exec_lo, s1
	s_cbranch_execnz .LBB7_1832
.LBB7_808:                              ;   in Loop: Header=BB7_62 Depth=1
	s_or_b32 exec_lo, exec_lo, s1
	s_and_saveexec_b32 s1, s0
	s_cbranch_execz .LBB7_810
.LBB7_809:                              ;   in Loop: Header=BB7_62 Depth=1
	v_lshrrev_b16 v125, 3, v109
	s_delay_alu instid0(VALU_DEP_1) | instskip(NEXT) | instid1(VALU_DEP_1)
	v_and_b32_e32 v125, 15, v125
	v_cmp_eq_u16_e32 vcc_lo, 0, v125
	v_and_b32_e32 v110, 7, v109
	v_lshrrev_b16 v109, 7, v109
	s_delay_alu instid0(VALU_DEP_2) | instskip(NEXT) | instid1(VALU_DEP_2)
	v_clz_i32_u32_e32 v123, v110
	v_lshlrev_b32_e32 v109, 31, v109
	s_delay_alu instid0(VALU_DEP_2) | instskip(NEXT) | instid1(VALU_DEP_1)
	v_min_u32_e32 v123, 32, v123
	v_subrev_nc_u32_e32 v124, 28, v123
	v_sub_nc_u32_e32 v123, 29, v123
	s_wait_alu 0xfffd
	s_delay_alu instid0(VALU_DEP_1) | instskip(NEXT) | instid1(VALU_DEP_1)
	v_dual_cndmask_b32 v123, v125, v123 :: v_dual_lshlrev_b32 v124, v124, v110
	v_lshl_add_u32 v123, v123, 23, 0x3b800000
	s_delay_alu instid0(VALU_DEP_2) | instskip(NEXT) | instid1(VALU_DEP_1)
	v_and_b32_e32 v124, 7, v124
	v_cndmask_b32_e32 v110, v110, v124, vcc_lo
	s_delay_alu instid0(VALU_DEP_1) | instskip(NEXT) | instid1(VALU_DEP_1)
	v_lshlrev_b32_e32 v110, 20, v110
	v_or3_b32 v110, v109, v123, v110
.LBB7_810:                              ;   in Loop: Header=BB7_62 Depth=1
	s_wait_alu 0xfffe
	s_or_b32 exec_lo, exec_lo, s1
	v_and_b32_e32 v123, 0xff, v63
	s_mov_b32 s0, 0
	s_mov_b32 s1, exec_lo
	s_delay_alu instid0(VALU_DEP_1)
	v_cmpx_lt_i16_e32 0x7f, v123
	s_wait_alu 0xfffe
	s_xor_b32 s1, exec_lo, s1
	s_cbranch_execnz .LBB7_1833
; %bb.811:                              ;   in Loop: Header=BB7_62 Depth=1
	s_wait_alu 0xfffe
	s_or_saveexec_b32 s1, s1
	v_mov_b32_e32 v109, 0x7f800001
	s_wait_alu 0xfffe
	s_xor_b32 exec_lo, exec_lo, s1
	s_cbranch_execnz .LBB7_1836
.LBB7_812:                              ;   in Loop: Header=BB7_62 Depth=1
	s_or_b32 exec_lo, exec_lo, s1
	s_and_saveexec_b32 s1, s0
	s_cbranch_execz .LBB7_814
.LBB7_813:                              ;   in Loop: Header=BB7_62 Depth=1
	v_and_b32_e32 v109, 7, v63
	v_lshrrev_b16 v125, 3, v63
	v_lshrrev_b16 v63, 7, v63
	s_delay_alu instid0(VALU_DEP_3) | instskip(NEXT) | instid1(VALU_DEP_3)
	v_clz_i32_u32_e32 v123, v109
	v_and_b32_e32 v125, 15, v125
	s_delay_alu instid0(VALU_DEP_3) | instskip(NEXT) | instid1(VALU_DEP_3)
	v_lshlrev_b32_e32 v63, 31, v63
	v_min_u32_e32 v123, 32, v123
	s_delay_alu instid0(VALU_DEP_3) | instskip(NEXT) | instid1(VALU_DEP_2)
	v_cmp_eq_u16_e32 vcc_lo, 0, v125
	v_subrev_nc_u32_e32 v124, 28, v123
	v_sub_nc_u32_e32 v123, 29, v123
	s_wait_alu 0xfffd
	s_delay_alu instid0(VALU_DEP_1) | instskip(NEXT) | instid1(VALU_DEP_1)
	v_dual_cndmask_b32 v123, v125, v123 :: v_dual_lshlrev_b32 v124, v124, v109
	v_and_b32_e32 v124, 7, v124
	s_delay_alu instid0(VALU_DEP_2) | instskip(NEXT) | instid1(VALU_DEP_2)
	v_lshl_add_u32 v123, v123, 23, 0x3b800000
	v_cndmask_b32_e32 v109, v109, v124, vcc_lo
	s_delay_alu instid0(VALU_DEP_1) | instskip(NEXT) | instid1(VALU_DEP_1)
	v_lshlrev_b32_e32 v109, 20, v109
	v_or3_b32 v109, v63, v123, v109
.LBB7_814:                              ;   in Loop: Header=BB7_62 Depth=1
	s_wait_alu 0xfffe
	s_or_b32 exec_lo, exec_lo, s1
	v_and_b32_e32 v123, 0xff, v106
	s_mov_b32 s0, 0
	s_mov_b32 s1, exec_lo
	s_delay_alu instid0(VALU_DEP_1)
	v_cmpx_lt_i16_e32 0x7f, v123
	s_wait_alu 0xfffe
	s_xor_b32 s1, exec_lo, s1
	s_cbranch_execnz .LBB7_1837
; %bb.815:                              ;   in Loop: Header=BB7_62 Depth=1
	s_wait_alu 0xfffe
	s_or_saveexec_b32 s1, s1
	v_mov_b32_e32 v63, 0x7f800001
	s_wait_alu 0xfffe
	s_xor_b32 exec_lo, exec_lo, s1
	s_cbranch_execnz .LBB7_1840
.LBB7_816:                              ;   in Loop: Header=BB7_62 Depth=1
	s_or_b32 exec_lo, exec_lo, s1
	s_and_saveexec_b32 s1, s0
	s_cbranch_execz .LBB7_818
.LBB7_817:                              ;   in Loop: Header=BB7_62 Depth=1
	v_and_b32_e32 v63, 7, v106
	v_lshrrev_b16 v125, 3, v106
	v_lshrrev_b16 v106, 7, v106
	s_delay_alu instid0(VALU_DEP_3) | instskip(NEXT) | instid1(VALU_DEP_3)
	v_clz_i32_u32_e32 v123, v63
	v_and_b32_e32 v125, 15, v125
	s_delay_alu instid0(VALU_DEP_3) | instskip(NEXT) | instid1(VALU_DEP_3)
	v_lshlrev_b32_e32 v106, 31, v106
	v_min_u32_e32 v123, 32, v123
	s_delay_alu instid0(VALU_DEP_3) | instskip(NEXT) | instid1(VALU_DEP_2)
	v_cmp_eq_u16_e32 vcc_lo, 0, v125
	v_subrev_nc_u32_e32 v124, 28, v123
	v_sub_nc_u32_e32 v123, 29, v123
	s_delay_alu instid0(VALU_DEP_2) | instskip(SKIP_1) | instid1(VALU_DEP_1)
	v_lshlrev_b32_e32 v124, v124, v63
	s_wait_alu 0xfffd
	v_dual_cndmask_b32 v123, v125, v123 :: v_dual_and_b32 v124, 7, v124
	s_delay_alu instid0(VALU_DEP_1) | instskip(NEXT) | instid1(VALU_DEP_2)
	v_lshl_add_u32 v123, v123, 23, 0x3b800000
	v_cndmask_b32_e32 v63, v63, v124, vcc_lo
	s_delay_alu instid0(VALU_DEP_1) | instskip(NEXT) | instid1(VALU_DEP_1)
	v_lshlrev_b32_e32 v63, 20, v63
	v_or3_b32 v63, v106, v123, v63
.LBB7_818:                              ;   in Loop: Header=BB7_62 Depth=1
	s_wait_alu 0xfffe
	s_or_b32 exec_lo, exec_lo, s1
	v_and_b32_e32 v123, 0xff, v104
	s_mov_b32 s0, 0
	s_mov_b32 s1, exec_lo
	s_delay_alu instid0(VALU_DEP_1)
	v_cmpx_lt_i16_e32 0x7f, v123
	s_wait_alu 0xfffe
	s_xor_b32 s1, exec_lo, s1
	s_cbranch_execnz .LBB7_1841
; %bb.819:                              ;   in Loop: Header=BB7_62 Depth=1
	s_wait_alu 0xfffe
	s_or_saveexec_b32 s1, s1
	v_mov_b32_e32 v106, 0x7f800001
	s_wait_alu 0xfffe
	s_xor_b32 exec_lo, exec_lo, s1
	s_cbranch_execnz .LBB7_1844
.LBB7_820:                              ;   in Loop: Header=BB7_62 Depth=1
	s_or_b32 exec_lo, exec_lo, s1
	s_and_saveexec_b32 s1, s0
	s_cbranch_execz .LBB7_822
.LBB7_821:                              ;   in Loop: Header=BB7_62 Depth=1
	v_lshrrev_b16 v125, 3, v104
	s_delay_alu instid0(VALU_DEP_1) | instskip(NEXT) | instid1(VALU_DEP_1)
	v_and_b32_e32 v125, 15, v125
	v_cmp_eq_u16_e32 vcc_lo, 0, v125
	v_and_b32_e32 v106, 7, v104
	v_lshrrev_b16 v104, 7, v104
	s_delay_alu instid0(VALU_DEP_2) | instskip(NEXT) | instid1(VALU_DEP_2)
	v_clz_i32_u32_e32 v123, v106
	v_lshlrev_b32_e32 v104, 31, v104
	s_delay_alu instid0(VALU_DEP_2) | instskip(NEXT) | instid1(VALU_DEP_1)
	v_min_u32_e32 v123, 32, v123
	v_subrev_nc_u32_e32 v124, 28, v123
	v_sub_nc_u32_e32 v123, 29, v123
	s_wait_alu 0xfffd
	s_delay_alu instid0(VALU_DEP_1) | instskip(NEXT) | instid1(VALU_DEP_1)
	v_dual_cndmask_b32 v123, v125, v123 :: v_dual_lshlrev_b32 v124, v124, v106
	v_lshl_add_u32 v123, v123, 23, 0x3b800000
	s_delay_alu instid0(VALU_DEP_2) | instskip(NEXT) | instid1(VALU_DEP_1)
	v_and_b32_e32 v124, 7, v124
	v_cndmask_b32_e32 v106, v106, v124, vcc_lo
	s_delay_alu instid0(VALU_DEP_1) | instskip(NEXT) | instid1(VALU_DEP_1)
	v_lshlrev_b32_e32 v106, 20, v106
	v_or3_b32 v106, v104, v123, v106
.LBB7_822:                              ;   in Loop: Header=BB7_62 Depth=1
	s_wait_alu 0xfffe
	s_or_b32 exec_lo, exec_lo, s1
	s_mov_b32 s0, 0
	s_mov_b32 s1, exec_lo
	v_cmpx_lt_i16_e32 0x7f, v95
	s_wait_alu 0xfffe
	s_xor_b32 s1, exec_lo, s1
	s_cbranch_execnz .LBB7_1845
; %bb.823:                              ;   in Loop: Header=BB7_62 Depth=1
	s_wait_alu 0xfffe
	s_or_saveexec_b32 s1, s1
	v_mov_b32_e32 v104, 0x7f800001
	s_wait_alu 0xfffe
	s_xor_b32 exec_lo, exec_lo, s1
	s_cbranch_execnz .LBB7_1848
.LBB7_824:                              ;   in Loop: Header=BB7_62 Depth=1
	s_or_b32 exec_lo, exec_lo, s1
	s_and_saveexec_b32 s1, s0
	s_cbranch_execz .LBB7_826
.LBB7_825:                              ;   in Loop: Header=BB7_62 Depth=1
	v_and_b32_e32 v104, 7, v95
	v_lshrrev_b16 v125, 3, v95
	v_lshrrev_b16 v95, 7, v95
	s_delay_alu instid0(VALU_DEP_3) | instskip(NEXT) | instid1(VALU_DEP_3)
	v_clz_i32_u32_e32 v123, v104
	v_and_b32_e32 v125, 15, v125
	s_delay_alu instid0(VALU_DEP_3) | instskip(NEXT) | instid1(VALU_DEP_3)
	v_lshlrev_b32_e32 v95, 31, v95
	v_min_u32_e32 v123, 32, v123
	s_delay_alu instid0(VALU_DEP_3) | instskip(NEXT) | instid1(VALU_DEP_2)
	v_cmp_eq_u16_e32 vcc_lo, 0, v125
	v_subrev_nc_u32_e32 v124, 28, v123
	v_sub_nc_u32_e32 v123, 29, v123
	s_wait_alu 0xfffd
	s_delay_alu instid0(VALU_DEP_1) | instskip(NEXT) | instid1(VALU_DEP_1)
	v_dual_cndmask_b32 v123, v125, v123 :: v_dual_lshlrev_b32 v124, v124, v104
	v_and_b32_e32 v124, 7, v124
	s_delay_alu instid0(VALU_DEP_2) | instskip(NEXT) | instid1(VALU_DEP_2)
	v_lshl_add_u32 v123, v123, 23, 0x3b800000
	v_cndmask_b32_e32 v104, v104, v124, vcc_lo
	s_delay_alu instid0(VALU_DEP_1) | instskip(NEXT) | instid1(VALU_DEP_1)
	v_lshlrev_b32_e32 v104, 20, v104
	v_or3_b32 v104, v95, v123, v104
.LBB7_826:                              ;   in Loop: Header=BB7_62 Depth=1
	s_wait_alu 0xfffe
	s_or_b32 exec_lo, exec_lo, s1
	v_cvt_pk_rtz_f16_f32_e32 v123, v94, v60
	v_add_nc_u32_e32 v60, 48, v89
	v_cvt_pk_rtz_f16_f32_e32 v125, v108, v61
	v_cvt_pk_rtz_f16_f32_e32 v124, v105, v107
	v_cvt_pk_rtz_f16_f32_e32 v107, v122, v62
	v_cvt_pk_rtz_f16_f32_e32 v126, v111, v121
	v_ashrrev_i32_e32 v61, 31, v60
	v_cvt_pk_rtz_f16_f32_e32 v109, v109, v63
	v_cvt_pk_rtz_f16_f32_e32 v108, v120, v110
	;; [unrolled: 1-line block ×3, first 2 shown]
	s_clause 0x1
	scratch_store_b128 off, v[123:126], s33 offset:64
	scratch_store_b128 off, v[107:110], s33 offset:80
	v_lshrrev_b32_e32 v61, 28, v61
	s_mov_b32 s0, 0
	s_mov_b32 s1, exec_lo
	s_delay_alu instid0(VALU_DEP_1) | instskip(NEXT) | instid1(VALU_DEP_1)
	v_add_nc_u32_e32 v61, v60, v61
	v_lshrrev_b32_e32 v62, 4, v61
	v_and_b32_e32 v61, -16, v61
	s_delay_alu instid0(VALU_DEP_2) | instskip(NEXT) | instid1(VALU_DEP_2)
	v_add_nc_u32_e32 v62, v62, v91
	v_sub_nc_u32_e32 v60, v60, v61
	s_delay_alu instid0(VALU_DEP_2) | instskip(NEXT) | instid1(VALU_DEP_1)
	v_xor_b32_e32 v62, v62, v92
	v_sub_nc_u32_e32 v62, v62, v77
	s_delay_alu instid0(VALU_DEP_1) | instskip(NEXT) | instid1(VALU_DEP_1)
	v_lshlrev_b32_e32 v61, 4, v62
	v_add3_u32 v60, v60, v93, v61
	s_delay_alu instid0(VALU_DEP_1) | instskip(SKIP_2) | instid1(VALU_DEP_2)
	v_ashrrev_i32_e32 v61, 31, v60
	v_add_co_u32 v60, vcc_lo, v75, v60
	s_wait_alu 0xfffd
	v_add_co_ci_u32_e64 v61, null, v76, v61, vcc_lo
	flat_load_b128 v[60:63], v[60:61]
	s_wait_loadcnt_dscnt 0x0
	v_and_b32_e32 v95, 0xff, v60
	s_delay_alu instid0(VALU_DEP_1)
	v_cmpx_lt_i16_e32 0x7f, v95
	s_wait_alu 0xfffe
	s_xor_b32 s1, exec_lo, s1
	s_cbranch_execnz .LBB7_1849
; %bb.827:                              ;   in Loop: Header=BB7_62 Depth=1
	s_wait_alu 0xfffe
	s_or_saveexec_b32 s1, s1
	v_mov_b32_e32 v94, 0x7f800001
	s_wait_alu 0xfffe
	s_xor_b32 exec_lo, exec_lo, s1
	s_cbranch_execnz .LBB7_1852
.LBB7_828:                              ;   in Loop: Header=BB7_62 Depth=1
	s_or_b32 exec_lo, exec_lo, s1
	s_and_saveexec_b32 s1, s0
	s_cbranch_execz .LBB7_830
.LBB7_829:                              ;   in Loop: Header=BB7_62 Depth=1
	v_lshrrev_b16 v105, 3, v60
	v_lshrrev_b16 v106, 7, v60
	s_delay_alu instid0(VALU_DEP_2) | instskip(NEXT) | instid1(VALU_DEP_1)
	v_and_b32_e32 v105, 15, v105
	v_cmp_eq_u16_e32 vcc_lo, 0, v105
	v_and_b32_e32 v94, 7, v60
	s_delay_alu instid0(VALU_DEP_1) | instskip(NEXT) | instid1(VALU_DEP_1)
	v_clz_i32_u32_e32 v95, v94
	v_min_u32_e32 v95, 32, v95
	s_delay_alu instid0(VALU_DEP_1) | instskip(SKIP_2) | instid1(VALU_DEP_1)
	v_subrev_nc_u32_e32 v104, 28, v95
	v_sub_nc_u32_e32 v95, 29, v95
	s_wait_alu 0xfffd
	v_dual_cndmask_b32 v95, v105, v95 :: v_dual_lshlrev_b32 v104, v104, v94
	s_delay_alu instid0(VALU_DEP_1) | instskip(NEXT) | instid1(VALU_DEP_2)
	v_lshl_add_u32 v95, v95, 23, 0x3b800000
	v_and_b32_e32 v104, 7, v104
	s_delay_alu instid0(VALU_DEP_1) | instskip(SKIP_1) | instid1(VALU_DEP_2)
	v_cndmask_b32_e32 v94, v94, v104, vcc_lo
	v_lshlrev_b32_e32 v104, 31, v106
	v_lshlrev_b32_e32 v94, 20, v94
	s_delay_alu instid0(VALU_DEP_1)
	v_or3_b32 v94, v104, v95, v94
.LBB7_830:                              ;   in Loop: Header=BB7_62 Depth=1
	s_wait_alu 0xfffe
	s_or_b32 exec_lo, exec_lo, s1
	v_lshrrev_b32_e32 v105, 8, v60
	v_lshrrev_b32_e32 v95, 24, v63
	;; [unrolled: 1-line block ×12, first 2 shown]
	v_and_b32_e32 v123, 0xff, v105
	s_mov_b32 s0, 0
	s_mov_b32 s1, exec_lo
	s_delay_alu instid0(VALU_DEP_1)
	v_cmpx_lt_i16_e32 0x7f, v123
	s_wait_alu 0xfffe
	s_xor_b32 s1, exec_lo, s1
	s_cbranch_execnz .LBB7_1853
; %bb.831:                              ;   in Loop: Header=BB7_62 Depth=1
	s_wait_alu 0xfffe
	s_or_saveexec_b32 s1, s1
	v_mov_b32_e32 v60, 0x7f800001
	s_wait_alu 0xfffe
	s_xor_b32 exec_lo, exec_lo, s1
	s_cbranch_execnz .LBB7_1856
.LBB7_832:                              ;   in Loop: Header=BB7_62 Depth=1
	s_or_b32 exec_lo, exec_lo, s1
	s_and_saveexec_b32 s1, s0
	s_cbranch_execz .LBB7_834
.LBB7_833:                              ;   in Loop: Header=BB7_62 Depth=1
	v_lshrrev_b16 v125, 3, v105
	s_delay_alu instid0(VALU_DEP_1) | instskip(NEXT) | instid1(VALU_DEP_1)
	v_and_b32_e32 v125, 15, v125
	v_cmp_eq_u16_e32 vcc_lo, 0, v125
	v_and_b32_e32 v60, 7, v105
	v_lshrrev_b16 v105, 7, v105
	s_delay_alu instid0(VALU_DEP_2) | instskip(NEXT) | instid1(VALU_DEP_2)
	v_clz_i32_u32_e32 v123, v60
	v_lshlrev_b32_e32 v105, 31, v105
	s_delay_alu instid0(VALU_DEP_2) | instskip(NEXT) | instid1(VALU_DEP_1)
	v_min_u32_e32 v123, 32, v123
	v_subrev_nc_u32_e32 v124, 28, v123
	v_sub_nc_u32_e32 v123, 29, v123
	s_wait_alu 0xfffd
	s_delay_alu instid0(VALU_DEP_1) | instskip(NEXT) | instid1(VALU_DEP_1)
	v_dual_cndmask_b32 v123, v125, v123 :: v_dual_lshlrev_b32 v124, v124, v60
	v_lshl_add_u32 v123, v123, 23, 0x3b800000
	s_delay_alu instid0(VALU_DEP_2) | instskip(NEXT) | instid1(VALU_DEP_1)
	v_and_b32_e32 v124, 7, v124
	v_cndmask_b32_e32 v60, v60, v124, vcc_lo
	s_delay_alu instid0(VALU_DEP_1) | instskip(NEXT) | instid1(VALU_DEP_1)
	v_lshlrev_b32_e32 v60, 20, v60
	v_or3_b32 v60, v105, v123, v60
.LBB7_834:                              ;   in Loop: Header=BB7_62 Depth=1
	s_wait_alu 0xfffe
	s_or_b32 exec_lo, exec_lo, s1
	v_and_b32_e32 v123, 0xff, v107
	s_mov_b32 s0, 0
	s_mov_b32 s1, exec_lo
	s_delay_alu instid0(VALU_DEP_1)
	v_cmpx_lt_i16_e32 0x7f, v123
	s_wait_alu 0xfffe
	s_xor_b32 s1, exec_lo, s1
	s_cbranch_execnz .LBB7_1857
; %bb.835:                              ;   in Loop: Header=BB7_62 Depth=1
	s_wait_alu 0xfffe
	s_or_saveexec_b32 s1, s1
	v_mov_b32_e32 v105, 0x7f800001
	s_wait_alu 0xfffe
	s_xor_b32 exec_lo, exec_lo, s1
	s_cbranch_execnz .LBB7_1860
.LBB7_836:                              ;   in Loop: Header=BB7_62 Depth=1
	s_or_b32 exec_lo, exec_lo, s1
	s_and_saveexec_b32 s1, s0
	s_cbranch_execz .LBB7_838
.LBB7_837:                              ;   in Loop: Header=BB7_62 Depth=1
	v_and_b32_e32 v105, 7, v107
	v_lshrrev_b16 v125, 3, v107
	v_lshrrev_b16 v107, 7, v107
	s_delay_alu instid0(VALU_DEP_3) | instskip(NEXT) | instid1(VALU_DEP_3)
	v_clz_i32_u32_e32 v123, v105
	v_and_b32_e32 v125, 15, v125
	s_delay_alu instid0(VALU_DEP_3) | instskip(NEXT) | instid1(VALU_DEP_3)
	v_lshlrev_b32_e32 v107, 31, v107
	v_min_u32_e32 v123, 32, v123
	s_delay_alu instid0(VALU_DEP_3) | instskip(NEXT) | instid1(VALU_DEP_2)
	v_cmp_eq_u16_e32 vcc_lo, 0, v125
	v_subrev_nc_u32_e32 v124, 28, v123
	v_sub_nc_u32_e32 v123, 29, v123
	s_wait_alu 0xfffd
	s_delay_alu instid0(VALU_DEP_1) | instskip(NEXT) | instid1(VALU_DEP_1)
	v_dual_cndmask_b32 v123, v125, v123 :: v_dual_lshlrev_b32 v124, v124, v105
	v_and_b32_e32 v124, 7, v124
	s_delay_alu instid0(VALU_DEP_2) | instskip(NEXT) | instid1(VALU_DEP_2)
	v_lshl_add_u32 v123, v123, 23, 0x3b800000
	v_cndmask_b32_e32 v105, v105, v124, vcc_lo
	s_delay_alu instid0(VALU_DEP_1) | instskip(NEXT) | instid1(VALU_DEP_1)
	v_lshlrev_b32_e32 v105, 20, v105
	v_or3_b32 v105, v107, v123, v105
.LBB7_838:                              ;   in Loop: Header=BB7_62 Depth=1
	s_wait_alu 0xfffe
	s_or_b32 exec_lo, exec_lo, s1
	s_mov_b32 s0, 0
	s_mov_b32 s1, exec_lo
	v_cmpx_lt_i16_e32 0x7f, v108
	s_wait_alu 0xfffe
	s_xor_b32 s1, exec_lo, s1
	s_cbranch_execnz .LBB7_1861
; %bb.839:                              ;   in Loop: Header=BB7_62 Depth=1
	s_wait_alu 0xfffe
	s_or_saveexec_b32 s1, s1
	v_mov_b32_e32 v107, 0x7f800001
	s_wait_alu 0xfffe
	s_xor_b32 exec_lo, exec_lo, s1
	s_cbranch_execnz .LBB7_1864
.LBB7_840:                              ;   in Loop: Header=BB7_62 Depth=1
	s_or_b32 exec_lo, exec_lo, s1
	s_and_saveexec_b32 s1, s0
	s_cbranch_execz .LBB7_842
.LBB7_841:                              ;   in Loop: Header=BB7_62 Depth=1
	v_and_b32_e32 v107, 7, v108
	v_lshrrev_b16 v125, 3, v108
	v_lshrrev_b16 v108, 7, v108
	s_delay_alu instid0(VALU_DEP_3) | instskip(NEXT) | instid1(VALU_DEP_3)
	v_clz_i32_u32_e32 v123, v107
	v_and_b32_e32 v125, 15, v125
	s_delay_alu instid0(VALU_DEP_3) | instskip(NEXT) | instid1(VALU_DEP_3)
	v_lshlrev_b32_e32 v108, 31, v108
	v_min_u32_e32 v123, 32, v123
	s_delay_alu instid0(VALU_DEP_3) | instskip(NEXT) | instid1(VALU_DEP_2)
	v_cmp_eq_u16_e32 vcc_lo, 0, v125
	v_subrev_nc_u32_e32 v124, 28, v123
	v_sub_nc_u32_e32 v123, 29, v123
	s_delay_alu instid0(VALU_DEP_2) | instskip(SKIP_1) | instid1(VALU_DEP_1)
	v_lshlrev_b32_e32 v124, v124, v107
	s_wait_alu 0xfffd
	v_dual_cndmask_b32 v123, v125, v123 :: v_dual_and_b32 v124, 7, v124
	s_delay_alu instid0(VALU_DEP_1) | instskip(NEXT) | instid1(VALU_DEP_2)
	v_lshl_add_u32 v123, v123, 23, 0x3b800000
	v_cndmask_b32_e32 v107, v107, v124, vcc_lo
	s_delay_alu instid0(VALU_DEP_1) | instskip(NEXT) | instid1(VALU_DEP_1)
	v_lshlrev_b32_e32 v107, 20, v107
	v_or3_b32 v107, v108, v123, v107
.LBB7_842:                              ;   in Loop: Header=BB7_62 Depth=1
	s_wait_alu 0xfffe
	s_or_b32 exec_lo, exec_lo, s1
	v_and_b32_e32 v123, 0xff, v61
	s_mov_b32 s0, 0
	s_mov_b32 s1, exec_lo
	s_delay_alu instid0(VALU_DEP_1)
	v_cmpx_lt_i16_e32 0x7f, v123
	s_wait_alu 0xfffe
	s_xor_b32 s1, exec_lo, s1
	s_cbranch_execnz .LBB7_1865
; %bb.843:                              ;   in Loop: Header=BB7_62 Depth=1
	s_wait_alu 0xfffe
	s_or_saveexec_b32 s1, s1
	v_mov_b32_e32 v108, 0x7f800001
	s_wait_alu 0xfffe
	s_xor_b32 exec_lo, exec_lo, s1
	s_cbranch_execnz .LBB7_1868
.LBB7_844:                              ;   in Loop: Header=BB7_62 Depth=1
	s_or_b32 exec_lo, exec_lo, s1
	s_and_saveexec_b32 s1, s0
	s_cbranch_execz .LBB7_846
.LBB7_845:                              ;   in Loop: Header=BB7_62 Depth=1
	v_lshrrev_b16 v125, 3, v61
	s_delay_alu instid0(VALU_DEP_1) | instskip(NEXT) | instid1(VALU_DEP_1)
	v_and_b32_e32 v125, 15, v125
	v_cmp_eq_u16_e32 vcc_lo, 0, v125
	v_and_b32_e32 v108, 7, v61
	v_lshrrev_b16 v61, 7, v61
	s_delay_alu instid0(VALU_DEP_2) | instskip(NEXT) | instid1(VALU_DEP_2)
	v_clz_i32_u32_e32 v123, v108
	v_lshlrev_b32_e32 v61, 31, v61
	s_delay_alu instid0(VALU_DEP_2) | instskip(NEXT) | instid1(VALU_DEP_1)
	v_min_u32_e32 v123, 32, v123
	v_subrev_nc_u32_e32 v124, 28, v123
	v_sub_nc_u32_e32 v123, 29, v123
	s_wait_alu 0xfffd
	s_delay_alu instid0(VALU_DEP_1) | instskip(NEXT) | instid1(VALU_DEP_1)
	v_dual_cndmask_b32 v123, v125, v123 :: v_dual_lshlrev_b32 v124, v124, v108
	v_lshl_add_u32 v123, v123, 23, 0x3b800000
	s_delay_alu instid0(VALU_DEP_2) | instskip(NEXT) | instid1(VALU_DEP_1)
	v_and_b32_e32 v124, 7, v124
	v_cndmask_b32_e32 v108, v108, v124, vcc_lo
	s_delay_alu instid0(VALU_DEP_1) | instskip(NEXT) | instid1(VALU_DEP_1)
	v_lshlrev_b32_e32 v108, 20, v108
	v_or3_b32 v108, v61, v123, v108
.LBB7_846:                              ;   in Loop: Header=BB7_62 Depth=1
	s_wait_alu 0xfffe
	s_or_b32 exec_lo, exec_lo, s1
	v_and_b32_e32 v123, 0xff, v111
	s_mov_b32 s0, 0
	s_mov_b32 s1, exec_lo
	s_delay_alu instid0(VALU_DEP_1)
	v_cmpx_lt_i16_e32 0x7f, v123
	s_wait_alu 0xfffe
	s_xor_b32 s1, exec_lo, s1
	s_cbranch_execnz .LBB7_1869
; %bb.847:                              ;   in Loop: Header=BB7_62 Depth=1
	s_wait_alu 0xfffe
	s_or_saveexec_b32 s1, s1
	v_mov_b32_e32 v61, 0x7f800001
	s_wait_alu 0xfffe
	s_xor_b32 exec_lo, exec_lo, s1
	s_cbranch_execnz .LBB7_1872
.LBB7_848:                              ;   in Loop: Header=BB7_62 Depth=1
	s_or_b32 exec_lo, exec_lo, s1
	s_and_saveexec_b32 s1, s0
	s_cbranch_execz .LBB7_850
.LBB7_849:                              ;   in Loop: Header=BB7_62 Depth=1
	v_and_b32_e32 v61, 7, v111
	v_lshrrev_b16 v125, 3, v111
	v_lshrrev_b16 v111, 7, v111
	s_delay_alu instid0(VALU_DEP_3) | instskip(NEXT) | instid1(VALU_DEP_3)
	v_clz_i32_u32_e32 v123, v61
	v_and_b32_e32 v125, 15, v125
	s_delay_alu instid0(VALU_DEP_3) | instskip(NEXT) | instid1(VALU_DEP_3)
	v_lshlrev_b32_e32 v111, 31, v111
	v_min_u32_e32 v123, 32, v123
	s_delay_alu instid0(VALU_DEP_3) | instskip(NEXT) | instid1(VALU_DEP_2)
	v_cmp_eq_u16_e32 vcc_lo, 0, v125
	v_subrev_nc_u32_e32 v124, 28, v123
	v_sub_nc_u32_e32 v123, 29, v123
	s_wait_alu 0xfffd
	s_delay_alu instid0(VALU_DEP_1) | instskip(NEXT) | instid1(VALU_DEP_1)
	v_dual_cndmask_b32 v123, v125, v123 :: v_dual_lshlrev_b32 v124, v124, v61
	v_and_b32_e32 v124, 7, v124
	s_delay_alu instid0(VALU_DEP_2) | instskip(NEXT) | instid1(VALU_DEP_2)
	v_lshl_add_u32 v123, v123, 23, 0x3b800000
	v_cndmask_b32_e32 v61, v61, v124, vcc_lo
	s_delay_alu instid0(VALU_DEP_1) | instskip(NEXT) | instid1(VALU_DEP_1)
	v_lshlrev_b32_e32 v61, 20, v61
	v_or3_b32 v61, v111, v123, v61
.LBB7_850:                              ;   in Loop: Header=BB7_62 Depth=1
	s_wait_alu 0xfffe
	s_or_b32 exec_lo, exec_lo, s1
	v_and_b32_e32 v123, 0xff, v121
	s_mov_b32 s0, 0
	s_mov_b32 s1, exec_lo
	s_delay_alu instid0(VALU_DEP_1)
	v_cmpx_lt_i16_e32 0x7f, v123
	s_wait_alu 0xfffe
	s_xor_b32 s1, exec_lo, s1
	s_cbranch_execnz .LBB7_1873
; %bb.851:                              ;   in Loop: Header=BB7_62 Depth=1
	s_wait_alu 0xfffe
	s_or_saveexec_b32 s1, s1
	v_mov_b32_e32 v111, 0x7f800001
	s_wait_alu 0xfffe
	s_xor_b32 exec_lo, exec_lo, s1
	s_cbranch_execnz .LBB7_1876
.LBB7_852:                              ;   in Loop: Header=BB7_62 Depth=1
	s_or_b32 exec_lo, exec_lo, s1
	s_and_saveexec_b32 s1, s0
	s_cbranch_execz .LBB7_854
.LBB7_853:                              ;   in Loop: Header=BB7_62 Depth=1
	v_and_b32_e32 v111, 7, v121
	v_lshrrev_b16 v125, 3, v121
	v_lshrrev_b16 v121, 7, v121
	s_delay_alu instid0(VALU_DEP_3) | instskip(NEXT) | instid1(VALU_DEP_3)
	v_clz_i32_u32_e32 v123, v111
	v_and_b32_e32 v125, 15, v125
	s_delay_alu instid0(VALU_DEP_3) | instskip(NEXT) | instid1(VALU_DEP_3)
	v_lshlrev_b32_e32 v121, 31, v121
	v_min_u32_e32 v123, 32, v123
	s_delay_alu instid0(VALU_DEP_3) | instskip(NEXT) | instid1(VALU_DEP_2)
	v_cmp_eq_u16_e32 vcc_lo, 0, v125
	v_subrev_nc_u32_e32 v124, 28, v123
	v_sub_nc_u32_e32 v123, 29, v123
	s_delay_alu instid0(VALU_DEP_2) | instskip(SKIP_1) | instid1(VALU_DEP_1)
	v_lshlrev_b32_e32 v124, v124, v111
	s_wait_alu 0xfffd
	v_dual_cndmask_b32 v123, v125, v123 :: v_dual_and_b32 v124, 7, v124
	s_delay_alu instid0(VALU_DEP_1) | instskip(NEXT) | instid1(VALU_DEP_2)
	v_lshl_add_u32 v123, v123, 23, 0x3b800000
	v_cndmask_b32_e32 v111, v111, v124, vcc_lo
	s_delay_alu instid0(VALU_DEP_1) | instskip(NEXT) | instid1(VALU_DEP_1)
	v_lshlrev_b32_e32 v111, 20, v111
	v_or3_b32 v111, v121, v123, v111
.LBB7_854:                              ;   in Loop: Header=BB7_62 Depth=1
	s_wait_alu 0xfffe
	s_or_b32 exec_lo, exec_lo, s1
	s_mov_b32 s0, 0
	s_mov_b32 s1, exec_lo
	v_cmpx_lt_i16_e32 0x7f, v122
	s_wait_alu 0xfffe
	s_xor_b32 s1, exec_lo, s1
	s_cbranch_execnz .LBB7_1877
; %bb.855:                              ;   in Loop: Header=BB7_62 Depth=1
	s_wait_alu 0xfffe
	s_or_saveexec_b32 s1, s1
	v_mov_b32_e32 v121, 0x7f800001
	s_wait_alu 0xfffe
	s_xor_b32 exec_lo, exec_lo, s1
	s_cbranch_execnz .LBB7_1880
.LBB7_856:                              ;   in Loop: Header=BB7_62 Depth=1
	s_or_b32 exec_lo, exec_lo, s1
	s_and_saveexec_b32 s1, s0
	s_cbranch_execz .LBB7_858
.LBB7_857:                              ;   in Loop: Header=BB7_62 Depth=1
	v_and_b32_e32 v121, 7, v122
	v_lshrrev_b16 v125, 3, v122
	v_lshrrev_b16 v122, 7, v122
	s_delay_alu instid0(VALU_DEP_3) | instskip(NEXT) | instid1(VALU_DEP_3)
	v_clz_i32_u32_e32 v123, v121
	v_and_b32_e32 v125, 15, v125
	s_delay_alu instid0(VALU_DEP_3) | instskip(NEXT) | instid1(VALU_DEP_3)
	v_lshlrev_b32_e32 v122, 31, v122
	v_min_u32_e32 v123, 32, v123
	s_delay_alu instid0(VALU_DEP_3) | instskip(NEXT) | instid1(VALU_DEP_2)
	v_cmp_eq_u16_e32 vcc_lo, 0, v125
	v_subrev_nc_u32_e32 v124, 28, v123
	v_sub_nc_u32_e32 v123, 29, v123
	s_wait_alu 0xfffd
	s_delay_alu instid0(VALU_DEP_1) | instskip(NEXT) | instid1(VALU_DEP_1)
	v_dual_cndmask_b32 v123, v125, v123 :: v_dual_lshlrev_b32 v124, v124, v121
	v_and_b32_e32 v124, 7, v124
	s_delay_alu instid0(VALU_DEP_2) | instskip(NEXT) | instid1(VALU_DEP_2)
	v_lshl_add_u32 v123, v123, 23, 0x3b800000
	v_cndmask_b32_e32 v121, v121, v124, vcc_lo
	s_delay_alu instid0(VALU_DEP_1) | instskip(NEXT) | instid1(VALU_DEP_1)
	v_lshlrev_b32_e32 v121, 20, v121
	v_or3_b32 v121, v122, v123, v121
.LBB7_858:                              ;   in Loop: Header=BB7_62 Depth=1
	s_wait_alu 0xfffe
	s_or_b32 exec_lo, exec_lo, s1
	v_and_b32_e32 v123, 0xff, v62
	s_mov_b32 s0, 0
	s_mov_b32 s1, exec_lo
	s_delay_alu instid0(VALU_DEP_1)
	v_cmpx_lt_i16_e32 0x7f, v123
	s_wait_alu 0xfffe
	s_xor_b32 s1, exec_lo, s1
	s_cbranch_execnz .LBB7_1881
; %bb.859:                              ;   in Loop: Header=BB7_62 Depth=1
	s_wait_alu 0xfffe
	s_or_saveexec_b32 s1, s1
	v_mov_b32_e32 v122, 0x7f800001
	s_wait_alu 0xfffe
	s_xor_b32 exec_lo, exec_lo, s1
	s_cbranch_execnz .LBB7_1884
.LBB7_860:                              ;   in Loop: Header=BB7_62 Depth=1
	s_or_b32 exec_lo, exec_lo, s1
	s_and_saveexec_b32 s1, s0
	s_cbranch_execz .LBB7_862
.LBB7_861:                              ;   in Loop: Header=BB7_62 Depth=1
	v_lshrrev_b16 v125, 3, v62
	s_delay_alu instid0(VALU_DEP_1) | instskip(NEXT) | instid1(VALU_DEP_1)
	v_and_b32_e32 v125, 15, v125
	v_cmp_eq_u16_e32 vcc_lo, 0, v125
	v_and_b32_e32 v122, 7, v62
	v_lshrrev_b16 v62, 7, v62
	s_delay_alu instid0(VALU_DEP_2) | instskip(NEXT) | instid1(VALU_DEP_2)
	v_clz_i32_u32_e32 v123, v122
	v_lshlrev_b32_e32 v62, 31, v62
	s_delay_alu instid0(VALU_DEP_2) | instskip(NEXT) | instid1(VALU_DEP_1)
	v_min_u32_e32 v123, 32, v123
	v_subrev_nc_u32_e32 v124, 28, v123
	v_sub_nc_u32_e32 v123, 29, v123
	s_wait_alu 0xfffd
	s_delay_alu instid0(VALU_DEP_1) | instskip(NEXT) | instid1(VALU_DEP_1)
	v_dual_cndmask_b32 v123, v125, v123 :: v_dual_lshlrev_b32 v124, v124, v122
	v_lshl_add_u32 v123, v123, 23, 0x3b800000
	s_delay_alu instid0(VALU_DEP_2) | instskip(NEXT) | instid1(VALU_DEP_1)
	v_and_b32_e32 v124, 7, v124
	v_cndmask_b32_e32 v122, v122, v124, vcc_lo
	s_delay_alu instid0(VALU_DEP_1) | instskip(NEXT) | instid1(VALU_DEP_1)
	v_lshlrev_b32_e32 v122, 20, v122
	v_or3_b32 v122, v62, v123, v122
.LBB7_862:                              ;   in Loop: Header=BB7_62 Depth=1
	s_wait_alu 0xfffe
	s_or_b32 exec_lo, exec_lo, s1
	v_and_b32_e32 v123, 0xff, v120
	s_mov_b32 s0, 0
	s_mov_b32 s1, exec_lo
	s_delay_alu instid0(VALU_DEP_1)
	v_cmpx_lt_i16_e32 0x7f, v123
	s_wait_alu 0xfffe
	s_xor_b32 s1, exec_lo, s1
	s_cbranch_execnz .LBB7_1885
; %bb.863:                              ;   in Loop: Header=BB7_62 Depth=1
	s_wait_alu 0xfffe
	s_or_saveexec_b32 s1, s1
	v_mov_b32_e32 v62, 0x7f800001
	s_wait_alu 0xfffe
	s_xor_b32 exec_lo, exec_lo, s1
	s_cbranch_execnz .LBB7_1888
.LBB7_864:                              ;   in Loop: Header=BB7_62 Depth=1
	s_or_b32 exec_lo, exec_lo, s1
	s_and_saveexec_b32 s1, s0
	s_cbranch_execz .LBB7_866
.LBB7_865:                              ;   in Loop: Header=BB7_62 Depth=1
	v_lshrrev_b16 v125, 3, v120
	s_delay_alu instid0(VALU_DEP_1) | instskip(NEXT) | instid1(VALU_DEP_1)
	v_and_b32_e32 v125, 15, v125
	v_cmp_eq_u16_e32 vcc_lo, 0, v125
	v_and_b32_e32 v62, 7, v120
	v_lshrrev_b16 v120, 7, v120
	s_delay_alu instid0(VALU_DEP_2) | instskip(NEXT) | instid1(VALU_DEP_2)
	v_clz_i32_u32_e32 v123, v62
	v_lshlrev_b32_e32 v120, 31, v120
	s_delay_alu instid0(VALU_DEP_2) | instskip(NEXT) | instid1(VALU_DEP_1)
	v_min_u32_e32 v123, 32, v123
	v_subrev_nc_u32_e32 v124, 28, v123
	v_sub_nc_u32_e32 v123, 29, v123
	s_wait_alu 0xfffd
	s_delay_alu instid0(VALU_DEP_1) | instskip(NEXT) | instid1(VALU_DEP_1)
	v_dual_cndmask_b32 v123, v125, v123 :: v_dual_lshlrev_b32 v124, v124, v62
	v_lshl_add_u32 v123, v123, 23, 0x3b800000
	s_delay_alu instid0(VALU_DEP_2) | instskip(NEXT) | instid1(VALU_DEP_1)
	v_and_b32_e32 v124, 7, v124
	v_cndmask_b32_e32 v62, v62, v124, vcc_lo
	s_delay_alu instid0(VALU_DEP_1) | instskip(NEXT) | instid1(VALU_DEP_1)
	v_lshlrev_b32_e32 v62, 20, v62
	v_or3_b32 v62, v120, v123, v62
.LBB7_866:                              ;   in Loop: Header=BB7_62 Depth=1
	s_wait_alu 0xfffe
	s_or_b32 exec_lo, exec_lo, s1
	v_and_b32_e32 v123, 0xff, v110
	s_mov_b32 s0, 0
	s_mov_b32 s1, exec_lo
	s_delay_alu instid0(VALU_DEP_1)
	v_cmpx_lt_i16_e32 0x7f, v123
	s_wait_alu 0xfffe
	s_xor_b32 s1, exec_lo, s1
	s_cbranch_execnz .LBB7_1889
; %bb.867:                              ;   in Loop: Header=BB7_62 Depth=1
	s_wait_alu 0xfffe
	s_or_saveexec_b32 s1, s1
	v_mov_b32_e32 v120, 0x7f800001
	s_wait_alu 0xfffe
	s_xor_b32 exec_lo, exec_lo, s1
	s_cbranch_execnz .LBB7_1892
.LBB7_868:                              ;   in Loop: Header=BB7_62 Depth=1
	s_or_b32 exec_lo, exec_lo, s1
	s_and_saveexec_b32 s1, s0
	s_cbranch_execz .LBB7_870
.LBB7_869:                              ;   in Loop: Header=BB7_62 Depth=1
	v_lshrrev_b16 v125, 3, v110
	s_delay_alu instid0(VALU_DEP_1) | instskip(NEXT) | instid1(VALU_DEP_1)
	v_and_b32_e32 v125, 15, v125
	v_cmp_eq_u16_e32 vcc_lo, 0, v125
	v_and_b32_e32 v120, 7, v110
	v_lshrrev_b16 v110, 7, v110
	s_delay_alu instid0(VALU_DEP_2) | instskip(NEXT) | instid1(VALU_DEP_2)
	v_clz_i32_u32_e32 v123, v120
	v_lshlrev_b32_e32 v110, 31, v110
	s_delay_alu instid0(VALU_DEP_2) | instskip(NEXT) | instid1(VALU_DEP_1)
	v_min_u32_e32 v123, 32, v123
	v_subrev_nc_u32_e32 v124, 28, v123
	v_sub_nc_u32_e32 v123, 29, v123
	s_wait_alu 0xfffd
	s_delay_alu instid0(VALU_DEP_1) | instskip(NEXT) | instid1(VALU_DEP_1)
	v_dual_cndmask_b32 v123, v125, v123 :: v_dual_lshlrev_b32 v124, v124, v120
	v_lshl_add_u32 v123, v123, 23, 0x3b800000
	s_delay_alu instid0(VALU_DEP_2) | instskip(NEXT) | instid1(VALU_DEP_1)
	v_and_b32_e32 v124, 7, v124
	v_cndmask_b32_e32 v120, v120, v124, vcc_lo
	s_delay_alu instid0(VALU_DEP_1) | instskip(NEXT) | instid1(VALU_DEP_1)
	v_lshlrev_b32_e32 v120, 20, v120
	v_or3_b32 v120, v110, v123, v120
.LBB7_870:                              ;   in Loop: Header=BB7_62 Depth=1
	s_wait_alu 0xfffe
	s_or_b32 exec_lo, exec_lo, s1
	s_mov_b32 s0, 0
	s_mov_b32 s1, exec_lo
	v_cmpx_lt_i16_e32 0x7f, v109
	s_wait_alu 0xfffe
	s_xor_b32 s1, exec_lo, s1
	s_cbranch_execnz .LBB7_1893
; %bb.871:                              ;   in Loop: Header=BB7_62 Depth=1
	s_wait_alu 0xfffe
	s_or_saveexec_b32 s1, s1
	v_mov_b32_e32 v110, 0x7f800001
	s_wait_alu 0xfffe
	s_xor_b32 exec_lo, exec_lo, s1
	s_cbranch_execnz .LBB7_1896
.LBB7_872:                              ;   in Loop: Header=BB7_62 Depth=1
	s_or_b32 exec_lo, exec_lo, s1
	s_and_saveexec_b32 s1, s0
	s_cbranch_execz .LBB7_874
.LBB7_873:                              ;   in Loop: Header=BB7_62 Depth=1
	v_lshrrev_b16 v125, 3, v109
	s_delay_alu instid0(VALU_DEP_1) | instskip(NEXT) | instid1(VALU_DEP_1)
	v_and_b32_e32 v125, 15, v125
	v_cmp_eq_u16_e32 vcc_lo, 0, v125
	v_and_b32_e32 v110, 7, v109
	v_lshrrev_b16 v109, 7, v109
	s_delay_alu instid0(VALU_DEP_2) | instskip(NEXT) | instid1(VALU_DEP_2)
	v_clz_i32_u32_e32 v123, v110
	v_lshlrev_b32_e32 v109, 31, v109
	s_delay_alu instid0(VALU_DEP_2) | instskip(NEXT) | instid1(VALU_DEP_1)
	v_min_u32_e32 v123, 32, v123
	v_subrev_nc_u32_e32 v124, 28, v123
	v_sub_nc_u32_e32 v123, 29, v123
	s_wait_alu 0xfffd
	s_delay_alu instid0(VALU_DEP_1) | instskip(NEXT) | instid1(VALU_DEP_1)
	v_dual_cndmask_b32 v123, v125, v123 :: v_dual_lshlrev_b32 v124, v124, v110
	v_lshl_add_u32 v123, v123, 23, 0x3b800000
	s_delay_alu instid0(VALU_DEP_2) | instskip(NEXT) | instid1(VALU_DEP_1)
	v_and_b32_e32 v124, 7, v124
	v_cndmask_b32_e32 v110, v110, v124, vcc_lo
	s_delay_alu instid0(VALU_DEP_1) | instskip(NEXT) | instid1(VALU_DEP_1)
	v_lshlrev_b32_e32 v110, 20, v110
	v_or3_b32 v110, v109, v123, v110
.LBB7_874:                              ;   in Loop: Header=BB7_62 Depth=1
	s_wait_alu 0xfffe
	s_or_b32 exec_lo, exec_lo, s1
	v_and_b32_e32 v123, 0xff, v63
	s_mov_b32 s0, 0
	s_mov_b32 s1, exec_lo
	s_delay_alu instid0(VALU_DEP_1)
	v_cmpx_lt_i16_e32 0x7f, v123
	s_wait_alu 0xfffe
	s_xor_b32 s1, exec_lo, s1
	s_cbranch_execnz .LBB7_1897
; %bb.875:                              ;   in Loop: Header=BB7_62 Depth=1
	s_wait_alu 0xfffe
	s_or_saveexec_b32 s1, s1
	v_mov_b32_e32 v109, 0x7f800001
	s_wait_alu 0xfffe
	s_xor_b32 exec_lo, exec_lo, s1
	s_cbranch_execnz .LBB7_1900
.LBB7_876:                              ;   in Loop: Header=BB7_62 Depth=1
	s_or_b32 exec_lo, exec_lo, s1
	s_and_saveexec_b32 s1, s0
	s_cbranch_execz .LBB7_878
.LBB7_877:                              ;   in Loop: Header=BB7_62 Depth=1
	v_and_b32_e32 v109, 7, v63
	v_lshrrev_b16 v125, 3, v63
	v_lshrrev_b16 v63, 7, v63
	s_delay_alu instid0(VALU_DEP_3) | instskip(NEXT) | instid1(VALU_DEP_3)
	v_clz_i32_u32_e32 v123, v109
	v_and_b32_e32 v125, 15, v125
	s_delay_alu instid0(VALU_DEP_3) | instskip(NEXT) | instid1(VALU_DEP_3)
	v_lshlrev_b32_e32 v63, 31, v63
	v_min_u32_e32 v123, 32, v123
	s_delay_alu instid0(VALU_DEP_3) | instskip(NEXT) | instid1(VALU_DEP_2)
	v_cmp_eq_u16_e32 vcc_lo, 0, v125
	v_subrev_nc_u32_e32 v124, 28, v123
	v_sub_nc_u32_e32 v123, 29, v123
	s_wait_alu 0xfffd
	s_delay_alu instid0(VALU_DEP_1) | instskip(NEXT) | instid1(VALU_DEP_1)
	v_dual_cndmask_b32 v123, v125, v123 :: v_dual_lshlrev_b32 v124, v124, v109
	v_and_b32_e32 v124, 7, v124
	s_delay_alu instid0(VALU_DEP_2) | instskip(NEXT) | instid1(VALU_DEP_2)
	v_lshl_add_u32 v123, v123, 23, 0x3b800000
	v_cndmask_b32_e32 v109, v109, v124, vcc_lo
	s_delay_alu instid0(VALU_DEP_1) | instskip(NEXT) | instid1(VALU_DEP_1)
	v_lshlrev_b32_e32 v109, 20, v109
	v_or3_b32 v109, v63, v123, v109
.LBB7_878:                              ;   in Loop: Header=BB7_62 Depth=1
	s_wait_alu 0xfffe
	s_or_b32 exec_lo, exec_lo, s1
	v_and_b32_e32 v123, 0xff, v106
	s_mov_b32 s0, 0
	s_mov_b32 s1, exec_lo
	s_delay_alu instid0(VALU_DEP_1)
	v_cmpx_lt_i16_e32 0x7f, v123
	s_wait_alu 0xfffe
	s_xor_b32 s1, exec_lo, s1
	s_cbranch_execnz .LBB7_1901
; %bb.879:                              ;   in Loop: Header=BB7_62 Depth=1
	s_wait_alu 0xfffe
	s_or_saveexec_b32 s1, s1
	v_mov_b32_e32 v63, 0x7f800001
	s_wait_alu 0xfffe
	s_xor_b32 exec_lo, exec_lo, s1
	s_cbranch_execnz .LBB7_1904
.LBB7_880:                              ;   in Loop: Header=BB7_62 Depth=1
	s_or_b32 exec_lo, exec_lo, s1
	s_and_saveexec_b32 s1, s0
	s_cbranch_execz .LBB7_882
.LBB7_881:                              ;   in Loop: Header=BB7_62 Depth=1
	v_and_b32_e32 v63, 7, v106
	v_lshrrev_b16 v125, 3, v106
	v_lshrrev_b16 v106, 7, v106
	s_delay_alu instid0(VALU_DEP_3) | instskip(NEXT) | instid1(VALU_DEP_3)
	v_clz_i32_u32_e32 v123, v63
	v_and_b32_e32 v125, 15, v125
	s_delay_alu instid0(VALU_DEP_3) | instskip(NEXT) | instid1(VALU_DEP_3)
	v_lshlrev_b32_e32 v106, 31, v106
	v_min_u32_e32 v123, 32, v123
	s_delay_alu instid0(VALU_DEP_3) | instskip(NEXT) | instid1(VALU_DEP_2)
	v_cmp_eq_u16_e32 vcc_lo, 0, v125
	v_subrev_nc_u32_e32 v124, 28, v123
	v_sub_nc_u32_e32 v123, 29, v123
	s_delay_alu instid0(VALU_DEP_2) | instskip(SKIP_1) | instid1(VALU_DEP_1)
	v_lshlrev_b32_e32 v124, v124, v63
	s_wait_alu 0xfffd
	v_dual_cndmask_b32 v123, v125, v123 :: v_dual_and_b32 v124, 7, v124
	s_delay_alu instid0(VALU_DEP_1) | instskip(NEXT) | instid1(VALU_DEP_2)
	v_lshl_add_u32 v123, v123, 23, 0x3b800000
	v_cndmask_b32_e32 v63, v63, v124, vcc_lo
	s_delay_alu instid0(VALU_DEP_1) | instskip(NEXT) | instid1(VALU_DEP_1)
	v_lshlrev_b32_e32 v63, 20, v63
	v_or3_b32 v63, v106, v123, v63
.LBB7_882:                              ;   in Loop: Header=BB7_62 Depth=1
	s_wait_alu 0xfffe
	s_or_b32 exec_lo, exec_lo, s1
	v_and_b32_e32 v123, 0xff, v104
	s_mov_b32 s0, 0
	s_mov_b32 s1, exec_lo
	s_delay_alu instid0(VALU_DEP_1)
	v_cmpx_lt_i16_e32 0x7f, v123
	s_wait_alu 0xfffe
	s_xor_b32 s1, exec_lo, s1
	s_cbranch_execnz .LBB7_1905
; %bb.883:                              ;   in Loop: Header=BB7_62 Depth=1
	s_wait_alu 0xfffe
	s_or_saveexec_b32 s1, s1
	v_mov_b32_e32 v106, 0x7f800001
	s_wait_alu 0xfffe
	s_xor_b32 exec_lo, exec_lo, s1
	s_cbranch_execnz .LBB7_1908
.LBB7_884:                              ;   in Loop: Header=BB7_62 Depth=1
	s_or_b32 exec_lo, exec_lo, s1
	s_and_saveexec_b32 s1, s0
	s_cbranch_execz .LBB7_886
.LBB7_885:                              ;   in Loop: Header=BB7_62 Depth=1
	v_lshrrev_b16 v125, 3, v104
	s_delay_alu instid0(VALU_DEP_1) | instskip(NEXT) | instid1(VALU_DEP_1)
	v_and_b32_e32 v125, 15, v125
	v_cmp_eq_u16_e32 vcc_lo, 0, v125
	v_and_b32_e32 v106, 7, v104
	v_lshrrev_b16 v104, 7, v104
	s_delay_alu instid0(VALU_DEP_2) | instskip(NEXT) | instid1(VALU_DEP_2)
	v_clz_i32_u32_e32 v123, v106
	v_lshlrev_b32_e32 v104, 31, v104
	s_delay_alu instid0(VALU_DEP_2) | instskip(NEXT) | instid1(VALU_DEP_1)
	v_min_u32_e32 v123, 32, v123
	v_subrev_nc_u32_e32 v124, 28, v123
	v_sub_nc_u32_e32 v123, 29, v123
	s_wait_alu 0xfffd
	s_delay_alu instid0(VALU_DEP_1) | instskip(NEXT) | instid1(VALU_DEP_1)
	v_dual_cndmask_b32 v123, v125, v123 :: v_dual_lshlrev_b32 v124, v124, v106
	v_lshl_add_u32 v123, v123, 23, 0x3b800000
	s_delay_alu instid0(VALU_DEP_2) | instskip(NEXT) | instid1(VALU_DEP_1)
	v_and_b32_e32 v124, 7, v124
	v_cndmask_b32_e32 v106, v106, v124, vcc_lo
	s_delay_alu instid0(VALU_DEP_1) | instskip(NEXT) | instid1(VALU_DEP_1)
	v_lshlrev_b32_e32 v106, 20, v106
	v_or3_b32 v106, v104, v123, v106
.LBB7_886:                              ;   in Loop: Header=BB7_62 Depth=1
	s_wait_alu 0xfffe
	s_or_b32 exec_lo, exec_lo, s1
	s_mov_b32 s0, 0
	s_mov_b32 s1, exec_lo
	v_cmpx_lt_i16_e32 0x7f, v95
	s_wait_alu 0xfffe
	s_xor_b32 s1, exec_lo, s1
	s_cbranch_execnz .LBB7_1909
; %bb.887:                              ;   in Loop: Header=BB7_62 Depth=1
	s_wait_alu 0xfffe
	s_or_saveexec_b32 s1, s1
	v_mov_b32_e32 v104, 0x7f800001
	s_wait_alu 0xfffe
	s_xor_b32 exec_lo, exec_lo, s1
	s_cbranch_execnz .LBB7_1912
.LBB7_888:                              ;   in Loop: Header=BB7_62 Depth=1
	s_or_b32 exec_lo, exec_lo, s1
	s_and_saveexec_b32 s1, s0
	s_cbranch_execz .LBB7_890
.LBB7_889:                              ;   in Loop: Header=BB7_62 Depth=1
	v_and_b32_e32 v104, 7, v95
	v_lshrrev_b16 v125, 3, v95
	v_lshrrev_b16 v95, 7, v95
	s_delay_alu instid0(VALU_DEP_3) | instskip(NEXT) | instid1(VALU_DEP_3)
	v_clz_i32_u32_e32 v123, v104
	v_and_b32_e32 v125, 15, v125
	s_delay_alu instid0(VALU_DEP_3) | instskip(NEXT) | instid1(VALU_DEP_3)
	v_lshlrev_b32_e32 v95, 31, v95
	v_min_u32_e32 v123, 32, v123
	s_delay_alu instid0(VALU_DEP_3) | instskip(NEXT) | instid1(VALU_DEP_2)
	v_cmp_eq_u16_e32 vcc_lo, 0, v125
	v_subrev_nc_u32_e32 v124, 28, v123
	v_sub_nc_u32_e32 v123, 29, v123
	s_wait_alu 0xfffd
	s_delay_alu instid0(VALU_DEP_1) | instskip(NEXT) | instid1(VALU_DEP_1)
	v_dual_cndmask_b32 v123, v125, v123 :: v_dual_lshlrev_b32 v124, v124, v104
	v_and_b32_e32 v124, 7, v124
	s_delay_alu instid0(VALU_DEP_2) | instskip(NEXT) | instid1(VALU_DEP_2)
	v_lshl_add_u32 v123, v123, 23, 0x3b800000
	v_cndmask_b32_e32 v104, v104, v124, vcc_lo
	s_delay_alu instid0(VALU_DEP_1) | instskip(NEXT) | instid1(VALU_DEP_1)
	v_lshlrev_b32_e32 v104, 20, v104
	v_or3_b32 v104, v95, v123, v104
.LBB7_890:                              ;   in Loop: Header=BB7_62 Depth=1
	s_wait_alu 0xfffe
	s_or_b32 exec_lo, exec_lo, s1
	v_cvt_pk_rtz_f16_f32_e32 v123, v94, v60
	v_add_nc_u32_e32 v60, 64, v89
	v_cvt_pk_rtz_f16_f32_e32 v125, v108, v61
	v_cvt_pk_rtz_f16_f32_e32 v124, v105, v107
	;; [unrolled: 1-line block ×4, first 2 shown]
	v_ashrrev_i32_e32 v61, 31, v60
	v_cvt_pk_rtz_f16_f32_e32 v109, v109, v63
	v_cvt_pk_rtz_f16_f32_e32 v108, v120, v110
	;; [unrolled: 1-line block ×3, first 2 shown]
	s_clause 0x1
	scratch_store_b128 off, v[123:126], s33 offset:96
	scratch_store_b128 off, v[107:110], s33 offset:112
	v_lshrrev_b32_e32 v61, 28, v61
	s_mov_b32 s0, 0
	s_mov_b32 s1, exec_lo
	s_delay_alu instid0(VALU_DEP_1) | instskip(NEXT) | instid1(VALU_DEP_1)
	v_add_nc_u32_e32 v61, v60, v61
	v_lshrrev_b32_e32 v62, 4, v61
	v_and_b32_e32 v61, -16, v61
	s_delay_alu instid0(VALU_DEP_2) | instskip(NEXT) | instid1(VALU_DEP_2)
	v_add_nc_u32_e32 v62, v62, v91
	v_sub_nc_u32_e32 v60, v60, v61
	s_delay_alu instid0(VALU_DEP_2) | instskip(NEXT) | instid1(VALU_DEP_1)
	v_xor_b32_e32 v62, v62, v92
	v_sub_nc_u32_e32 v62, v62, v77
	s_delay_alu instid0(VALU_DEP_1) | instskip(NEXT) | instid1(VALU_DEP_1)
	v_lshlrev_b32_e32 v61, 4, v62
	v_add3_u32 v60, v60, v93, v61
	s_delay_alu instid0(VALU_DEP_1) | instskip(SKIP_2) | instid1(VALU_DEP_2)
	v_ashrrev_i32_e32 v61, 31, v60
	v_add_co_u32 v60, vcc_lo, v75, v60
	s_wait_alu 0xfffd
	v_add_co_ci_u32_e64 v61, null, v76, v61, vcc_lo
	flat_load_b128 v[60:63], v[60:61]
	s_wait_loadcnt_dscnt 0x0
	v_and_b32_e32 v95, 0xff, v60
	s_delay_alu instid0(VALU_DEP_1)
	v_cmpx_lt_i16_e32 0x7f, v95
	s_wait_alu 0xfffe
	s_xor_b32 s1, exec_lo, s1
	s_cbranch_execnz .LBB7_1913
; %bb.891:                              ;   in Loop: Header=BB7_62 Depth=1
	s_wait_alu 0xfffe
	s_or_saveexec_b32 s1, s1
	v_mov_b32_e32 v94, 0x7f800001
	s_wait_alu 0xfffe
	s_xor_b32 exec_lo, exec_lo, s1
	s_cbranch_execnz .LBB7_1916
.LBB7_892:                              ;   in Loop: Header=BB7_62 Depth=1
	s_or_b32 exec_lo, exec_lo, s1
	s_and_saveexec_b32 s1, s0
	s_cbranch_execz .LBB7_894
.LBB7_893:                              ;   in Loop: Header=BB7_62 Depth=1
	v_lshrrev_b16 v105, 3, v60
	v_lshrrev_b16 v106, 7, v60
	s_delay_alu instid0(VALU_DEP_2) | instskip(NEXT) | instid1(VALU_DEP_1)
	v_and_b32_e32 v105, 15, v105
	v_cmp_eq_u16_e32 vcc_lo, 0, v105
	v_and_b32_e32 v94, 7, v60
	s_delay_alu instid0(VALU_DEP_1) | instskip(NEXT) | instid1(VALU_DEP_1)
	v_clz_i32_u32_e32 v95, v94
	v_min_u32_e32 v95, 32, v95
	s_delay_alu instid0(VALU_DEP_1) | instskip(SKIP_2) | instid1(VALU_DEP_1)
	v_subrev_nc_u32_e32 v104, 28, v95
	v_sub_nc_u32_e32 v95, 29, v95
	s_wait_alu 0xfffd
	v_dual_cndmask_b32 v95, v105, v95 :: v_dual_lshlrev_b32 v104, v104, v94
	s_delay_alu instid0(VALU_DEP_1) | instskip(NEXT) | instid1(VALU_DEP_2)
	v_lshl_add_u32 v95, v95, 23, 0x3b800000
	v_and_b32_e32 v104, 7, v104
	s_delay_alu instid0(VALU_DEP_1) | instskip(SKIP_1) | instid1(VALU_DEP_2)
	v_cndmask_b32_e32 v94, v94, v104, vcc_lo
	v_lshlrev_b32_e32 v104, 31, v106
	v_lshlrev_b32_e32 v94, 20, v94
	s_delay_alu instid0(VALU_DEP_1)
	v_or3_b32 v94, v104, v95, v94
.LBB7_894:                              ;   in Loop: Header=BB7_62 Depth=1
	s_wait_alu 0xfffe
	s_or_b32 exec_lo, exec_lo, s1
	v_lshrrev_b32_e32 v105, 8, v60
	v_lshrrev_b32_e32 v95, 24, v63
	;; [unrolled: 1-line block ×12, first 2 shown]
	v_and_b32_e32 v123, 0xff, v105
	s_mov_b32 s0, 0
	s_mov_b32 s1, exec_lo
	s_delay_alu instid0(VALU_DEP_1)
	v_cmpx_lt_i16_e32 0x7f, v123
	s_wait_alu 0xfffe
	s_xor_b32 s1, exec_lo, s1
	s_cbranch_execnz .LBB7_1917
; %bb.895:                              ;   in Loop: Header=BB7_62 Depth=1
	s_wait_alu 0xfffe
	s_or_saveexec_b32 s1, s1
	v_mov_b32_e32 v60, 0x7f800001
	s_wait_alu 0xfffe
	s_xor_b32 exec_lo, exec_lo, s1
	s_cbranch_execnz .LBB7_1920
.LBB7_896:                              ;   in Loop: Header=BB7_62 Depth=1
	s_or_b32 exec_lo, exec_lo, s1
	s_and_saveexec_b32 s1, s0
	s_cbranch_execz .LBB7_898
.LBB7_897:                              ;   in Loop: Header=BB7_62 Depth=1
	v_lshrrev_b16 v125, 3, v105
	s_delay_alu instid0(VALU_DEP_1) | instskip(NEXT) | instid1(VALU_DEP_1)
	v_and_b32_e32 v125, 15, v125
	v_cmp_eq_u16_e32 vcc_lo, 0, v125
	v_and_b32_e32 v60, 7, v105
	v_lshrrev_b16 v105, 7, v105
	s_delay_alu instid0(VALU_DEP_2) | instskip(NEXT) | instid1(VALU_DEP_2)
	v_clz_i32_u32_e32 v123, v60
	v_lshlrev_b32_e32 v105, 31, v105
	s_delay_alu instid0(VALU_DEP_2) | instskip(NEXT) | instid1(VALU_DEP_1)
	v_min_u32_e32 v123, 32, v123
	v_subrev_nc_u32_e32 v124, 28, v123
	v_sub_nc_u32_e32 v123, 29, v123
	s_wait_alu 0xfffd
	s_delay_alu instid0(VALU_DEP_1) | instskip(NEXT) | instid1(VALU_DEP_1)
	v_dual_cndmask_b32 v123, v125, v123 :: v_dual_lshlrev_b32 v124, v124, v60
	v_lshl_add_u32 v123, v123, 23, 0x3b800000
	s_delay_alu instid0(VALU_DEP_2) | instskip(NEXT) | instid1(VALU_DEP_1)
	v_and_b32_e32 v124, 7, v124
	v_cndmask_b32_e32 v60, v60, v124, vcc_lo
	s_delay_alu instid0(VALU_DEP_1) | instskip(NEXT) | instid1(VALU_DEP_1)
	v_lshlrev_b32_e32 v60, 20, v60
	v_or3_b32 v60, v105, v123, v60
.LBB7_898:                              ;   in Loop: Header=BB7_62 Depth=1
	s_wait_alu 0xfffe
	s_or_b32 exec_lo, exec_lo, s1
	v_and_b32_e32 v123, 0xff, v107
	s_mov_b32 s0, 0
	s_mov_b32 s1, exec_lo
	s_delay_alu instid0(VALU_DEP_1)
	v_cmpx_lt_i16_e32 0x7f, v123
	s_wait_alu 0xfffe
	s_xor_b32 s1, exec_lo, s1
	s_cbranch_execnz .LBB7_1921
; %bb.899:                              ;   in Loop: Header=BB7_62 Depth=1
	s_wait_alu 0xfffe
	s_or_saveexec_b32 s1, s1
	v_mov_b32_e32 v105, 0x7f800001
	s_wait_alu 0xfffe
	s_xor_b32 exec_lo, exec_lo, s1
	s_cbranch_execnz .LBB7_1924
.LBB7_900:                              ;   in Loop: Header=BB7_62 Depth=1
	s_or_b32 exec_lo, exec_lo, s1
	s_and_saveexec_b32 s1, s0
	s_cbranch_execz .LBB7_902
.LBB7_901:                              ;   in Loop: Header=BB7_62 Depth=1
	v_and_b32_e32 v105, 7, v107
	v_lshrrev_b16 v125, 3, v107
	v_lshrrev_b16 v107, 7, v107
	s_delay_alu instid0(VALU_DEP_3) | instskip(NEXT) | instid1(VALU_DEP_3)
	v_clz_i32_u32_e32 v123, v105
	v_and_b32_e32 v125, 15, v125
	s_delay_alu instid0(VALU_DEP_3) | instskip(NEXT) | instid1(VALU_DEP_3)
	v_lshlrev_b32_e32 v107, 31, v107
	v_min_u32_e32 v123, 32, v123
	s_delay_alu instid0(VALU_DEP_3) | instskip(NEXT) | instid1(VALU_DEP_2)
	v_cmp_eq_u16_e32 vcc_lo, 0, v125
	v_subrev_nc_u32_e32 v124, 28, v123
	v_sub_nc_u32_e32 v123, 29, v123
	s_wait_alu 0xfffd
	s_delay_alu instid0(VALU_DEP_1) | instskip(NEXT) | instid1(VALU_DEP_1)
	v_dual_cndmask_b32 v123, v125, v123 :: v_dual_lshlrev_b32 v124, v124, v105
	v_and_b32_e32 v124, 7, v124
	s_delay_alu instid0(VALU_DEP_2) | instskip(NEXT) | instid1(VALU_DEP_2)
	v_lshl_add_u32 v123, v123, 23, 0x3b800000
	v_cndmask_b32_e32 v105, v105, v124, vcc_lo
	s_delay_alu instid0(VALU_DEP_1) | instskip(NEXT) | instid1(VALU_DEP_1)
	v_lshlrev_b32_e32 v105, 20, v105
	v_or3_b32 v105, v107, v123, v105
.LBB7_902:                              ;   in Loop: Header=BB7_62 Depth=1
	s_wait_alu 0xfffe
	s_or_b32 exec_lo, exec_lo, s1
	s_mov_b32 s0, 0
	s_mov_b32 s1, exec_lo
	v_cmpx_lt_i16_e32 0x7f, v108
	s_wait_alu 0xfffe
	s_xor_b32 s1, exec_lo, s1
	s_cbranch_execnz .LBB7_1925
; %bb.903:                              ;   in Loop: Header=BB7_62 Depth=1
	s_wait_alu 0xfffe
	s_or_saveexec_b32 s1, s1
	v_mov_b32_e32 v107, 0x7f800001
	s_wait_alu 0xfffe
	s_xor_b32 exec_lo, exec_lo, s1
	s_cbranch_execnz .LBB7_1928
.LBB7_904:                              ;   in Loop: Header=BB7_62 Depth=1
	s_or_b32 exec_lo, exec_lo, s1
	s_and_saveexec_b32 s1, s0
	s_cbranch_execz .LBB7_906
.LBB7_905:                              ;   in Loop: Header=BB7_62 Depth=1
	v_and_b32_e32 v107, 7, v108
	v_lshrrev_b16 v125, 3, v108
	v_lshrrev_b16 v108, 7, v108
	s_delay_alu instid0(VALU_DEP_3) | instskip(NEXT) | instid1(VALU_DEP_3)
	v_clz_i32_u32_e32 v123, v107
	v_and_b32_e32 v125, 15, v125
	s_delay_alu instid0(VALU_DEP_3) | instskip(NEXT) | instid1(VALU_DEP_3)
	v_lshlrev_b32_e32 v108, 31, v108
	v_min_u32_e32 v123, 32, v123
	s_delay_alu instid0(VALU_DEP_3) | instskip(NEXT) | instid1(VALU_DEP_2)
	v_cmp_eq_u16_e32 vcc_lo, 0, v125
	v_subrev_nc_u32_e32 v124, 28, v123
	v_sub_nc_u32_e32 v123, 29, v123
	s_delay_alu instid0(VALU_DEP_2) | instskip(SKIP_1) | instid1(VALU_DEP_1)
	v_lshlrev_b32_e32 v124, v124, v107
	s_wait_alu 0xfffd
	v_dual_cndmask_b32 v123, v125, v123 :: v_dual_and_b32 v124, 7, v124
	s_delay_alu instid0(VALU_DEP_1) | instskip(NEXT) | instid1(VALU_DEP_2)
	v_lshl_add_u32 v123, v123, 23, 0x3b800000
	v_cndmask_b32_e32 v107, v107, v124, vcc_lo
	s_delay_alu instid0(VALU_DEP_1) | instskip(NEXT) | instid1(VALU_DEP_1)
	v_lshlrev_b32_e32 v107, 20, v107
	v_or3_b32 v107, v108, v123, v107
.LBB7_906:                              ;   in Loop: Header=BB7_62 Depth=1
	s_wait_alu 0xfffe
	s_or_b32 exec_lo, exec_lo, s1
	v_and_b32_e32 v123, 0xff, v61
	s_mov_b32 s0, 0
	s_mov_b32 s1, exec_lo
	s_delay_alu instid0(VALU_DEP_1)
	v_cmpx_lt_i16_e32 0x7f, v123
	s_wait_alu 0xfffe
	s_xor_b32 s1, exec_lo, s1
	s_cbranch_execnz .LBB7_1929
; %bb.907:                              ;   in Loop: Header=BB7_62 Depth=1
	s_wait_alu 0xfffe
	s_or_saveexec_b32 s1, s1
	v_mov_b32_e32 v108, 0x7f800001
	s_wait_alu 0xfffe
	s_xor_b32 exec_lo, exec_lo, s1
	s_cbranch_execnz .LBB7_1932
.LBB7_908:                              ;   in Loop: Header=BB7_62 Depth=1
	s_or_b32 exec_lo, exec_lo, s1
	s_and_saveexec_b32 s1, s0
	s_cbranch_execz .LBB7_910
.LBB7_909:                              ;   in Loop: Header=BB7_62 Depth=1
	v_lshrrev_b16 v125, 3, v61
	s_delay_alu instid0(VALU_DEP_1) | instskip(NEXT) | instid1(VALU_DEP_1)
	v_and_b32_e32 v125, 15, v125
	v_cmp_eq_u16_e32 vcc_lo, 0, v125
	v_and_b32_e32 v108, 7, v61
	v_lshrrev_b16 v61, 7, v61
	s_delay_alu instid0(VALU_DEP_2) | instskip(NEXT) | instid1(VALU_DEP_2)
	v_clz_i32_u32_e32 v123, v108
	v_lshlrev_b32_e32 v61, 31, v61
	s_delay_alu instid0(VALU_DEP_2) | instskip(NEXT) | instid1(VALU_DEP_1)
	v_min_u32_e32 v123, 32, v123
	v_subrev_nc_u32_e32 v124, 28, v123
	v_sub_nc_u32_e32 v123, 29, v123
	s_wait_alu 0xfffd
	s_delay_alu instid0(VALU_DEP_1) | instskip(NEXT) | instid1(VALU_DEP_1)
	v_dual_cndmask_b32 v123, v125, v123 :: v_dual_lshlrev_b32 v124, v124, v108
	v_lshl_add_u32 v123, v123, 23, 0x3b800000
	s_delay_alu instid0(VALU_DEP_2) | instskip(NEXT) | instid1(VALU_DEP_1)
	v_and_b32_e32 v124, 7, v124
	v_cndmask_b32_e32 v108, v108, v124, vcc_lo
	s_delay_alu instid0(VALU_DEP_1) | instskip(NEXT) | instid1(VALU_DEP_1)
	v_lshlrev_b32_e32 v108, 20, v108
	v_or3_b32 v108, v61, v123, v108
.LBB7_910:                              ;   in Loop: Header=BB7_62 Depth=1
	s_wait_alu 0xfffe
	s_or_b32 exec_lo, exec_lo, s1
	v_and_b32_e32 v123, 0xff, v111
	s_mov_b32 s0, 0
	s_mov_b32 s1, exec_lo
	s_delay_alu instid0(VALU_DEP_1)
	v_cmpx_lt_i16_e32 0x7f, v123
	s_wait_alu 0xfffe
	s_xor_b32 s1, exec_lo, s1
	s_cbranch_execnz .LBB7_1933
; %bb.911:                              ;   in Loop: Header=BB7_62 Depth=1
	s_wait_alu 0xfffe
	s_or_saveexec_b32 s1, s1
	v_mov_b32_e32 v61, 0x7f800001
	s_wait_alu 0xfffe
	s_xor_b32 exec_lo, exec_lo, s1
	s_cbranch_execnz .LBB7_1936
.LBB7_912:                              ;   in Loop: Header=BB7_62 Depth=1
	s_or_b32 exec_lo, exec_lo, s1
	s_and_saveexec_b32 s1, s0
	s_cbranch_execz .LBB7_914
.LBB7_913:                              ;   in Loop: Header=BB7_62 Depth=1
	v_and_b32_e32 v61, 7, v111
	v_lshrrev_b16 v125, 3, v111
	v_lshrrev_b16 v111, 7, v111
	s_delay_alu instid0(VALU_DEP_3) | instskip(NEXT) | instid1(VALU_DEP_3)
	v_clz_i32_u32_e32 v123, v61
	v_and_b32_e32 v125, 15, v125
	s_delay_alu instid0(VALU_DEP_3) | instskip(NEXT) | instid1(VALU_DEP_3)
	v_lshlrev_b32_e32 v111, 31, v111
	v_min_u32_e32 v123, 32, v123
	s_delay_alu instid0(VALU_DEP_3) | instskip(NEXT) | instid1(VALU_DEP_2)
	v_cmp_eq_u16_e32 vcc_lo, 0, v125
	v_subrev_nc_u32_e32 v124, 28, v123
	v_sub_nc_u32_e32 v123, 29, v123
	s_wait_alu 0xfffd
	s_delay_alu instid0(VALU_DEP_1) | instskip(NEXT) | instid1(VALU_DEP_1)
	v_dual_cndmask_b32 v123, v125, v123 :: v_dual_lshlrev_b32 v124, v124, v61
	v_and_b32_e32 v124, 7, v124
	s_delay_alu instid0(VALU_DEP_2) | instskip(NEXT) | instid1(VALU_DEP_2)
	v_lshl_add_u32 v123, v123, 23, 0x3b800000
	v_cndmask_b32_e32 v61, v61, v124, vcc_lo
	s_delay_alu instid0(VALU_DEP_1) | instskip(NEXT) | instid1(VALU_DEP_1)
	v_lshlrev_b32_e32 v61, 20, v61
	v_or3_b32 v61, v111, v123, v61
.LBB7_914:                              ;   in Loop: Header=BB7_62 Depth=1
	s_wait_alu 0xfffe
	s_or_b32 exec_lo, exec_lo, s1
	v_and_b32_e32 v123, 0xff, v121
	s_mov_b32 s0, 0
	s_mov_b32 s1, exec_lo
	s_delay_alu instid0(VALU_DEP_1)
	v_cmpx_lt_i16_e32 0x7f, v123
	s_wait_alu 0xfffe
	s_xor_b32 s1, exec_lo, s1
	s_cbranch_execnz .LBB7_1937
; %bb.915:                              ;   in Loop: Header=BB7_62 Depth=1
	s_wait_alu 0xfffe
	s_or_saveexec_b32 s1, s1
	v_mov_b32_e32 v111, 0x7f800001
	s_wait_alu 0xfffe
	s_xor_b32 exec_lo, exec_lo, s1
	s_cbranch_execnz .LBB7_1940
.LBB7_916:                              ;   in Loop: Header=BB7_62 Depth=1
	s_or_b32 exec_lo, exec_lo, s1
	s_and_saveexec_b32 s1, s0
	s_cbranch_execz .LBB7_918
.LBB7_917:                              ;   in Loop: Header=BB7_62 Depth=1
	v_and_b32_e32 v111, 7, v121
	v_lshrrev_b16 v125, 3, v121
	v_lshrrev_b16 v121, 7, v121
	s_delay_alu instid0(VALU_DEP_3) | instskip(NEXT) | instid1(VALU_DEP_3)
	v_clz_i32_u32_e32 v123, v111
	v_and_b32_e32 v125, 15, v125
	s_delay_alu instid0(VALU_DEP_3) | instskip(NEXT) | instid1(VALU_DEP_3)
	v_lshlrev_b32_e32 v121, 31, v121
	v_min_u32_e32 v123, 32, v123
	s_delay_alu instid0(VALU_DEP_3) | instskip(NEXT) | instid1(VALU_DEP_2)
	v_cmp_eq_u16_e32 vcc_lo, 0, v125
	v_subrev_nc_u32_e32 v124, 28, v123
	v_sub_nc_u32_e32 v123, 29, v123
	s_delay_alu instid0(VALU_DEP_2) | instskip(SKIP_1) | instid1(VALU_DEP_1)
	v_lshlrev_b32_e32 v124, v124, v111
	s_wait_alu 0xfffd
	v_dual_cndmask_b32 v123, v125, v123 :: v_dual_and_b32 v124, 7, v124
	s_delay_alu instid0(VALU_DEP_1) | instskip(NEXT) | instid1(VALU_DEP_2)
	v_lshl_add_u32 v123, v123, 23, 0x3b800000
	v_cndmask_b32_e32 v111, v111, v124, vcc_lo
	s_delay_alu instid0(VALU_DEP_1) | instskip(NEXT) | instid1(VALU_DEP_1)
	v_lshlrev_b32_e32 v111, 20, v111
	v_or3_b32 v111, v121, v123, v111
.LBB7_918:                              ;   in Loop: Header=BB7_62 Depth=1
	s_wait_alu 0xfffe
	s_or_b32 exec_lo, exec_lo, s1
	s_mov_b32 s0, 0
	s_mov_b32 s1, exec_lo
	v_cmpx_lt_i16_e32 0x7f, v122
	s_wait_alu 0xfffe
	s_xor_b32 s1, exec_lo, s1
	s_cbranch_execnz .LBB7_1941
; %bb.919:                              ;   in Loop: Header=BB7_62 Depth=1
	s_wait_alu 0xfffe
	s_or_saveexec_b32 s1, s1
	v_mov_b32_e32 v121, 0x7f800001
	s_wait_alu 0xfffe
	s_xor_b32 exec_lo, exec_lo, s1
	s_cbranch_execnz .LBB7_1944
.LBB7_920:                              ;   in Loop: Header=BB7_62 Depth=1
	s_or_b32 exec_lo, exec_lo, s1
	s_and_saveexec_b32 s1, s0
	s_cbranch_execz .LBB7_922
.LBB7_921:                              ;   in Loop: Header=BB7_62 Depth=1
	v_and_b32_e32 v121, 7, v122
	v_lshrrev_b16 v125, 3, v122
	v_lshrrev_b16 v122, 7, v122
	s_delay_alu instid0(VALU_DEP_3) | instskip(NEXT) | instid1(VALU_DEP_3)
	v_clz_i32_u32_e32 v123, v121
	v_and_b32_e32 v125, 15, v125
	s_delay_alu instid0(VALU_DEP_3) | instskip(NEXT) | instid1(VALU_DEP_3)
	v_lshlrev_b32_e32 v122, 31, v122
	v_min_u32_e32 v123, 32, v123
	s_delay_alu instid0(VALU_DEP_3) | instskip(NEXT) | instid1(VALU_DEP_2)
	v_cmp_eq_u16_e32 vcc_lo, 0, v125
	v_subrev_nc_u32_e32 v124, 28, v123
	v_sub_nc_u32_e32 v123, 29, v123
	s_wait_alu 0xfffd
	s_delay_alu instid0(VALU_DEP_1) | instskip(NEXT) | instid1(VALU_DEP_1)
	v_dual_cndmask_b32 v123, v125, v123 :: v_dual_lshlrev_b32 v124, v124, v121
	v_and_b32_e32 v124, 7, v124
	s_delay_alu instid0(VALU_DEP_2) | instskip(NEXT) | instid1(VALU_DEP_2)
	v_lshl_add_u32 v123, v123, 23, 0x3b800000
	v_cndmask_b32_e32 v121, v121, v124, vcc_lo
	s_delay_alu instid0(VALU_DEP_1) | instskip(NEXT) | instid1(VALU_DEP_1)
	v_lshlrev_b32_e32 v121, 20, v121
	v_or3_b32 v121, v122, v123, v121
.LBB7_922:                              ;   in Loop: Header=BB7_62 Depth=1
	s_wait_alu 0xfffe
	s_or_b32 exec_lo, exec_lo, s1
	v_and_b32_e32 v123, 0xff, v62
	s_mov_b32 s0, 0
	s_mov_b32 s1, exec_lo
	s_delay_alu instid0(VALU_DEP_1)
	v_cmpx_lt_i16_e32 0x7f, v123
	s_wait_alu 0xfffe
	s_xor_b32 s1, exec_lo, s1
	s_cbranch_execnz .LBB7_1945
; %bb.923:                              ;   in Loop: Header=BB7_62 Depth=1
	s_wait_alu 0xfffe
	s_or_saveexec_b32 s1, s1
	v_mov_b32_e32 v122, 0x7f800001
	s_wait_alu 0xfffe
	s_xor_b32 exec_lo, exec_lo, s1
	s_cbranch_execnz .LBB7_1948
.LBB7_924:                              ;   in Loop: Header=BB7_62 Depth=1
	s_or_b32 exec_lo, exec_lo, s1
	s_and_saveexec_b32 s1, s0
	s_cbranch_execz .LBB7_926
.LBB7_925:                              ;   in Loop: Header=BB7_62 Depth=1
	v_lshrrev_b16 v125, 3, v62
	s_delay_alu instid0(VALU_DEP_1) | instskip(NEXT) | instid1(VALU_DEP_1)
	v_and_b32_e32 v125, 15, v125
	v_cmp_eq_u16_e32 vcc_lo, 0, v125
	v_and_b32_e32 v122, 7, v62
	v_lshrrev_b16 v62, 7, v62
	s_delay_alu instid0(VALU_DEP_2) | instskip(NEXT) | instid1(VALU_DEP_2)
	v_clz_i32_u32_e32 v123, v122
	v_lshlrev_b32_e32 v62, 31, v62
	s_delay_alu instid0(VALU_DEP_2) | instskip(NEXT) | instid1(VALU_DEP_1)
	v_min_u32_e32 v123, 32, v123
	v_subrev_nc_u32_e32 v124, 28, v123
	v_sub_nc_u32_e32 v123, 29, v123
	s_wait_alu 0xfffd
	s_delay_alu instid0(VALU_DEP_1) | instskip(NEXT) | instid1(VALU_DEP_1)
	v_dual_cndmask_b32 v123, v125, v123 :: v_dual_lshlrev_b32 v124, v124, v122
	v_lshl_add_u32 v123, v123, 23, 0x3b800000
	s_delay_alu instid0(VALU_DEP_2) | instskip(NEXT) | instid1(VALU_DEP_1)
	v_and_b32_e32 v124, 7, v124
	v_cndmask_b32_e32 v122, v122, v124, vcc_lo
	s_delay_alu instid0(VALU_DEP_1) | instskip(NEXT) | instid1(VALU_DEP_1)
	v_lshlrev_b32_e32 v122, 20, v122
	v_or3_b32 v122, v62, v123, v122
.LBB7_926:                              ;   in Loop: Header=BB7_62 Depth=1
	s_wait_alu 0xfffe
	s_or_b32 exec_lo, exec_lo, s1
	v_and_b32_e32 v123, 0xff, v120
	s_mov_b32 s0, 0
	s_mov_b32 s1, exec_lo
	s_delay_alu instid0(VALU_DEP_1)
	v_cmpx_lt_i16_e32 0x7f, v123
	s_wait_alu 0xfffe
	s_xor_b32 s1, exec_lo, s1
	s_cbranch_execnz .LBB7_1949
; %bb.927:                              ;   in Loop: Header=BB7_62 Depth=1
	s_wait_alu 0xfffe
	s_or_saveexec_b32 s1, s1
	v_mov_b32_e32 v62, 0x7f800001
	s_wait_alu 0xfffe
	s_xor_b32 exec_lo, exec_lo, s1
	s_cbranch_execnz .LBB7_1952
.LBB7_928:                              ;   in Loop: Header=BB7_62 Depth=1
	s_or_b32 exec_lo, exec_lo, s1
	s_and_saveexec_b32 s1, s0
	s_cbranch_execz .LBB7_930
.LBB7_929:                              ;   in Loop: Header=BB7_62 Depth=1
	v_lshrrev_b16 v125, 3, v120
	s_delay_alu instid0(VALU_DEP_1) | instskip(NEXT) | instid1(VALU_DEP_1)
	v_and_b32_e32 v125, 15, v125
	v_cmp_eq_u16_e32 vcc_lo, 0, v125
	v_and_b32_e32 v62, 7, v120
	v_lshrrev_b16 v120, 7, v120
	s_delay_alu instid0(VALU_DEP_2) | instskip(NEXT) | instid1(VALU_DEP_2)
	v_clz_i32_u32_e32 v123, v62
	v_lshlrev_b32_e32 v120, 31, v120
	s_delay_alu instid0(VALU_DEP_2) | instskip(NEXT) | instid1(VALU_DEP_1)
	v_min_u32_e32 v123, 32, v123
	v_subrev_nc_u32_e32 v124, 28, v123
	v_sub_nc_u32_e32 v123, 29, v123
	s_wait_alu 0xfffd
	s_delay_alu instid0(VALU_DEP_1) | instskip(NEXT) | instid1(VALU_DEP_1)
	v_dual_cndmask_b32 v123, v125, v123 :: v_dual_lshlrev_b32 v124, v124, v62
	v_lshl_add_u32 v123, v123, 23, 0x3b800000
	s_delay_alu instid0(VALU_DEP_2) | instskip(NEXT) | instid1(VALU_DEP_1)
	v_and_b32_e32 v124, 7, v124
	v_cndmask_b32_e32 v62, v62, v124, vcc_lo
	s_delay_alu instid0(VALU_DEP_1) | instskip(NEXT) | instid1(VALU_DEP_1)
	v_lshlrev_b32_e32 v62, 20, v62
	v_or3_b32 v62, v120, v123, v62
.LBB7_930:                              ;   in Loop: Header=BB7_62 Depth=1
	s_wait_alu 0xfffe
	s_or_b32 exec_lo, exec_lo, s1
	v_and_b32_e32 v123, 0xff, v110
	s_mov_b32 s0, 0
	s_mov_b32 s1, exec_lo
	s_delay_alu instid0(VALU_DEP_1)
	v_cmpx_lt_i16_e32 0x7f, v123
	s_wait_alu 0xfffe
	s_xor_b32 s1, exec_lo, s1
	s_cbranch_execnz .LBB7_1953
; %bb.931:                              ;   in Loop: Header=BB7_62 Depth=1
	s_wait_alu 0xfffe
	s_or_saveexec_b32 s1, s1
	v_mov_b32_e32 v120, 0x7f800001
	s_wait_alu 0xfffe
	s_xor_b32 exec_lo, exec_lo, s1
	s_cbranch_execnz .LBB7_1956
.LBB7_932:                              ;   in Loop: Header=BB7_62 Depth=1
	s_or_b32 exec_lo, exec_lo, s1
	s_and_saveexec_b32 s1, s0
	s_cbranch_execz .LBB7_934
.LBB7_933:                              ;   in Loop: Header=BB7_62 Depth=1
	v_lshrrev_b16 v125, 3, v110
	s_delay_alu instid0(VALU_DEP_1) | instskip(NEXT) | instid1(VALU_DEP_1)
	v_and_b32_e32 v125, 15, v125
	v_cmp_eq_u16_e32 vcc_lo, 0, v125
	v_and_b32_e32 v120, 7, v110
	v_lshrrev_b16 v110, 7, v110
	s_delay_alu instid0(VALU_DEP_2) | instskip(NEXT) | instid1(VALU_DEP_2)
	v_clz_i32_u32_e32 v123, v120
	v_lshlrev_b32_e32 v110, 31, v110
	s_delay_alu instid0(VALU_DEP_2) | instskip(NEXT) | instid1(VALU_DEP_1)
	v_min_u32_e32 v123, 32, v123
	v_subrev_nc_u32_e32 v124, 28, v123
	v_sub_nc_u32_e32 v123, 29, v123
	s_wait_alu 0xfffd
	s_delay_alu instid0(VALU_DEP_1) | instskip(NEXT) | instid1(VALU_DEP_1)
	v_dual_cndmask_b32 v123, v125, v123 :: v_dual_lshlrev_b32 v124, v124, v120
	v_lshl_add_u32 v123, v123, 23, 0x3b800000
	s_delay_alu instid0(VALU_DEP_2) | instskip(NEXT) | instid1(VALU_DEP_1)
	v_and_b32_e32 v124, 7, v124
	v_cndmask_b32_e32 v120, v120, v124, vcc_lo
	s_delay_alu instid0(VALU_DEP_1) | instskip(NEXT) | instid1(VALU_DEP_1)
	v_lshlrev_b32_e32 v120, 20, v120
	v_or3_b32 v120, v110, v123, v120
.LBB7_934:                              ;   in Loop: Header=BB7_62 Depth=1
	s_wait_alu 0xfffe
	s_or_b32 exec_lo, exec_lo, s1
	s_mov_b32 s0, 0
	s_mov_b32 s1, exec_lo
	v_cmpx_lt_i16_e32 0x7f, v109
	s_wait_alu 0xfffe
	s_xor_b32 s1, exec_lo, s1
	s_cbranch_execnz .LBB7_1957
; %bb.935:                              ;   in Loop: Header=BB7_62 Depth=1
	s_wait_alu 0xfffe
	s_or_saveexec_b32 s1, s1
	v_mov_b32_e32 v110, 0x7f800001
	s_wait_alu 0xfffe
	s_xor_b32 exec_lo, exec_lo, s1
	s_cbranch_execnz .LBB7_1960
.LBB7_936:                              ;   in Loop: Header=BB7_62 Depth=1
	s_or_b32 exec_lo, exec_lo, s1
	s_and_saveexec_b32 s1, s0
	s_cbranch_execz .LBB7_938
.LBB7_937:                              ;   in Loop: Header=BB7_62 Depth=1
	v_lshrrev_b16 v125, 3, v109
	s_delay_alu instid0(VALU_DEP_1) | instskip(NEXT) | instid1(VALU_DEP_1)
	v_and_b32_e32 v125, 15, v125
	v_cmp_eq_u16_e32 vcc_lo, 0, v125
	v_and_b32_e32 v110, 7, v109
	v_lshrrev_b16 v109, 7, v109
	s_delay_alu instid0(VALU_DEP_2) | instskip(NEXT) | instid1(VALU_DEP_2)
	v_clz_i32_u32_e32 v123, v110
	v_lshlrev_b32_e32 v109, 31, v109
	s_delay_alu instid0(VALU_DEP_2) | instskip(NEXT) | instid1(VALU_DEP_1)
	v_min_u32_e32 v123, 32, v123
	v_subrev_nc_u32_e32 v124, 28, v123
	v_sub_nc_u32_e32 v123, 29, v123
	s_wait_alu 0xfffd
	s_delay_alu instid0(VALU_DEP_1) | instskip(NEXT) | instid1(VALU_DEP_1)
	v_dual_cndmask_b32 v123, v125, v123 :: v_dual_lshlrev_b32 v124, v124, v110
	v_lshl_add_u32 v123, v123, 23, 0x3b800000
	s_delay_alu instid0(VALU_DEP_2) | instskip(NEXT) | instid1(VALU_DEP_1)
	v_and_b32_e32 v124, 7, v124
	v_cndmask_b32_e32 v110, v110, v124, vcc_lo
	s_delay_alu instid0(VALU_DEP_1) | instskip(NEXT) | instid1(VALU_DEP_1)
	v_lshlrev_b32_e32 v110, 20, v110
	v_or3_b32 v110, v109, v123, v110
.LBB7_938:                              ;   in Loop: Header=BB7_62 Depth=1
	s_wait_alu 0xfffe
	s_or_b32 exec_lo, exec_lo, s1
	v_and_b32_e32 v123, 0xff, v63
	s_mov_b32 s0, 0
	s_mov_b32 s1, exec_lo
	s_delay_alu instid0(VALU_DEP_1)
	v_cmpx_lt_i16_e32 0x7f, v123
	s_wait_alu 0xfffe
	s_xor_b32 s1, exec_lo, s1
	s_cbranch_execnz .LBB7_1961
; %bb.939:                              ;   in Loop: Header=BB7_62 Depth=1
	s_wait_alu 0xfffe
	s_or_saveexec_b32 s1, s1
	v_mov_b32_e32 v109, 0x7f800001
	s_wait_alu 0xfffe
	s_xor_b32 exec_lo, exec_lo, s1
	s_cbranch_execnz .LBB7_1964
.LBB7_940:                              ;   in Loop: Header=BB7_62 Depth=1
	s_or_b32 exec_lo, exec_lo, s1
	s_and_saveexec_b32 s1, s0
	s_cbranch_execz .LBB7_942
.LBB7_941:                              ;   in Loop: Header=BB7_62 Depth=1
	v_and_b32_e32 v109, 7, v63
	v_lshrrev_b16 v125, 3, v63
	v_lshrrev_b16 v63, 7, v63
	s_delay_alu instid0(VALU_DEP_3) | instskip(NEXT) | instid1(VALU_DEP_3)
	v_clz_i32_u32_e32 v123, v109
	v_and_b32_e32 v125, 15, v125
	s_delay_alu instid0(VALU_DEP_3) | instskip(NEXT) | instid1(VALU_DEP_3)
	v_lshlrev_b32_e32 v63, 31, v63
	v_min_u32_e32 v123, 32, v123
	s_delay_alu instid0(VALU_DEP_3) | instskip(NEXT) | instid1(VALU_DEP_2)
	v_cmp_eq_u16_e32 vcc_lo, 0, v125
	v_subrev_nc_u32_e32 v124, 28, v123
	v_sub_nc_u32_e32 v123, 29, v123
	s_wait_alu 0xfffd
	s_delay_alu instid0(VALU_DEP_1) | instskip(NEXT) | instid1(VALU_DEP_1)
	v_dual_cndmask_b32 v123, v125, v123 :: v_dual_lshlrev_b32 v124, v124, v109
	v_and_b32_e32 v124, 7, v124
	s_delay_alu instid0(VALU_DEP_2) | instskip(NEXT) | instid1(VALU_DEP_2)
	v_lshl_add_u32 v123, v123, 23, 0x3b800000
	v_cndmask_b32_e32 v109, v109, v124, vcc_lo
	s_delay_alu instid0(VALU_DEP_1) | instskip(NEXT) | instid1(VALU_DEP_1)
	v_lshlrev_b32_e32 v109, 20, v109
	v_or3_b32 v109, v63, v123, v109
.LBB7_942:                              ;   in Loop: Header=BB7_62 Depth=1
	s_wait_alu 0xfffe
	s_or_b32 exec_lo, exec_lo, s1
	v_and_b32_e32 v123, 0xff, v106
	s_mov_b32 s0, 0
	s_mov_b32 s1, exec_lo
	s_delay_alu instid0(VALU_DEP_1)
	v_cmpx_lt_i16_e32 0x7f, v123
	s_wait_alu 0xfffe
	s_xor_b32 s1, exec_lo, s1
	s_cbranch_execnz .LBB7_1965
; %bb.943:                              ;   in Loop: Header=BB7_62 Depth=1
	s_wait_alu 0xfffe
	s_or_saveexec_b32 s1, s1
	v_mov_b32_e32 v63, 0x7f800001
	s_wait_alu 0xfffe
	s_xor_b32 exec_lo, exec_lo, s1
	s_cbranch_execnz .LBB7_1968
.LBB7_944:                              ;   in Loop: Header=BB7_62 Depth=1
	s_or_b32 exec_lo, exec_lo, s1
	s_and_saveexec_b32 s1, s0
	s_cbranch_execz .LBB7_946
.LBB7_945:                              ;   in Loop: Header=BB7_62 Depth=1
	v_and_b32_e32 v63, 7, v106
	v_lshrrev_b16 v125, 3, v106
	v_lshrrev_b16 v106, 7, v106
	s_delay_alu instid0(VALU_DEP_3) | instskip(NEXT) | instid1(VALU_DEP_3)
	v_clz_i32_u32_e32 v123, v63
	v_and_b32_e32 v125, 15, v125
	s_delay_alu instid0(VALU_DEP_3) | instskip(NEXT) | instid1(VALU_DEP_3)
	v_lshlrev_b32_e32 v106, 31, v106
	v_min_u32_e32 v123, 32, v123
	s_delay_alu instid0(VALU_DEP_3) | instskip(NEXT) | instid1(VALU_DEP_2)
	v_cmp_eq_u16_e32 vcc_lo, 0, v125
	v_subrev_nc_u32_e32 v124, 28, v123
	v_sub_nc_u32_e32 v123, 29, v123
	s_delay_alu instid0(VALU_DEP_2) | instskip(SKIP_1) | instid1(VALU_DEP_1)
	v_lshlrev_b32_e32 v124, v124, v63
	s_wait_alu 0xfffd
	v_dual_cndmask_b32 v123, v125, v123 :: v_dual_and_b32 v124, 7, v124
	s_delay_alu instid0(VALU_DEP_1) | instskip(NEXT) | instid1(VALU_DEP_2)
	v_lshl_add_u32 v123, v123, 23, 0x3b800000
	v_cndmask_b32_e32 v63, v63, v124, vcc_lo
	s_delay_alu instid0(VALU_DEP_1) | instskip(NEXT) | instid1(VALU_DEP_1)
	v_lshlrev_b32_e32 v63, 20, v63
	v_or3_b32 v63, v106, v123, v63
.LBB7_946:                              ;   in Loop: Header=BB7_62 Depth=1
	s_wait_alu 0xfffe
	s_or_b32 exec_lo, exec_lo, s1
	v_and_b32_e32 v123, 0xff, v104
	s_mov_b32 s0, 0
	s_mov_b32 s1, exec_lo
	s_delay_alu instid0(VALU_DEP_1)
	v_cmpx_lt_i16_e32 0x7f, v123
	s_wait_alu 0xfffe
	s_xor_b32 s1, exec_lo, s1
	s_cbranch_execnz .LBB7_1969
; %bb.947:                              ;   in Loop: Header=BB7_62 Depth=1
	s_wait_alu 0xfffe
	s_or_saveexec_b32 s1, s1
	v_mov_b32_e32 v106, 0x7f800001
	s_wait_alu 0xfffe
	s_xor_b32 exec_lo, exec_lo, s1
	s_cbranch_execnz .LBB7_1972
.LBB7_948:                              ;   in Loop: Header=BB7_62 Depth=1
	s_or_b32 exec_lo, exec_lo, s1
	s_and_saveexec_b32 s1, s0
	s_cbranch_execz .LBB7_950
.LBB7_949:                              ;   in Loop: Header=BB7_62 Depth=1
	v_lshrrev_b16 v125, 3, v104
	s_delay_alu instid0(VALU_DEP_1) | instskip(NEXT) | instid1(VALU_DEP_1)
	v_and_b32_e32 v125, 15, v125
	v_cmp_eq_u16_e32 vcc_lo, 0, v125
	v_and_b32_e32 v106, 7, v104
	v_lshrrev_b16 v104, 7, v104
	s_delay_alu instid0(VALU_DEP_2) | instskip(NEXT) | instid1(VALU_DEP_2)
	v_clz_i32_u32_e32 v123, v106
	v_lshlrev_b32_e32 v104, 31, v104
	s_delay_alu instid0(VALU_DEP_2) | instskip(NEXT) | instid1(VALU_DEP_1)
	v_min_u32_e32 v123, 32, v123
	v_subrev_nc_u32_e32 v124, 28, v123
	v_sub_nc_u32_e32 v123, 29, v123
	s_wait_alu 0xfffd
	s_delay_alu instid0(VALU_DEP_1) | instskip(NEXT) | instid1(VALU_DEP_1)
	v_dual_cndmask_b32 v123, v125, v123 :: v_dual_lshlrev_b32 v124, v124, v106
	v_lshl_add_u32 v123, v123, 23, 0x3b800000
	s_delay_alu instid0(VALU_DEP_2) | instskip(NEXT) | instid1(VALU_DEP_1)
	v_and_b32_e32 v124, 7, v124
	v_cndmask_b32_e32 v106, v106, v124, vcc_lo
	s_delay_alu instid0(VALU_DEP_1) | instskip(NEXT) | instid1(VALU_DEP_1)
	v_lshlrev_b32_e32 v106, 20, v106
	v_or3_b32 v106, v104, v123, v106
.LBB7_950:                              ;   in Loop: Header=BB7_62 Depth=1
	s_wait_alu 0xfffe
	s_or_b32 exec_lo, exec_lo, s1
	s_mov_b32 s0, 0
	s_mov_b32 s1, exec_lo
	v_cmpx_lt_i16_e32 0x7f, v95
	s_wait_alu 0xfffe
	s_xor_b32 s1, exec_lo, s1
	s_cbranch_execnz .LBB7_1973
; %bb.951:                              ;   in Loop: Header=BB7_62 Depth=1
	s_wait_alu 0xfffe
	s_or_saveexec_b32 s1, s1
	v_mov_b32_e32 v104, 0x7f800001
	s_wait_alu 0xfffe
	s_xor_b32 exec_lo, exec_lo, s1
	s_cbranch_execnz .LBB7_1976
.LBB7_952:                              ;   in Loop: Header=BB7_62 Depth=1
	s_or_b32 exec_lo, exec_lo, s1
	s_and_saveexec_b32 s1, s0
	s_cbranch_execz .LBB7_954
.LBB7_953:                              ;   in Loop: Header=BB7_62 Depth=1
	v_and_b32_e32 v104, 7, v95
	v_lshrrev_b16 v125, 3, v95
	v_lshrrev_b16 v95, 7, v95
	s_delay_alu instid0(VALU_DEP_3) | instskip(NEXT) | instid1(VALU_DEP_3)
	v_clz_i32_u32_e32 v123, v104
	v_and_b32_e32 v125, 15, v125
	s_delay_alu instid0(VALU_DEP_3) | instskip(NEXT) | instid1(VALU_DEP_3)
	v_lshlrev_b32_e32 v95, 31, v95
	v_min_u32_e32 v123, 32, v123
	s_delay_alu instid0(VALU_DEP_3) | instskip(NEXT) | instid1(VALU_DEP_2)
	v_cmp_eq_u16_e32 vcc_lo, 0, v125
	v_subrev_nc_u32_e32 v124, 28, v123
	v_sub_nc_u32_e32 v123, 29, v123
	s_wait_alu 0xfffd
	s_delay_alu instid0(VALU_DEP_1) | instskip(NEXT) | instid1(VALU_DEP_1)
	v_dual_cndmask_b32 v123, v125, v123 :: v_dual_lshlrev_b32 v124, v124, v104
	v_and_b32_e32 v124, 7, v124
	s_delay_alu instid0(VALU_DEP_2) | instskip(NEXT) | instid1(VALU_DEP_2)
	v_lshl_add_u32 v123, v123, 23, 0x3b800000
	v_cndmask_b32_e32 v104, v104, v124, vcc_lo
	s_delay_alu instid0(VALU_DEP_1) | instskip(NEXT) | instid1(VALU_DEP_1)
	v_lshlrev_b32_e32 v104, 20, v104
	v_or3_b32 v104, v95, v123, v104
.LBB7_954:                              ;   in Loop: Header=BB7_62 Depth=1
	s_wait_alu 0xfffe
	s_or_b32 exec_lo, exec_lo, s1
	v_cvt_pk_rtz_f16_f32_e32 v123, v94, v60
	v_add_nc_u32_e32 v60, 0x50, v89
	v_cvt_pk_rtz_f16_f32_e32 v125, v108, v61
	v_cvt_pk_rtz_f16_f32_e32 v124, v105, v107
	v_cvt_pk_rtz_f16_f32_e32 v107, v122, v62
	v_cvt_pk_rtz_f16_f32_e32 v126, v111, v121
	v_ashrrev_i32_e32 v61, 31, v60
	v_cvt_pk_rtz_f16_f32_e32 v109, v109, v63
	v_cvt_pk_rtz_f16_f32_e32 v108, v120, v110
	;; [unrolled: 1-line block ×3, first 2 shown]
	s_clause 0x1
	scratch_store_b128 off, v[123:126], s33 offset:128
	scratch_store_b128 off, v[107:110], s33 offset:144
	v_lshrrev_b32_e32 v61, 28, v61
	s_mov_b32 s0, 0
	s_mov_b32 s1, exec_lo
	s_delay_alu instid0(VALU_DEP_1) | instskip(NEXT) | instid1(VALU_DEP_1)
	v_add_nc_u32_e32 v61, v60, v61
	v_lshrrev_b32_e32 v62, 4, v61
	v_and_b32_e32 v61, -16, v61
	s_delay_alu instid0(VALU_DEP_2) | instskip(NEXT) | instid1(VALU_DEP_2)
	v_add_nc_u32_e32 v62, v62, v91
	v_sub_nc_u32_e32 v60, v60, v61
	s_delay_alu instid0(VALU_DEP_2) | instskip(NEXT) | instid1(VALU_DEP_1)
	v_xor_b32_e32 v62, v62, v92
	v_sub_nc_u32_e32 v62, v62, v77
	s_delay_alu instid0(VALU_DEP_1) | instskip(NEXT) | instid1(VALU_DEP_1)
	v_lshlrev_b32_e32 v61, 4, v62
	v_add3_u32 v60, v60, v93, v61
	s_delay_alu instid0(VALU_DEP_1) | instskip(SKIP_2) | instid1(VALU_DEP_2)
	v_ashrrev_i32_e32 v61, 31, v60
	v_add_co_u32 v60, vcc_lo, v75, v60
	s_wait_alu 0xfffd
	v_add_co_ci_u32_e64 v61, null, v76, v61, vcc_lo
	flat_load_b128 v[60:63], v[60:61]
	s_wait_loadcnt_dscnt 0x0
	v_and_b32_e32 v94, 0xff, v60
	s_delay_alu instid0(VALU_DEP_1)
	v_cmpx_lt_i16_e32 0x7f, v94
	s_wait_alu 0xfffe
	s_xor_b32 s1, exec_lo, s1
	s_cbranch_execnz .LBB7_1977
; %bb.955:                              ;   in Loop: Header=BB7_62 Depth=1
	s_wait_alu 0xfffe
	s_or_saveexec_b32 s1, s1
	v_mov_b32_e32 v93, 0x7f800001
	s_wait_alu 0xfffe
	s_xor_b32 exec_lo, exec_lo, s1
	s_cbranch_execnz .LBB7_1980
.LBB7_956:                              ;   in Loop: Header=BB7_62 Depth=1
	s_or_b32 exec_lo, exec_lo, s1
	s_and_saveexec_b32 s1, s0
	s_cbranch_execz .LBB7_958
.LBB7_957:                              ;   in Loop: Header=BB7_62 Depth=1
	v_lshrrev_b16 v104, 3, v60
	v_lshrrev_b16 v105, 7, v60
	s_delay_alu instid0(VALU_DEP_2) | instskip(NEXT) | instid1(VALU_DEP_1)
	v_and_b32_e32 v104, 15, v104
	v_cmp_eq_u16_e32 vcc_lo, 0, v104
	v_and_b32_e32 v93, 7, v60
	s_delay_alu instid0(VALU_DEP_1) | instskip(NEXT) | instid1(VALU_DEP_1)
	v_clz_i32_u32_e32 v94, v93
	v_min_u32_e32 v94, 32, v94
	s_delay_alu instid0(VALU_DEP_1) | instskip(SKIP_2) | instid1(VALU_DEP_1)
	v_subrev_nc_u32_e32 v95, 28, v94
	v_sub_nc_u32_e32 v94, 29, v94
	s_wait_alu 0xfffd
	v_dual_cndmask_b32 v94, v104, v94 :: v_dual_lshlrev_b32 v95, v95, v93
	s_delay_alu instid0(VALU_DEP_1) | instskip(NEXT) | instid1(VALU_DEP_2)
	v_lshl_add_u32 v94, v94, 23, 0x3b800000
	v_and_b32_e32 v95, 7, v95
	s_delay_alu instid0(VALU_DEP_1) | instskip(SKIP_1) | instid1(VALU_DEP_2)
	v_cndmask_b32_e32 v93, v93, v95, vcc_lo
	v_lshlrev_b32_e32 v95, 31, v105
	v_lshlrev_b32_e32 v93, 20, v93
	s_delay_alu instid0(VALU_DEP_1)
	v_or3_b32 v93, v95, v94, v93
.LBB7_958:                              ;   in Loop: Header=BB7_62 Depth=1
	s_wait_alu 0xfffe
	s_or_b32 exec_lo, exec_lo, s1
	v_lshrrev_b32_e32 v104, 8, v60
	v_lshrrev_b32_e32 v94, 24, v63
	;; [unrolled: 1-line block ×12, first 2 shown]
	v_and_b32_e32 v122, 0xff, v104
	s_mov_b32 s0, 0
	s_mov_b32 s1, exec_lo
	s_delay_alu instid0(VALU_DEP_1)
	v_cmpx_lt_i16_e32 0x7f, v122
	s_wait_alu 0xfffe
	s_xor_b32 s1, exec_lo, s1
	s_cbranch_execnz .LBB7_1981
; %bb.959:                              ;   in Loop: Header=BB7_62 Depth=1
	s_wait_alu 0xfffe
	s_or_saveexec_b32 s1, s1
	v_mov_b32_e32 v60, 0x7f800001
	s_wait_alu 0xfffe
	s_xor_b32 exec_lo, exec_lo, s1
	s_cbranch_execnz .LBB7_1984
.LBB7_960:                              ;   in Loop: Header=BB7_62 Depth=1
	s_or_b32 exec_lo, exec_lo, s1
	s_and_saveexec_b32 s1, s0
	s_cbranch_execz .LBB7_962
.LBB7_961:                              ;   in Loop: Header=BB7_62 Depth=1
	v_and_b32_e32 v60, 7, v104
	v_lshrrev_b16 v124, 3, v104
	v_lshrrev_b16 v104, 7, v104
	s_delay_alu instid0(VALU_DEP_3) | instskip(NEXT) | instid1(VALU_DEP_3)
	v_clz_i32_u32_e32 v122, v60
	v_and_b32_e32 v124, 15, v124
	s_delay_alu instid0(VALU_DEP_3) | instskip(NEXT) | instid1(VALU_DEP_3)
	v_lshlrev_b32_e32 v104, 31, v104
	v_min_u32_e32 v122, 32, v122
	s_delay_alu instid0(VALU_DEP_3) | instskip(NEXT) | instid1(VALU_DEP_2)
	v_cmp_eq_u16_e32 vcc_lo, 0, v124
	v_subrev_nc_u32_e32 v123, 28, v122
	v_sub_nc_u32_e32 v122, 29, v122
	s_wait_alu 0xfffd
	s_delay_alu instid0(VALU_DEP_1) | instskip(NEXT) | instid1(VALU_DEP_1)
	v_dual_cndmask_b32 v122, v124, v122 :: v_dual_lshlrev_b32 v123, v123, v60
	v_and_b32_e32 v123, 7, v123
	s_delay_alu instid0(VALU_DEP_2) | instskip(NEXT) | instid1(VALU_DEP_2)
	v_lshl_add_u32 v122, v122, 23, 0x3b800000
	v_cndmask_b32_e32 v60, v60, v123, vcc_lo
	s_delay_alu instid0(VALU_DEP_1) | instskip(NEXT) | instid1(VALU_DEP_1)
	v_lshlrev_b32_e32 v60, 20, v60
	v_or3_b32 v60, v104, v122, v60
.LBB7_962:                              ;   in Loop: Header=BB7_62 Depth=1
	s_wait_alu 0xfffe
	s_or_b32 exec_lo, exec_lo, s1
	v_and_b32_e32 v122, 0xff, v106
	s_mov_b32 s0, 0
	s_mov_b32 s1, exec_lo
	s_delay_alu instid0(VALU_DEP_1)
	v_cmpx_lt_i16_e32 0x7f, v122
	s_wait_alu 0xfffe
	s_xor_b32 s1, exec_lo, s1
	s_cbranch_execnz .LBB7_1985
; %bb.963:                              ;   in Loop: Header=BB7_62 Depth=1
	s_wait_alu 0xfffe
	s_or_saveexec_b32 s1, s1
	v_mov_b32_e32 v104, 0x7f800001
	s_wait_alu 0xfffe
	s_xor_b32 exec_lo, exec_lo, s1
	s_cbranch_execnz .LBB7_1988
.LBB7_964:                              ;   in Loop: Header=BB7_62 Depth=1
	s_or_b32 exec_lo, exec_lo, s1
	s_and_saveexec_b32 s1, s0
	s_cbranch_execz .LBB7_966
.LBB7_965:                              ;   in Loop: Header=BB7_62 Depth=1
	v_and_b32_e32 v104, 7, v106
	v_lshrrev_b16 v124, 3, v106
	v_lshrrev_b16 v106, 7, v106
	s_delay_alu instid0(VALU_DEP_3) | instskip(NEXT) | instid1(VALU_DEP_3)
	v_clz_i32_u32_e32 v122, v104
	v_and_b32_e32 v124, 15, v124
	s_delay_alu instid0(VALU_DEP_3) | instskip(NEXT) | instid1(VALU_DEP_3)
	v_lshlrev_b32_e32 v106, 31, v106
	v_min_u32_e32 v122, 32, v122
	s_delay_alu instid0(VALU_DEP_3) | instskip(NEXT) | instid1(VALU_DEP_2)
	v_cmp_eq_u16_e32 vcc_lo, 0, v124
	v_subrev_nc_u32_e32 v123, 28, v122
	v_sub_nc_u32_e32 v122, 29, v122
	s_wait_alu 0xfffd
	s_delay_alu instid0(VALU_DEP_1) | instskip(NEXT) | instid1(VALU_DEP_1)
	v_dual_cndmask_b32 v122, v124, v122 :: v_dual_lshlrev_b32 v123, v123, v104
	v_and_b32_e32 v123, 7, v123
	s_delay_alu instid0(VALU_DEP_2) | instskip(NEXT) | instid1(VALU_DEP_2)
	v_lshl_add_u32 v122, v122, 23, 0x3b800000
	v_cndmask_b32_e32 v104, v104, v123, vcc_lo
	s_delay_alu instid0(VALU_DEP_1) | instskip(NEXT) | instid1(VALU_DEP_1)
	v_lshlrev_b32_e32 v104, 20, v104
	v_or3_b32 v104, v106, v122, v104
.LBB7_966:                              ;   in Loop: Header=BB7_62 Depth=1
	s_wait_alu 0xfffe
	s_or_b32 exec_lo, exec_lo, s1
	s_mov_b32 s0, 0
	s_mov_b32 s1, exec_lo
	v_cmpx_lt_i16_e32 0x7f, v107
	s_wait_alu 0xfffe
	s_xor_b32 s1, exec_lo, s1
	s_cbranch_execnz .LBB7_1989
; %bb.967:                              ;   in Loop: Header=BB7_62 Depth=1
	s_wait_alu 0xfffe
	s_or_saveexec_b32 s1, s1
	v_mov_b32_e32 v106, 0x7f800001
	s_wait_alu 0xfffe
	s_xor_b32 exec_lo, exec_lo, s1
	s_cbranch_execnz .LBB7_1992
.LBB7_968:                              ;   in Loop: Header=BB7_62 Depth=1
	s_or_b32 exec_lo, exec_lo, s1
	s_and_saveexec_b32 s1, s0
	s_cbranch_execz .LBB7_970
.LBB7_969:                              ;   in Loop: Header=BB7_62 Depth=1
	v_and_b32_e32 v106, 7, v107
	v_lshrrev_b16 v124, 3, v107
	v_lshrrev_b16 v107, 7, v107
	s_delay_alu instid0(VALU_DEP_3) | instskip(NEXT) | instid1(VALU_DEP_3)
	v_clz_i32_u32_e32 v122, v106
	v_and_b32_e32 v124, 15, v124
	s_delay_alu instid0(VALU_DEP_3) | instskip(NEXT) | instid1(VALU_DEP_3)
	v_lshlrev_b32_e32 v107, 31, v107
	v_min_u32_e32 v122, 32, v122
	s_delay_alu instid0(VALU_DEP_3) | instskip(NEXT) | instid1(VALU_DEP_2)
	v_cmp_eq_u16_e32 vcc_lo, 0, v124
	v_subrev_nc_u32_e32 v123, 28, v122
	v_sub_nc_u32_e32 v122, 29, v122
	s_delay_alu instid0(VALU_DEP_2) | instskip(SKIP_1) | instid1(VALU_DEP_1)
	v_lshlrev_b32_e32 v123, v123, v106
	s_wait_alu 0xfffd
	v_dual_cndmask_b32 v122, v124, v122 :: v_dual_and_b32 v123, 7, v123
	s_delay_alu instid0(VALU_DEP_1) | instskip(NEXT) | instid1(VALU_DEP_2)
	v_lshl_add_u32 v122, v122, 23, 0x3b800000
	v_cndmask_b32_e32 v106, v106, v123, vcc_lo
	s_delay_alu instid0(VALU_DEP_1) | instskip(NEXT) | instid1(VALU_DEP_1)
	v_lshlrev_b32_e32 v106, 20, v106
	v_or3_b32 v106, v107, v122, v106
.LBB7_970:                              ;   in Loop: Header=BB7_62 Depth=1
	s_wait_alu 0xfffe
	s_or_b32 exec_lo, exec_lo, s1
	v_and_b32_e32 v122, 0xff, v61
	s_mov_b32 s0, 0
	s_mov_b32 s1, exec_lo
	s_delay_alu instid0(VALU_DEP_1)
	v_cmpx_lt_i16_e32 0x7f, v122
	s_wait_alu 0xfffe
	s_xor_b32 s1, exec_lo, s1
	s_cbranch_execnz .LBB7_1993
; %bb.971:                              ;   in Loop: Header=BB7_62 Depth=1
	s_wait_alu 0xfffe
	s_or_saveexec_b32 s1, s1
	v_mov_b32_e32 v107, 0x7f800001
	s_wait_alu 0xfffe
	s_xor_b32 exec_lo, exec_lo, s1
	s_cbranch_execnz .LBB7_1996
.LBB7_972:                              ;   in Loop: Header=BB7_62 Depth=1
	s_or_b32 exec_lo, exec_lo, s1
	s_and_saveexec_b32 s1, s0
	s_cbranch_execz .LBB7_974
.LBB7_973:                              ;   in Loop: Header=BB7_62 Depth=1
	v_lshrrev_b16 v124, 3, v61
	s_delay_alu instid0(VALU_DEP_1) | instskip(NEXT) | instid1(VALU_DEP_1)
	v_and_b32_e32 v124, 15, v124
	v_cmp_eq_u16_e32 vcc_lo, 0, v124
	v_and_b32_e32 v107, 7, v61
	v_lshrrev_b16 v61, 7, v61
	s_delay_alu instid0(VALU_DEP_2) | instskip(NEXT) | instid1(VALU_DEP_2)
	v_clz_i32_u32_e32 v122, v107
	v_lshlrev_b32_e32 v61, 31, v61
	s_delay_alu instid0(VALU_DEP_2) | instskip(NEXT) | instid1(VALU_DEP_1)
	v_min_u32_e32 v122, 32, v122
	v_subrev_nc_u32_e32 v123, 28, v122
	v_sub_nc_u32_e32 v122, 29, v122
	s_wait_alu 0xfffd
	s_delay_alu instid0(VALU_DEP_1) | instskip(NEXT) | instid1(VALU_DEP_1)
	v_dual_cndmask_b32 v122, v124, v122 :: v_dual_lshlrev_b32 v123, v123, v107
	v_lshl_add_u32 v122, v122, 23, 0x3b800000
	s_delay_alu instid0(VALU_DEP_2) | instskip(NEXT) | instid1(VALU_DEP_1)
	v_and_b32_e32 v123, 7, v123
	v_cndmask_b32_e32 v107, v107, v123, vcc_lo
	s_delay_alu instid0(VALU_DEP_1) | instskip(NEXT) | instid1(VALU_DEP_1)
	v_lshlrev_b32_e32 v107, 20, v107
	v_or3_b32 v107, v61, v122, v107
.LBB7_974:                              ;   in Loop: Header=BB7_62 Depth=1
	s_wait_alu 0xfffe
	s_or_b32 exec_lo, exec_lo, s1
	v_and_b32_e32 v122, 0xff, v110
	s_mov_b32 s0, 0
	s_mov_b32 s1, exec_lo
	s_delay_alu instid0(VALU_DEP_1)
	v_cmpx_lt_i16_e32 0x7f, v122
	s_wait_alu 0xfffe
	s_xor_b32 s1, exec_lo, s1
	s_cbranch_execnz .LBB7_1997
; %bb.975:                              ;   in Loop: Header=BB7_62 Depth=1
	s_wait_alu 0xfffe
	s_or_saveexec_b32 s1, s1
	v_mov_b32_e32 v61, 0x7f800001
	s_wait_alu 0xfffe
	s_xor_b32 exec_lo, exec_lo, s1
	s_cbranch_execnz .LBB7_2000
.LBB7_976:                              ;   in Loop: Header=BB7_62 Depth=1
	s_or_b32 exec_lo, exec_lo, s1
	s_and_saveexec_b32 s1, s0
	s_cbranch_execz .LBB7_978
.LBB7_977:                              ;   in Loop: Header=BB7_62 Depth=1
	v_and_b32_e32 v61, 7, v110
	v_lshrrev_b16 v124, 3, v110
	v_lshrrev_b16 v110, 7, v110
	s_delay_alu instid0(VALU_DEP_3) | instskip(NEXT) | instid1(VALU_DEP_3)
	v_clz_i32_u32_e32 v122, v61
	v_and_b32_e32 v124, 15, v124
	s_delay_alu instid0(VALU_DEP_3) | instskip(NEXT) | instid1(VALU_DEP_3)
	v_lshlrev_b32_e32 v110, 31, v110
	v_min_u32_e32 v122, 32, v122
	s_delay_alu instid0(VALU_DEP_3) | instskip(NEXT) | instid1(VALU_DEP_2)
	v_cmp_eq_u16_e32 vcc_lo, 0, v124
	v_subrev_nc_u32_e32 v123, 28, v122
	v_sub_nc_u32_e32 v122, 29, v122
	s_wait_alu 0xfffd
	s_delay_alu instid0(VALU_DEP_1) | instskip(NEXT) | instid1(VALU_DEP_1)
	v_dual_cndmask_b32 v122, v124, v122 :: v_dual_lshlrev_b32 v123, v123, v61
	v_and_b32_e32 v123, 7, v123
	s_delay_alu instid0(VALU_DEP_2) | instskip(NEXT) | instid1(VALU_DEP_2)
	v_lshl_add_u32 v122, v122, 23, 0x3b800000
	v_cndmask_b32_e32 v61, v61, v123, vcc_lo
	s_delay_alu instid0(VALU_DEP_1) | instskip(NEXT) | instid1(VALU_DEP_1)
	v_lshlrev_b32_e32 v61, 20, v61
	v_or3_b32 v61, v110, v122, v61
.LBB7_978:                              ;   in Loop: Header=BB7_62 Depth=1
	s_wait_alu 0xfffe
	s_or_b32 exec_lo, exec_lo, s1
	v_and_b32_e32 v122, 0xff, v120
	s_mov_b32 s0, 0
	s_mov_b32 s1, exec_lo
	s_delay_alu instid0(VALU_DEP_1)
	v_cmpx_lt_i16_e32 0x7f, v122
	s_wait_alu 0xfffe
	s_xor_b32 s1, exec_lo, s1
	s_cbranch_execnz .LBB7_2001
; %bb.979:                              ;   in Loop: Header=BB7_62 Depth=1
	s_wait_alu 0xfffe
	s_or_saveexec_b32 s1, s1
	v_mov_b32_e32 v110, 0x7f800001
	s_wait_alu 0xfffe
	s_xor_b32 exec_lo, exec_lo, s1
	s_cbranch_execnz .LBB7_2004
.LBB7_980:                              ;   in Loop: Header=BB7_62 Depth=1
	s_or_b32 exec_lo, exec_lo, s1
	s_and_saveexec_b32 s1, s0
	s_cbranch_execz .LBB7_982
.LBB7_981:                              ;   in Loop: Header=BB7_62 Depth=1
	v_and_b32_e32 v110, 7, v120
	v_lshrrev_b16 v124, 3, v120
	v_lshrrev_b16 v120, 7, v120
	s_delay_alu instid0(VALU_DEP_3) | instskip(NEXT) | instid1(VALU_DEP_3)
	v_clz_i32_u32_e32 v122, v110
	v_and_b32_e32 v124, 15, v124
	s_delay_alu instid0(VALU_DEP_3) | instskip(NEXT) | instid1(VALU_DEP_3)
	v_lshlrev_b32_e32 v120, 31, v120
	v_min_u32_e32 v122, 32, v122
	s_delay_alu instid0(VALU_DEP_3) | instskip(NEXT) | instid1(VALU_DEP_2)
	v_cmp_eq_u16_e32 vcc_lo, 0, v124
	v_subrev_nc_u32_e32 v123, 28, v122
	v_sub_nc_u32_e32 v122, 29, v122
	s_delay_alu instid0(VALU_DEP_2) | instskip(SKIP_1) | instid1(VALU_DEP_1)
	v_lshlrev_b32_e32 v123, v123, v110
	s_wait_alu 0xfffd
	v_dual_cndmask_b32 v122, v124, v122 :: v_dual_and_b32 v123, 7, v123
	s_delay_alu instid0(VALU_DEP_1) | instskip(NEXT) | instid1(VALU_DEP_2)
	v_lshl_add_u32 v122, v122, 23, 0x3b800000
	v_cndmask_b32_e32 v110, v110, v123, vcc_lo
	s_delay_alu instid0(VALU_DEP_1) | instskip(NEXT) | instid1(VALU_DEP_1)
	v_lshlrev_b32_e32 v110, 20, v110
	v_or3_b32 v110, v120, v122, v110
.LBB7_982:                              ;   in Loop: Header=BB7_62 Depth=1
	s_wait_alu 0xfffe
	s_or_b32 exec_lo, exec_lo, s1
	s_mov_b32 s0, 0
	s_mov_b32 s1, exec_lo
	v_cmpx_lt_i16_e32 0x7f, v121
	s_wait_alu 0xfffe
	s_xor_b32 s1, exec_lo, s1
	s_cbranch_execnz .LBB7_2005
; %bb.983:                              ;   in Loop: Header=BB7_62 Depth=1
	s_wait_alu 0xfffe
	s_or_saveexec_b32 s1, s1
	v_mov_b32_e32 v120, 0x7f800001
	s_wait_alu 0xfffe
	s_xor_b32 exec_lo, exec_lo, s1
	s_cbranch_execnz .LBB7_2008
.LBB7_984:                              ;   in Loop: Header=BB7_62 Depth=1
	s_or_b32 exec_lo, exec_lo, s1
	s_and_saveexec_b32 s1, s0
	s_cbranch_execz .LBB7_986
.LBB7_985:                              ;   in Loop: Header=BB7_62 Depth=1
	v_and_b32_e32 v120, 7, v121
	v_lshrrev_b16 v124, 3, v121
	v_lshrrev_b16 v121, 7, v121
	s_delay_alu instid0(VALU_DEP_3) | instskip(NEXT) | instid1(VALU_DEP_3)
	v_clz_i32_u32_e32 v122, v120
	v_and_b32_e32 v124, 15, v124
	s_delay_alu instid0(VALU_DEP_3) | instskip(NEXT) | instid1(VALU_DEP_3)
	v_lshlrev_b32_e32 v121, 31, v121
	v_min_u32_e32 v122, 32, v122
	s_delay_alu instid0(VALU_DEP_3) | instskip(NEXT) | instid1(VALU_DEP_2)
	v_cmp_eq_u16_e32 vcc_lo, 0, v124
	v_subrev_nc_u32_e32 v123, 28, v122
	v_sub_nc_u32_e32 v122, 29, v122
	s_wait_alu 0xfffd
	s_delay_alu instid0(VALU_DEP_1) | instskip(NEXT) | instid1(VALU_DEP_1)
	v_dual_cndmask_b32 v122, v124, v122 :: v_dual_lshlrev_b32 v123, v123, v120
	v_and_b32_e32 v123, 7, v123
	s_delay_alu instid0(VALU_DEP_2) | instskip(NEXT) | instid1(VALU_DEP_2)
	v_lshl_add_u32 v122, v122, 23, 0x3b800000
	v_cndmask_b32_e32 v120, v120, v123, vcc_lo
	s_delay_alu instid0(VALU_DEP_1) | instskip(NEXT) | instid1(VALU_DEP_1)
	v_lshlrev_b32_e32 v120, 20, v120
	v_or3_b32 v120, v121, v122, v120
.LBB7_986:                              ;   in Loop: Header=BB7_62 Depth=1
	s_wait_alu 0xfffe
	s_or_b32 exec_lo, exec_lo, s1
	v_and_b32_e32 v122, 0xff, v62
	s_mov_b32 s0, 0
	s_mov_b32 s1, exec_lo
	s_delay_alu instid0(VALU_DEP_1)
	v_cmpx_lt_i16_e32 0x7f, v122
	s_wait_alu 0xfffe
	s_xor_b32 s1, exec_lo, s1
	s_cbranch_execnz .LBB7_2009
; %bb.987:                              ;   in Loop: Header=BB7_62 Depth=1
	s_wait_alu 0xfffe
	s_or_saveexec_b32 s1, s1
	v_mov_b32_e32 v121, 0x7f800001
	s_wait_alu 0xfffe
	s_xor_b32 exec_lo, exec_lo, s1
	s_cbranch_execnz .LBB7_2012
.LBB7_988:                              ;   in Loop: Header=BB7_62 Depth=1
	s_or_b32 exec_lo, exec_lo, s1
	s_and_saveexec_b32 s1, s0
	s_cbranch_execz .LBB7_990
.LBB7_989:                              ;   in Loop: Header=BB7_62 Depth=1
	v_and_b32_e32 v121, 7, v62
	v_lshrrev_b16 v124, 3, v62
	v_lshrrev_b16 v62, 7, v62
	s_delay_alu instid0(VALU_DEP_3) | instskip(NEXT) | instid1(VALU_DEP_3)
	v_clz_i32_u32_e32 v122, v121
	v_and_b32_e32 v124, 15, v124
	s_delay_alu instid0(VALU_DEP_3) | instskip(NEXT) | instid1(VALU_DEP_3)
	v_lshlrev_b32_e32 v62, 31, v62
	v_min_u32_e32 v122, 32, v122
	s_delay_alu instid0(VALU_DEP_3) | instskip(NEXT) | instid1(VALU_DEP_2)
	v_cmp_eq_u16_e32 vcc_lo, 0, v124
	v_subrev_nc_u32_e32 v123, 28, v122
	v_sub_nc_u32_e32 v122, 29, v122
	s_wait_alu 0xfffd
	s_delay_alu instid0(VALU_DEP_1) | instskip(NEXT) | instid1(VALU_DEP_1)
	v_dual_cndmask_b32 v122, v124, v122 :: v_dual_lshlrev_b32 v123, v123, v121
	v_and_b32_e32 v123, 7, v123
	s_delay_alu instid0(VALU_DEP_2) | instskip(NEXT) | instid1(VALU_DEP_2)
	v_lshl_add_u32 v122, v122, 23, 0x3b800000
	v_cndmask_b32_e32 v121, v121, v123, vcc_lo
	s_delay_alu instid0(VALU_DEP_1) | instskip(NEXT) | instid1(VALU_DEP_1)
	v_lshlrev_b32_e32 v121, 20, v121
	v_or3_b32 v121, v62, v122, v121
.LBB7_990:                              ;   in Loop: Header=BB7_62 Depth=1
	s_wait_alu 0xfffe
	s_or_b32 exec_lo, exec_lo, s1
	v_and_b32_e32 v122, 0xff, v111
	s_mov_b32 s0, 0
	s_mov_b32 s1, exec_lo
	s_delay_alu instid0(VALU_DEP_1)
	v_cmpx_lt_i16_e32 0x7f, v122
	s_wait_alu 0xfffe
	s_xor_b32 s1, exec_lo, s1
	s_cbranch_execnz .LBB7_2013
; %bb.991:                              ;   in Loop: Header=BB7_62 Depth=1
	s_wait_alu 0xfffe
	s_or_saveexec_b32 s1, s1
	v_mov_b32_e32 v62, 0x7f800001
	s_wait_alu 0xfffe
	s_xor_b32 exec_lo, exec_lo, s1
	s_cbranch_execnz .LBB7_2016
.LBB7_992:                              ;   in Loop: Header=BB7_62 Depth=1
	s_or_b32 exec_lo, exec_lo, s1
	s_and_saveexec_b32 s1, s0
	s_cbranch_execz .LBB7_994
.LBB7_993:                              ;   in Loop: Header=BB7_62 Depth=1
	v_and_b32_e32 v62, 7, v111
	v_lshrrev_b16 v124, 3, v111
	v_lshrrev_b16 v111, 7, v111
	s_delay_alu instid0(VALU_DEP_3) | instskip(NEXT) | instid1(VALU_DEP_3)
	v_clz_i32_u32_e32 v122, v62
	v_and_b32_e32 v124, 15, v124
	s_delay_alu instid0(VALU_DEP_3) | instskip(NEXT) | instid1(VALU_DEP_3)
	v_lshlrev_b32_e32 v111, 31, v111
	v_min_u32_e32 v122, 32, v122
	s_delay_alu instid0(VALU_DEP_3) | instskip(NEXT) | instid1(VALU_DEP_2)
	v_cmp_eq_u16_e32 vcc_lo, 0, v124
	v_subrev_nc_u32_e32 v123, 28, v122
	v_sub_nc_u32_e32 v122, 29, v122
	s_delay_alu instid0(VALU_DEP_2) | instskip(SKIP_1) | instid1(VALU_DEP_1)
	v_lshlrev_b32_e32 v123, v123, v62
	s_wait_alu 0xfffd
	v_dual_cndmask_b32 v122, v124, v122 :: v_dual_and_b32 v123, 7, v123
	s_delay_alu instid0(VALU_DEP_1) | instskip(NEXT) | instid1(VALU_DEP_2)
	v_lshl_add_u32 v122, v122, 23, 0x3b800000
	v_cndmask_b32_e32 v62, v62, v123, vcc_lo
	s_delay_alu instid0(VALU_DEP_1) | instskip(NEXT) | instid1(VALU_DEP_1)
	v_lshlrev_b32_e32 v62, 20, v62
	v_or3_b32 v62, v111, v122, v62
.LBB7_994:                              ;   in Loop: Header=BB7_62 Depth=1
	s_wait_alu 0xfffe
	s_or_b32 exec_lo, exec_lo, s1
	v_and_b32_e32 v122, 0xff, v109
	s_mov_b32 s0, 0
	s_mov_b32 s1, exec_lo
	s_delay_alu instid0(VALU_DEP_1)
	v_cmpx_lt_i16_e32 0x7f, v122
	s_wait_alu 0xfffe
	s_xor_b32 s1, exec_lo, s1
	s_cbranch_execnz .LBB7_2017
; %bb.995:                              ;   in Loop: Header=BB7_62 Depth=1
	s_wait_alu 0xfffe
	s_or_saveexec_b32 s1, s1
	v_mov_b32_e32 v111, 0x7f800001
	s_wait_alu 0xfffe
	s_xor_b32 exec_lo, exec_lo, s1
	s_cbranch_execnz .LBB7_2020
.LBB7_996:                              ;   in Loop: Header=BB7_62 Depth=1
	s_or_b32 exec_lo, exec_lo, s1
	s_and_saveexec_b32 s1, s0
	s_cbranch_execz .LBB7_998
.LBB7_997:                              ;   in Loop: Header=BB7_62 Depth=1
	v_lshrrev_b16 v124, 3, v109
	s_delay_alu instid0(VALU_DEP_1) | instskip(NEXT) | instid1(VALU_DEP_1)
	v_and_b32_e32 v124, 15, v124
	v_cmp_eq_u16_e32 vcc_lo, 0, v124
	v_and_b32_e32 v111, 7, v109
	v_lshrrev_b16 v109, 7, v109
	s_delay_alu instid0(VALU_DEP_2) | instskip(NEXT) | instid1(VALU_DEP_2)
	v_clz_i32_u32_e32 v122, v111
	v_lshlrev_b32_e32 v109, 31, v109
	s_delay_alu instid0(VALU_DEP_2) | instskip(NEXT) | instid1(VALU_DEP_1)
	v_min_u32_e32 v122, 32, v122
	v_subrev_nc_u32_e32 v123, 28, v122
	v_sub_nc_u32_e32 v122, 29, v122
	s_wait_alu 0xfffd
	s_delay_alu instid0(VALU_DEP_1) | instskip(NEXT) | instid1(VALU_DEP_1)
	v_dual_cndmask_b32 v122, v124, v122 :: v_dual_lshlrev_b32 v123, v123, v111
	v_lshl_add_u32 v122, v122, 23, 0x3b800000
	s_delay_alu instid0(VALU_DEP_2) | instskip(NEXT) | instid1(VALU_DEP_1)
	v_and_b32_e32 v123, 7, v123
	v_cndmask_b32_e32 v111, v111, v123, vcc_lo
	s_delay_alu instid0(VALU_DEP_1) | instskip(NEXT) | instid1(VALU_DEP_1)
	v_lshlrev_b32_e32 v111, 20, v111
	v_or3_b32 v111, v109, v122, v111
.LBB7_998:                              ;   in Loop: Header=BB7_62 Depth=1
	s_wait_alu 0xfffe
	s_or_b32 exec_lo, exec_lo, s1
	s_mov_b32 s0, 0
	s_mov_b32 s1, exec_lo
	v_cmpx_lt_i16_e32 0x7f, v108
	s_wait_alu 0xfffe
	s_xor_b32 s1, exec_lo, s1
	s_cbranch_execnz .LBB7_2021
; %bb.999:                              ;   in Loop: Header=BB7_62 Depth=1
	s_wait_alu 0xfffe
	s_or_saveexec_b32 s1, s1
	v_mov_b32_e32 v109, 0x7f800001
	s_wait_alu 0xfffe
	s_xor_b32 exec_lo, exec_lo, s1
	s_cbranch_execnz .LBB7_2024
.LBB7_1000:                             ;   in Loop: Header=BB7_62 Depth=1
	s_or_b32 exec_lo, exec_lo, s1
	s_and_saveexec_b32 s1, s0
	s_cbranch_execz .LBB7_1002
.LBB7_1001:                             ;   in Loop: Header=BB7_62 Depth=1
	v_lshrrev_b16 v124, 3, v108
	s_delay_alu instid0(VALU_DEP_1) | instskip(NEXT) | instid1(VALU_DEP_1)
	v_and_b32_e32 v124, 15, v124
	v_cmp_eq_u16_e32 vcc_lo, 0, v124
	v_and_b32_e32 v109, 7, v108
	v_lshrrev_b16 v108, 7, v108
	s_delay_alu instid0(VALU_DEP_2) | instskip(NEXT) | instid1(VALU_DEP_2)
	v_clz_i32_u32_e32 v122, v109
	v_lshlrev_b32_e32 v108, 31, v108
	s_delay_alu instid0(VALU_DEP_2) | instskip(NEXT) | instid1(VALU_DEP_1)
	v_min_u32_e32 v122, 32, v122
	v_subrev_nc_u32_e32 v123, 28, v122
	v_sub_nc_u32_e32 v122, 29, v122
	s_wait_alu 0xfffd
	s_delay_alu instid0(VALU_DEP_1) | instskip(NEXT) | instid1(VALU_DEP_1)
	v_dual_cndmask_b32 v122, v124, v122 :: v_dual_lshlrev_b32 v123, v123, v109
	v_lshl_add_u32 v122, v122, 23, 0x3b800000
	s_delay_alu instid0(VALU_DEP_2) | instskip(NEXT) | instid1(VALU_DEP_1)
	v_and_b32_e32 v123, 7, v123
	v_cndmask_b32_e32 v109, v109, v123, vcc_lo
	s_delay_alu instid0(VALU_DEP_1) | instskip(NEXT) | instid1(VALU_DEP_1)
	v_lshlrev_b32_e32 v109, 20, v109
	v_or3_b32 v109, v108, v122, v109
.LBB7_1002:                             ;   in Loop: Header=BB7_62 Depth=1
	s_wait_alu 0xfffe
	s_or_b32 exec_lo, exec_lo, s1
	v_and_b32_e32 v122, 0xff, v63
	s_mov_b32 s0, 0
	s_mov_b32 s1, exec_lo
	s_delay_alu instid0(VALU_DEP_1)
	v_cmpx_lt_i16_e32 0x7f, v122
	s_wait_alu 0xfffe
	s_xor_b32 s1, exec_lo, s1
	s_cbranch_execnz .LBB7_2025
; %bb.1003:                             ;   in Loop: Header=BB7_62 Depth=1
	s_wait_alu 0xfffe
	s_or_saveexec_b32 s1, s1
	v_mov_b32_e32 v108, 0x7f800001
	s_wait_alu 0xfffe
	s_xor_b32 exec_lo, exec_lo, s1
	s_cbranch_execnz .LBB7_2028
.LBB7_1004:                             ;   in Loop: Header=BB7_62 Depth=1
	s_or_b32 exec_lo, exec_lo, s1
	s_and_saveexec_b32 s1, s0
	s_cbranch_execz .LBB7_1006
.LBB7_1005:                             ;   in Loop: Header=BB7_62 Depth=1
	v_and_b32_e32 v108, 7, v63
	v_lshrrev_b16 v124, 3, v63
	v_lshrrev_b16 v63, 7, v63
	s_delay_alu instid0(VALU_DEP_3) | instskip(NEXT) | instid1(VALU_DEP_3)
	v_clz_i32_u32_e32 v122, v108
	v_and_b32_e32 v124, 15, v124
	s_delay_alu instid0(VALU_DEP_3) | instskip(NEXT) | instid1(VALU_DEP_3)
	v_lshlrev_b32_e32 v63, 31, v63
	v_min_u32_e32 v122, 32, v122
	s_delay_alu instid0(VALU_DEP_3) | instskip(NEXT) | instid1(VALU_DEP_2)
	v_cmp_eq_u16_e32 vcc_lo, 0, v124
	v_subrev_nc_u32_e32 v123, 28, v122
	v_sub_nc_u32_e32 v122, 29, v122
	s_wait_alu 0xfffd
	s_delay_alu instid0(VALU_DEP_1) | instskip(NEXT) | instid1(VALU_DEP_1)
	v_dual_cndmask_b32 v122, v124, v122 :: v_dual_lshlrev_b32 v123, v123, v108
	v_and_b32_e32 v123, 7, v123
	s_delay_alu instid0(VALU_DEP_2) | instskip(NEXT) | instid1(VALU_DEP_2)
	v_lshl_add_u32 v122, v122, 23, 0x3b800000
	v_cndmask_b32_e32 v108, v108, v123, vcc_lo
	s_delay_alu instid0(VALU_DEP_1) | instskip(NEXT) | instid1(VALU_DEP_1)
	v_lshlrev_b32_e32 v108, 20, v108
	v_or3_b32 v108, v63, v122, v108
.LBB7_1006:                             ;   in Loop: Header=BB7_62 Depth=1
	s_wait_alu 0xfffe
	s_or_b32 exec_lo, exec_lo, s1
	v_and_b32_e32 v122, 0xff, v105
	s_mov_b32 s0, 0
	s_mov_b32 s1, exec_lo
	s_delay_alu instid0(VALU_DEP_1)
	v_cmpx_lt_i16_e32 0x7f, v122
	s_wait_alu 0xfffe
	s_xor_b32 s1, exec_lo, s1
	s_cbranch_execnz .LBB7_2029
; %bb.1007:                             ;   in Loop: Header=BB7_62 Depth=1
	s_wait_alu 0xfffe
	s_or_saveexec_b32 s1, s1
	v_mov_b32_e32 v63, 0x7f800001
	s_wait_alu 0xfffe
	s_xor_b32 exec_lo, exec_lo, s1
	s_cbranch_execnz .LBB7_2032
.LBB7_1008:                             ;   in Loop: Header=BB7_62 Depth=1
	s_or_b32 exec_lo, exec_lo, s1
	s_and_saveexec_b32 s1, s0
	s_cbranch_execz .LBB7_1010
.LBB7_1009:                             ;   in Loop: Header=BB7_62 Depth=1
	v_lshrrev_b16 v124, 3, v105
	s_delay_alu instid0(VALU_DEP_1) | instskip(NEXT) | instid1(VALU_DEP_1)
	v_and_b32_e32 v124, 15, v124
	v_cmp_eq_u16_e32 vcc_lo, 0, v124
	v_and_b32_e32 v63, 7, v105
	v_lshrrev_b16 v105, 7, v105
	s_delay_alu instid0(VALU_DEP_2) | instskip(NEXT) | instid1(VALU_DEP_2)
	v_clz_i32_u32_e32 v122, v63
	v_lshlrev_b32_e32 v105, 31, v105
	s_delay_alu instid0(VALU_DEP_2) | instskip(NEXT) | instid1(VALU_DEP_1)
	v_min_u32_e32 v122, 32, v122
	v_subrev_nc_u32_e32 v123, 28, v122
	v_sub_nc_u32_e32 v122, 29, v122
	s_wait_alu 0xfffd
	s_delay_alu instid0(VALU_DEP_1) | instskip(NEXT) | instid1(VALU_DEP_1)
	v_dual_cndmask_b32 v122, v124, v122 :: v_dual_lshlrev_b32 v123, v123, v63
	v_lshl_add_u32 v122, v122, 23, 0x3b800000
	s_delay_alu instid0(VALU_DEP_2) | instskip(NEXT) | instid1(VALU_DEP_1)
	v_and_b32_e32 v123, 7, v123
	v_cndmask_b32_e32 v63, v63, v123, vcc_lo
	s_delay_alu instid0(VALU_DEP_1) | instskip(NEXT) | instid1(VALU_DEP_1)
	v_lshlrev_b32_e32 v63, 20, v63
	v_or3_b32 v63, v105, v122, v63
.LBB7_1010:                             ;   in Loop: Header=BB7_62 Depth=1
	s_wait_alu 0xfffe
	s_or_b32 exec_lo, exec_lo, s1
	v_and_b32_e32 v122, 0xff, v95
	s_mov_b32 s0, 0
	s_mov_b32 s1, exec_lo
	s_delay_alu instid0(VALU_DEP_1)
	v_cmpx_lt_i16_e32 0x7f, v122
	s_wait_alu 0xfffe
	s_xor_b32 s1, exec_lo, s1
	s_cbranch_execnz .LBB7_2033
; %bb.1011:                             ;   in Loop: Header=BB7_62 Depth=1
	s_wait_alu 0xfffe
	s_or_saveexec_b32 s1, s1
	v_mov_b32_e32 v105, 0x7f800001
	s_wait_alu 0xfffe
	s_xor_b32 exec_lo, exec_lo, s1
	s_cbranch_execnz .LBB7_2036
.LBB7_1012:                             ;   in Loop: Header=BB7_62 Depth=1
	s_or_b32 exec_lo, exec_lo, s1
	s_and_saveexec_b32 s1, s0
	s_cbranch_execz .LBB7_1014
.LBB7_1013:                             ;   in Loop: Header=BB7_62 Depth=1
	v_lshrrev_b16 v124, 3, v95
	s_delay_alu instid0(VALU_DEP_1) | instskip(NEXT) | instid1(VALU_DEP_1)
	v_and_b32_e32 v124, 15, v124
	v_cmp_eq_u16_e32 vcc_lo, 0, v124
	v_and_b32_e32 v105, 7, v95
	v_lshrrev_b16 v95, 7, v95
	s_delay_alu instid0(VALU_DEP_2) | instskip(NEXT) | instid1(VALU_DEP_2)
	v_clz_i32_u32_e32 v122, v105
	v_lshlrev_b32_e32 v95, 31, v95
	s_delay_alu instid0(VALU_DEP_2) | instskip(NEXT) | instid1(VALU_DEP_1)
	v_min_u32_e32 v122, 32, v122
	v_subrev_nc_u32_e32 v123, 28, v122
	v_sub_nc_u32_e32 v122, 29, v122
	s_wait_alu 0xfffd
	s_delay_alu instid0(VALU_DEP_1) | instskip(NEXT) | instid1(VALU_DEP_1)
	v_dual_cndmask_b32 v122, v124, v122 :: v_dual_lshlrev_b32 v123, v123, v105
	v_lshl_add_u32 v122, v122, 23, 0x3b800000
	s_delay_alu instid0(VALU_DEP_2) | instskip(NEXT) | instid1(VALU_DEP_1)
	v_and_b32_e32 v123, 7, v123
	v_cndmask_b32_e32 v105, v105, v123, vcc_lo
	s_delay_alu instid0(VALU_DEP_1) | instskip(NEXT) | instid1(VALU_DEP_1)
	v_lshlrev_b32_e32 v105, 20, v105
	v_or3_b32 v105, v95, v122, v105
.LBB7_1014:                             ;   in Loop: Header=BB7_62 Depth=1
	s_wait_alu 0xfffe
	s_or_b32 exec_lo, exec_lo, s1
	s_mov_b32 s0, 0
	s_mov_b32 s1, exec_lo
	v_cmpx_lt_i16_e32 0x7f, v94
	s_wait_alu 0xfffe
	s_xor_b32 s1, exec_lo, s1
	s_cbranch_execnz .LBB7_2037
; %bb.1015:                             ;   in Loop: Header=BB7_62 Depth=1
	s_wait_alu 0xfffe
	s_or_saveexec_b32 s1, s1
	v_mov_b32_e32 v95, 0x7f800001
	s_wait_alu 0xfffe
	s_xor_b32 exec_lo, exec_lo, s1
	s_cbranch_execnz .LBB7_2040
.LBB7_1016:                             ;   in Loop: Header=BB7_62 Depth=1
	s_or_b32 exec_lo, exec_lo, s1
	s_and_saveexec_b32 s1, s0
	s_cbranch_execz .LBB7_1018
.LBB7_1017:                             ;   in Loop: Header=BB7_62 Depth=1
	v_and_b32_e32 v95, 7, v94
	v_lshrrev_b16 v124, 3, v94
	v_lshrrev_b16 v94, 7, v94
	s_delay_alu instid0(VALU_DEP_3) | instskip(NEXT) | instid1(VALU_DEP_3)
	v_clz_i32_u32_e32 v122, v95
	v_and_b32_e32 v124, 15, v124
	s_delay_alu instid0(VALU_DEP_3) | instskip(NEXT) | instid1(VALU_DEP_3)
	v_lshlrev_b32_e32 v94, 31, v94
	v_min_u32_e32 v122, 32, v122
	s_delay_alu instid0(VALU_DEP_3) | instskip(NEXT) | instid1(VALU_DEP_2)
	v_cmp_eq_u16_e32 vcc_lo, 0, v124
	v_subrev_nc_u32_e32 v123, 28, v122
	v_sub_nc_u32_e32 v122, 29, v122
	s_wait_alu 0xfffd
	s_delay_alu instid0(VALU_DEP_1) | instskip(NEXT) | instid1(VALU_DEP_1)
	v_dual_cndmask_b32 v122, v124, v122 :: v_dual_lshlrev_b32 v123, v123, v95
	v_and_b32_e32 v123, 7, v123
	s_delay_alu instid0(VALU_DEP_2) | instskip(NEXT) | instid1(VALU_DEP_2)
	v_lshl_add_u32 v122, v122, 23, 0x3b800000
	v_cndmask_b32_e32 v95, v95, v123, vcc_lo
	s_delay_alu instid0(VALU_DEP_1) | instskip(NEXT) | instid1(VALU_DEP_1)
	v_lshlrev_b32_e32 v95, 20, v95
	v_or3_b32 v95, v94, v122, v95
.LBB7_1018:                             ;   in Loop: Header=BB7_62 Depth=1
	s_wait_alu 0xfffe
	s_or_b32 exec_lo, exec_lo, s1
	v_cvt_pk_rtz_f16_f32_e32 v122, v93, v60
	v_cvt_pk_rtz_f16_f32_e32 v123, v104, v106
	;; [unrolled: 1-line block ×8, first 2 shown]
	s_clause 0x1
	scratch_store_b128 off, v[122:125], s33 offset:160
	scratch_store_b128 off, v[106:109], s33 offset:176
	flat_load_b32 v60, v[182:183]
	v_add_nc_u32_e32 v61, 0x60, v89
	v_sub_nc_u32_e32 v78, v78, v88
	s_mov_b32 s0, 0
	s_mov_b32 s1, exec_lo
	s_delay_alu instid0(VALU_DEP_2) | instskip(NEXT) | instid1(VALU_DEP_1)
	v_ashrrev_i32_e32 v62, 31, v61
	v_lshrrev_b32_e32 v62, 28, v62
	s_delay_alu instid0(VALU_DEP_1) | instskip(NEXT) | instid1(VALU_DEP_1)
	v_add_nc_u32_e32 v62, v61, v62
	v_lshrrev_b32_e32 v63, 4, v62
	v_and_b32_e32 v62, -16, v62
	s_delay_alu instid0(VALU_DEP_2) | instskip(NEXT) | instid1(VALU_DEP_2)
	v_add_nc_u32_e32 v63, v63, v91
	v_sub_nc_u32_e32 v61, v61, v62
	s_delay_alu instid0(VALU_DEP_2) | instskip(NEXT) | instid1(VALU_DEP_1)
	v_xor_b32_e32 v63, v63, v92
	v_sub_nc_u32_e32 v63, v63, v77
	s_delay_alu instid0(VALU_DEP_1) | instskip(SKIP_2) | instid1(VALU_DEP_1)
	v_lshlrev_b32_e32 v62, 4, v63
	s_wait_loadcnt_dscnt 0x0
	v_add_nc_u32_e32 v78, v78, v60
	v_add3_u32 v60, v62, v61, v78
	s_delay_alu instid0(VALU_DEP_1) | instskip(SKIP_2) | instid1(VALU_DEP_2)
	v_ashrrev_i32_e32 v61, 31, v60
	v_add_co_u32 v60, vcc_lo, v75, v60
	s_wait_alu 0xfffd
	v_add_co_ci_u32_e64 v61, null, v76, v61, vcc_lo
	flat_load_b128 v[60:63], v[60:61]
	s_wait_loadcnt_dscnt 0x0
	v_and_b32_e32 v76, 0xff, v60
	s_delay_alu instid0(VALU_DEP_1)
	v_cmpx_lt_i16_e32 0x7f, v76
	s_wait_alu 0xfffe
	s_xor_b32 s1, exec_lo, s1
	s_cbranch_execnz .LBB7_2041
; %bb.1019:                             ;   in Loop: Header=BB7_62 Depth=1
	s_wait_alu 0xfffe
	s_or_saveexec_b32 s1, s1
	v_mov_b32_e32 v75, 0x7f800001
	s_wait_alu 0xfffe
	s_xor_b32 exec_lo, exec_lo, s1
	s_cbranch_execnz .LBB7_2044
.LBB7_1020:                             ;   in Loop: Header=BB7_62 Depth=1
	s_or_b32 exec_lo, exec_lo, s1
	s_and_saveexec_b32 s1, s0
	s_cbranch_execz .LBB7_1022
.LBB7_1021:                             ;   in Loop: Header=BB7_62 Depth=1
	v_and_b32_e32 v75, 7, v60
	v_lshrrev_b16 v93, 3, v60
	v_lshrrev_b16 v94, 7, v60
	s_delay_alu instid0(VALU_DEP_3) | instskip(NEXT) | instid1(VALU_DEP_3)
	v_clz_i32_u32_e32 v76, v75
	v_and_b32_e32 v93, 15, v93
	s_delay_alu instid0(VALU_DEP_2) | instskip(NEXT) | instid1(VALU_DEP_2)
	v_min_u32_e32 v76, 32, v76
	v_cmp_eq_u16_e32 vcc_lo, 0, v93
	s_delay_alu instid0(VALU_DEP_2) | instskip(SKIP_1) | instid1(VALU_DEP_2)
	v_subrev_nc_u32_e32 v88, 28, v76
	v_sub_nc_u32_e32 v76, 29, v76
	v_lshlrev_b32_e32 v88, v88, v75
	s_delay_alu instid0(VALU_DEP_1) | instskip(SKIP_1) | instid1(VALU_DEP_1)
	v_and_b32_e32 v88, 7, v88
	s_wait_alu 0xfffd
	v_dual_cndmask_b32 v75, v75, v88 :: v_dual_lshlrev_b32 v88, 31, v94
	s_delay_alu instid0(VALU_DEP_1) | instskip(NEXT) | instid1(VALU_DEP_1)
	v_dual_cndmask_b32 v76, v93, v76 :: v_dual_lshlrev_b32 v75, 20, v75
	v_lshl_add_u32 v76, v76, 23, 0x3b800000
	s_delay_alu instid0(VALU_DEP_1)
	v_or3_b32 v75, v88, v76, v75
.LBB7_1022:                             ;   in Loop: Header=BB7_62 Depth=1
	s_wait_alu 0xfffe
	s_or_b32 exec_lo, exec_lo, s1
	v_lshrrev_b32_e32 v93, 8, v60
	v_lshrrev_b32_e32 v76, 24, v63
	v_lshrrev_b32_e32 v88, 16, v63
	v_lshrrev_b32_e32 v94, 8, v63
	v_lshrrev_b32_e32 v105, 24, v62
	v_lshrrev_b32_e32 v106, 16, v62
	v_lshrrev_b32_e32 v108, 8, v62
	v_lshrrev_b32_e32 v110, 24, v61
	v_lshrrev_b32_e32 v109, 16, v61
	v_lshrrev_b32_e32 v107, 8, v61
	v_lshrrev_b32_e32 v104, 24, v60
	v_lshrrev_b32_e32 v95, 16, v60
	v_and_b32_e32 v111, 0xff, v93
	s_mov_b32 s0, 0
	s_mov_b32 s1, exec_lo
	s_delay_alu instid0(VALU_DEP_1)
	v_cmpx_lt_i16_e32 0x7f, v111
	s_wait_alu 0xfffe
	s_xor_b32 s1, exec_lo, s1
	s_cbranch_execnz .LBB7_2045
; %bb.1023:                             ;   in Loop: Header=BB7_62 Depth=1
	s_wait_alu 0xfffe
	s_or_saveexec_b32 s1, s1
	v_mov_b32_e32 v60, 0x7f800001
	s_wait_alu 0xfffe
	s_xor_b32 exec_lo, exec_lo, s1
	s_cbranch_execnz .LBB7_2048
.LBB7_1024:                             ;   in Loop: Header=BB7_62 Depth=1
	s_or_b32 exec_lo, exec_lo, s1
	s_and_saveexec_b32 s1, s0
	s_cbranch_execz .LBB7_1026
.LBB7_1025:                             ;   in Loop: Header=BB7_62 Depth=1
	v_lshrrev_b16 v121, 3, v93
	s_delay_alu instid0(VALU_DEP_1) | instskip(NEXT) | instid1(VALU_DEP_1)
	v_and_b32_e32 v121, 15, v121
	v_cmp_eq_u16_e32 vcc_lo, 0, v121
	v_and_b32_e32 v60, 7, v93
	v_lshrrev_b16 v93, 7, v93
	s_delay_alu instid0(VALU_DEP_2) | instskip(NEXT) | instid1(VALU_DEP_2)
	v_clz_i32_u32_e32 v111, v60
	v_lshlrev_b32_e32 v93, 31, v93
	s_delay_alu instid0(VALU_DEP_2) | instskip(NEXT) | instid1(VALU_DEP_1)
	v_min_u32_e32 v111, 32, v111
	v_subrev_nc_u32_e32 v120, 28, v111
	v_sub_nc_u32_e32 v111, 29, v111
	s_wait_alu 0xfffd
	s_delay_alu instid0(VALU_DEP_1) | instskip(NEXT) | instid1(VALU_DEP_1)
	v_dual_cndmask_b32 v111, v121, v111 :: v_dual_lshlrev_b32 v120, v120, v60
	v_lshl_add_u32 v111, v111, 23, 0x3b800000
	s_delay_alu instid0(VALU_DEP_2) | instskip(NEXT) | instid1(VALU_DEP_1)
	v_and_b32_e32 v120, 7, v120
	v_cndmask_b32_e32 v60, v60, v120, vcc_lo
	s_delay_alu instid0(VALU_DEP_1) | instskip(NEXT) | instid1(VALU_DEP_1)
	v_lshlrev_b32_e32 v60, 20, v60
	v_or3_b32 v60, v93, v111, v60
.LBB7_1026:                             ;   in Loop: Header=BB7_62 Depth=1
	s_wait_alu 0xfffe
	s_or_b32 exec_lo, exec_lo, s1
	v_and_b32_e32 v111, 0xff, v95
	s_mov_b32 s0, 0
	s_mov_b32 s1, exec_lo
	s_delay_alu instid0(VALU_DEP_1)
	v_cmpx_lt_i16_e32 0x7f, v111
	s_wait_alu 0xfffe
	s_xor_b32 s1, exec_lo, s1
	s_cbranch_execnz .LBB7_2049
; %bb.1027:                             ;   in Loop: Header=BB7_62 Depth=1
	s_wait_alu 0xfffe
	s_or_saveexec_b32 s1, s1
	v_mov_b32_e32 v93, 0x7f800001
	s_wait_alu 0xfffe
	s_xor_b32 exec_lo, exec_lo, s1
	s_cbranch_execnz .LBB7_2052
.LBB7_1028:                             ;   in Loop: Header=BB7_62 Depth=1
	s_or_b32 exec_lo, exec_lo, s1
	s_and_saveexec_b32 s1, s0
	s_cbranch_execz .LBB7_1030
.LBB7_1029:                             ;   in Loop: Header=BB7_62 Depth=1
	v_and_b32_e32 v93, 7, v95
	v_lshrrev_b16 v121, 3, v95
	v_lshrrev_b16 v95, 7, v95
	s_delay_alu instid0(VALU_DEP_3) | instskip(NEXT) | instid1(VALU_DEP_3)
	v_clz_i32_u32_e32 v111, v93
	v_and_b32_e32 v121, 15, v121
	s_delay_alu instid0(VALU_DEP_3) | instskip(NEXT) | instid1(VALU_DEP_3)
	v_lshlrev_b32_e32 v95, 31, v95
	v_min_u32_e32 v111, 32, v111
	s_delay_alu instid0(VALU_DEP_3) | instskip(NEXT) | instid1(VALU_DEP_2)
	v_cmp_eq_u16_e32 vcc_lo, 0, v121
	v_subrev_nc_u32_e32 v120, 28, v111
	v_sub_nc_u32_e32 v111, 29, v111
	s_wait_alu 0xfffd
	s_delay_alu instid0(VALU_DEP_1) | instskip(NEXT) | instid1(VALU_DEP_1)
	v_dual_cndmask_b32 v111, v121, v111 :: v_dual_lshlrev_b32 v120, v120, v93
	v_and_b32_e32 v120, 7, v120
	s_delay_alu instid0(VALU_DEP_2) | instskip(NEXT) | instid1(VALU_DEP_2)
	v_lshl_add_u32 v111, v111, 23, 0x3b800000
	v_cndmask_b32_e32 v93, v93, v120, vcc_lo
	s_delay_alu instid0(VALU_DEP_1) | instskip(NEXT) | instid1(VALU_DEP_1)
	v_lshlrev_b32_e32 v93, 20, v93
	v_or3_b32 v93, v95, v111, v93
.LBB7_1030:                             ;   in Loop: Header=BB7_62 Depth=1
	s_wait_alu 0xfffe
	s_or_b32 exec_lo, exec_lo, s1
	s_mov_b32 s0, 0
	s_mov_b32 s1, exec_lo
	v_cmpx_lt_i16_e32 0x7f, v104
	s_wait_alu 0xfffe
	s_xor_b32 s1, exec_lo, s1
	s_cbranch_execnz .LBB7_2053
; %bb.1031:                             ;   in Loop: Header=BB7_62 Depth=1
	s_wait_alu 0xfffe
	s_or_saveexec_b32 s1, s1
	v_mov_b32_e32 v95, 0x7f800001
	s_wait_alu 0xfffe
	s_xor_b32 exec_lo, exec_lo, s1
	s_cbranch_execnz .LBB7_2056
.LBB7_1032:                             ;   in Loop: Header=BB7_62 Depth=1
	s_or_b32 exec_lo, exec_lo, s1
	s_and_saveexec_b32 s1, s0
	s_cbranch_execz .LBB7_1034
.LBB7_1033:                             ;   in Loop: Header=BB7_62 Depth=1
	v_and_b32_e32 v95, 7, v104
	v_lshrrev_b16 v121, 3, v104
	v_lshrrev_b16 v104, 7, v104
	s_delay_alu instid0(VALU_DEP_3) | instskip(NEXT) | instid1(VALU_DEP_3)
	v_clz_i32_u32_e32 v111, v95
	v_and_b32_e32 v121, 15, v121
	s_delay_alu instid0(VALU_DEP_3) | instskip(NEXT) | instid1(VALU_DEP_3)
	v_lshlrev_b32_e32 v104, 31, v104
	v_min_u32_e32 v111, 32, v111
	s_delay_alu instid0(VALU_DEP_3) | instskip(NEXT) | instid1(VALU_DEP_2)
	v_cmp_eq_u16_e32 vcc_lo, 0, v121
	v_subrev_nc_u32_e32 v120, 28, v111
	v_sub_nc_u32_e32 v111, 29, v111
	s_delay_alu instid0(VALU_DEP_2) | instskip(SKIP_1) | instid1(VALU_DEP_1)
	v_lshlrev_b32_e32 v120, v120, v95
	s_wait_alu 0xfffd
	v_dual_cndmask_b32 v111, v121, v111 :: v_dual_and_b32 v120, 7, v120
	s_delay_alu instid0(VALU_DEP_1) | instskip(NEXT) | instid1(VALU_DEP_2)
	v_lshl_add_u32 v111, v111, 23, 0x3b800000
	v_cndmask_b32_e32 v95, v95, v120, vcc_lo
	s_delay_alu instid0(VALU_DEP_1) | instskip(NEXT) | instid1(VALU_DEP_1)
	v_lshlrev_b32_e32 v95, 20, v95
	v_or3_b32 v95, v104, v111, v95
.LBB7_1034:                             ;   in Loop: Header=BB7_62 Depth=1
	s_wait_alu 0xfffe
	s_or_b32 exec_lo, exec_lo, s1
	v_and_b32_e32 v111, 0xff, v61
	s_mov_b32 s0, 0
	s_mov_b32 s1, exec_lo
	s_delay_alu instid0(VALU_DEP_1)
	v_cmpx_lt_i16_e32 0x7f, v111
	s_wait_alu 0xfffe
	s_xor_b32 s1, exec_lo, s1
	s_cbranch_execnz .LBB7_2057
; %bb.1035:                             ;   in Loop: Header=BB7_62 Depth=1
	s_wait_alu 0xfffe
	s_or_saveexec_b32 s1, s1
	v_mov_b32_e32 v104, 0x7f800001
	s_wait_alu 0xfffe
	s_xor_b32 exec_lo, exec_lo, s1
	s_cbranch_execnz .LBB7_2060
.LBB7_1036:                             ;   in Loop: Header=BB7_62 Depth=1
	s_or_b32 exec_lo, exec_lo, s1
	s_and_saveexec_b32 s1, s0
	s_cbranch_execz .LBB7_1038
.LBB7_1037:                             ;   in Loop: Header=BB7_62 Depth=1
	v_lshrrev_b16 v121, 3, v61
	s_delay_alu instid0(VALU_DEP_1) | instskip(NEXT) | instid1(VALU_DEP_1)
	v_and_b32_e32 v121, 15, v121
	v_cmp_eq_u16_e32 vcc_lo, 0, v121
	v_and_b32_e32 v104, 7, v61
	v_lshrrev_b16 v61, 7, v61
	s_delay_alu instid0(VALU_DEP_2) | instskip(NEXT) | instid1(VALU_DEP_2)
	v_clz_i32_u32_e32 v111, v104
	v_lshlrev_b32_e32 v61, 31, v61
	s_delay_alu instid0(VALU_DEP_2) | instskip(NEXT) | instid1(VALU_DEP_1)
	v_min_u32_e32 v111, 32, v111
	v_subrev_nc_u32_e32 v120, 28, v111
	v_sub_nc_u32_e32 v111, 29, v111
	s_wait_alu 0xfffd
	s_delay_alu instid0(VALU_DEP_1) | instskip(NEXT) | instid1(VALU_DEP_1)
	v_dual_cndmask_b32 v111, v121, v111 :: v_dual_lshlrev_b32 v120, v120, v104
	v_lshl_add_u32 v111, v111, 23, 0x3b800000
	s_delay_alu instid0(VALU_DEP_2) | instskip(NEXT) | instid1(VALU_DEP_1)
	v_and_b32_e32 v120, 7, v120
	v_cndmask_b32_e32 v104, v104, v120, vcc_lo
	s_delay_alu instid0(VALU_DEP_1) | instskip(NEXT) | instid1(VALU_DEP_1)
	v_lshlrev_b32_e32 v104, 20, v104
	v_or3_b32 v104, v61, v111, v104
.LBB7_1038:                             ;   in Loop: Header=BB7_62 Depth=1
	s_wait_alu 0xfffe
	s_or_b32 exec_lo, exec_lo, s1
	v_and_b32_e32 v111, 0xff, v107
	s_mov_b32 s0, 0
	s_mov_b32 s1, exec_lo
	s_delay_alu instid0(VALU_DEP_1)
	v_cmpx_lt_i16_e32 0x7f, v111
	s_wait_alu 0xfffe
	s_xor_b32 s1, exec_lo, s1
	s_cbranch_execnz .LBB7_2061
; %bb.1039:                             ;   in Loop: Header=BB7_62 Depth=1
	s_wait_alu 0xfffe
	s_or_saveexec_b32 s1, s1
	v_mov_b32_e32 v61, 0x7f800001
	s_wait_alu 0xfffe
	s_xor_b32 exec_lo, exec_lo, s1
	s_cbranch_execnz .LBB7_2064
.LBB7_1040:                             ;   in Loop: Header=BB7_62 Depth=1
	s_or_b32 exec_lo, exec_lo, s1
	s_and_saveexec_b32 s1, s0
	s_cbranch_execz .LBB7_1042
.LBB7_1041:                             ;   in Loop: Header=BB7_62 Depth=1
	v_and_b32_e32 v61, 7, v107
	v_lshrrev_b16 v121, 3, v107
	v_lshrrev_b16 v107, 7, v107
	s_delay_alu instid0(VALU_DEP_3) | instskip(NEXT) | instid1(VALU_DEP_3)
	v_clz_i32_u32_e32 v111, v61
	v_and_b32_e32 v121, 15, v121
	s_delay_alu instid0(VALU_DEP_3) | instskip(NEXT) | instid1(VALU_DEP_3)
	v_lshlrev_b32_e32 v107, 31, v107
	v_min_u32_e32 v111, 32, v111
	s_delay_alu instid0(VALU_DEP_3) | instskip(NEXT) | instid1(VALU_DEP_2)
	v_cmp_eq_u16_e32 vcc_lo, 0, v121
	v_subrev_nc_u32_e32 v120, 28, v111
	v_sub_nc_u32_e32 v111, 29, v111
	s_wait_alu 0xfffd
	s_delay_alu instid0(VALU_DEP_1) | instskip(NEXT) | instid1(VALU_DEP_1)
	v_dual_cndmask_b32 v111, v121, v111 :: v_dual_lshlrev_b32 v120, v120, v61
	v_and_b32_e32 v120, 7, v120
	s_delay_alu instid0(VALU_DEP_2) | instskip(NEXT) | instid1(VALU_DEP_2)
	v_lshl_add_u32 v111, v111, 23, 0x3b800000
	v_cndmask_b32_e32 v61, v61, v120, vcc_lo
	s_delay_alu instid0(VALU_DEP_1) | instskip(NEXT) | instid1(VALU_DEP_1)
	v_lshlrev_b32_e32 v61, 20, v61
	v_or3_b32 v61, v107, v111, v61
.LBB7_1042:                             ;   in Loop: Header=BB7_62 Depth=1
	s_wait_alu 0xfffe
	s_or_b32 exec_lo, exec_lo, s1
	v_and_b32_e32 v111, 0xff, v109
	s_mov_b32 s0, 0
	s_mov_b32 s1, exec_lo
	s_delay_alu instid0(VALU_DEP_1)
	v_cmpx_lt_i16_e32 0x7f, v111
	s_wait_alu 0xfffe
	s_xor_b32 s1, exec_lo, s1
	s_cbranch_execnz .LBB7_2065
; %bb.1043:                             ;   in Loop: Header=BB7_62 Depth=1
	s_wait_alu 0xfffe
	s_or_saveexec_b32 s1, s1
	v_mov_b32_e32 v107, 0x7f800001
	s_wait_alu 0xfffe
	s_xor_b32 exec_lo, exec_lo, s1
	s_cbranch_execnz .LBB7_2068
.LBB7_1044:                             ;   in Loop: Header=BB7_62 Depth=1
	s_or_b32 exec_lo, exec_lo, s1
	s_and_saveexec_b32 s1, s0
	s_cbranch_execz .LBB7_1046
.LBB7_1045:                             ;   in Loop: Header=BB7_62 Depth=1
	v_and_b32_e32 v107, 7, v109
	v_lshrrev_b16 v121, 3, v109
	v_lshrrev_b16 v109, 7, v109
	s_delay_alu instid0(VALU_DEP_3) | instskip(NEXT) | instid1(VALU_DEP_3)
	v_clz_i32_u32_e32 v111, v107
	v_and_b32_e32 v121, 15, v121
	s_delay_alu instid0(VALU_DEP_3) | instskip(NEXT) | instid1(VALU_DEP_3)
	v_lshlrev_b32_e32 v109, 31, v109
	v_min_u32_e32 v111, 32, v111
	s_delay_alu instid0(VALU_DEP_3) | instskip(NEXT) | instid1(VALU_DEP_2)
	v_cmp_eq_u16_e32 vcc_lo, 0, v121
	v_subrev_nc_u32_e32 v120, 28, v111
	v_sub_nc_u32_e32 v111, 29, v111
	s_delay_alu instid0(VALU_DEP_2) | instskip(SKIP_1) | instid1(VALU_DEP_1)
	v_lshlrev_b32_e32 v120, v120, v107
	s_wait_alu 0xfffd
	v_dual_cndmask_b32 v111, v121, v111 :: v_dual_and_b32 v120, 7, v120
	s_delay_alu instid0(VALU_DEP_1) | instskip(NEXT) | instid1(VALU_DEP_2)
	v_lshl_add_u32 v111, v111, 23, 0x3b800000
	v_cndmask_b32_e32 v107, v107, v120, vcc_lo
	s_delay_alu instid0(VALU_DEP_1) | instskip(NEXT) | instid1(VALU_DEP_1)
	v_lshlrev_b32_e32 v107, 20, v107
	v_or3_b32 v107, v109, v111, v107
.LBB7_1046:                             ;   in Loop: Header=BB7_62 Depth=1
	s_wait_alu 0xfffe
	s_or_b32 exec_lo, exec_lo, s1
	s_mov_b32 s0, 0
	s_mov_b32 s1, exec_lo
	v_cmpx_lt_i16_e32 0x7f, v110
	s_wait_alu 0xfffe
	s_xor_b32 s1, exec_lo, s1
	s_cbranch_execnz .LBB7_2069
; %bb.1047:                             ;   in Loop: Header=BB7_62 Depth=1
	s_wait_alu 0xfffe
	s_or_saveexec_b32 s1, s1
	v_mov_b32_e32 v109, 0x7f800001
	s_wait_alu 0xfffe
	s_xor_b32 exec_lo, exec_lo, s1
	s_cbranch_execnz .LBB7_2072
.LBB7_1048:                             ;   in Loop: Header=BB7_62 Depth=1
	s_or_b32 exec_lo, exec_lo, s1
	s_and_saveexec_b32 s1, s0
	s_cbranch_execz .LBB7_1050
.LBB7_1049:                             ;   in Loop: Header=BB7_62 Depth=1
	v_and_b32_e32 v109, 7, v110
	v_lshrrev_b16 v121, 3, v110
	v_lshrrev_b16 v110, 7, v110
	s_delay_alu instid0(VALU_DEP_3) | instskip(NEXT) | instid1(VALU_DEP_3)
	v_clz_i32_u32_e32 v111, v109
	v_and_b32_e32 v121, 15, v121
	s_delay_alu instid0(VALU_DEP_3) | instskip(NEXT) | instid1(VALU_DEP_3)
	v_lshlrev_b32_e32 v110, 31, v110
	v_min_u32_e32 v111, 32, v111
	s_delay_alu instid0(VALU_DEP_3) | instskip(NEXT) | instid1(VALU_DEP_2)
	v_cmp_eq_u16_e32 vcc_lo, 0, v121
	v_subrev_nc_u32_e32 v120, 28, v111
	v_sub_nc_u32_e32 v111, 29, v111
	s_wait_alu 0xfffd
	s_delay_alu instid0(VALU_DEP_1) | instskip(NEXT) | instid1(VALU_DEP_1)
	v_dual_cndmask_b32 v111, v121, v111 :: v_dual_lshlrev_b32 v120, v120, v109
	v_and_b32_e32 v120, 7, v120
	s_delay_alu instid0(VALU_DEP_2) | instskip(NEXT) | instid1(VALU_DEP_2)
	v_lshl_add_u32 v111, v111, 23, 0x3b800000
	v_cndmask_b32_e32 v109, v109, v120, vcc_lo
	s_delay_alu instid0(VALU_DEP_1) | instskip(NEXT) | instid1(VALU_DEP_1)
	v_lshlrev_b32_e32 v109, 20, v109
	v_or3_b32 v109, v110, v111, v109
.LBB7_1050:                             ;   in Loop: Header=BB7_62 Depth=1
	s_wait_alu 0xfffe
	s_or_b32 exec_lo, exec_lo, s1
	v_and_b32_e32 v111, 0xff, v62
	s_mov_b32 s0, 0
	s_mov_b32 s1, exec_lo
	s_delay_alu instid0(VALU_DEP_1)
	v_cmpx_lt_i16_e32 0x7f, v111
	s_wait_alu 0xfffe
	s_xor_b32 s1, exec_lo, s1
	s_cbranch_execnz .LBB7_2073
; %bb.1051:                             ;   in Loop: Header=BB7_62 Depth=1
	s_wait_alu 0xfffe
	s_or_saveexec_b32 s1, s1
	v_mov_b32_e32 v110, 0x7f800001
	s_wait_alu 0xfffe
	s_xor_b32 exec_lo, exec_lo, s1
	s_cbranch_execnz .LBB7_2076
.LBB7_1052:                             ;   in Loop: Header=BB7_62 Depth=1
	s_or_b32 exec_lo, exec_lo, s1
	s_and_saveexec_b32 s1, s0
	s_cbranch_execz .LBB7_1054
.LBB7_1053:                             ;   in Loop: Header=BB7_62 Depth=1
	v_lshrrev_b16 v121, 3, v62
	s_delay_alu instid0(VALU_DEP_1) | instskip(NEXT) | instid1(VALU_DEP_1)
	v_and_b32_e32 v121, 15, v121
	v_cmp_eq_u16_e32 vcc_lo, 0, v121
	v_and_b32_e32 v110, 7, v62
	v_lshrrev_b16 v62, 7, v62
	s_delay_alu instid0(VALU_DEP_2) | instskip(NEXT) | instid1(VALU_DEP_2)
	v_clz_i32_u32_e32 v111, v110
	v_lshlrev_b32_e32 v62, 31, v62
	s_delay_alu instid0(VALU_DEP_2) | instskip(NEXT) | instid1(VALU_DEP_1)
	v_min_u32_e32 v111, 32, v111
	v_subrev_nc_u32_e32 v120, 28, v111
	v_sub_nc_u32_e32 v111, 29, v111
	s_wait_alu 0xfffd
	s_delay_alu instid0(VALU_DEP_1) | instskip(NEXT) | instid1(VALU_DEP_1)
	v_dual_cndmask_b32 v111, v121, v111 :: v_dual_lshlrev_b32 v120, v120, v110
	v_lshl_add_u32 v111, v111, 23, 0x3b800000
	s_delay_alu instid0(VALU_DEP_2) | instskip(NEXT) | instid1(VALU_DEP_1)
	v_and_b32_e32 v120, 7, v120
	v_cndmask_b32_e32 v110, v110, v120, vcc_lo
	s_delay_alu instid0(VALU_DEP_1) | instskip(NEXT) | instid1(VALU_DEP_1)
	v_lshlrev_b32_e32 v110, 20, v110
	v_or3_b32 v110, v62, v111, v110
.LBB7_1054:                             ;   in Loop: Header=BB7_62 Depth=1
	s_wait_alu 0xfffe
	s_or_b32 exec_lo, exec_lo, s1
	v_and_b32_e32 v111, 0xff, v108
	s_mov_b32 s0, 0
	s_mov_b32 s1, exec_lo
	s_delay_alu instid0(VALU_DEP_1)
	v_cmpx_lt_i16_e32 0x7f, v111
	s_wait_alu 0xfffe
	s_xor_b32 s1, exec_lo, s1
	s_cbranch_execnz .LBB7_2077
; %bb.1055:                             ;   in Loop: Header=BB7_62 Depth=1
	s_wait_alu 0xfffe
	s_or_saveexec_b32 s1, s1
	v_mov_b32_e32 v62, 0x7f800001
	s_wait_alu 0xfffe
	s_xor_b32 exec_lo, exec_lo, s1
	s_cbranch_execnz .LBB7_2080
.LBB7_1056:                             ;   in Loop: Header=BB7_62 Depth=1
	s_or_b32 exec_lo, exec_lo, s1
	s_and_saveexec_b32 s1, s0
	s_cbranch_execz .LBB7_1058
.LBB7_1057:                             ;   in Loop: Header=BB7_62 Depth=1
	v_lshrrev_b16 v121, 3, v108
	s_delay_alu instid0(VALU_DEP_1) | instskip(NEXT) | instid1(VALU_DEP_1)
	v_and_b32_e32 v121, 15, v121
	v_cmp_eq_u16_e32 vcc_lo, 0, v121
	v_and_b32_e32 v62, 7, v108
	v_lshrrev_b16 v108, 7, v108
	s_delay_alu instid0(VALU_DEP_2) | instskip(NEXT) | instid1(VALU_DEP_2)
	v_clz_i32_u32_e32 v111, v62
	v_lshlrev_b32_e32 v108, 31, v108
	s_delay_alu instid0(VALU_DEP_2) | instskip(NEXT) | instid1(VALU_DEP_1)
	v_min_u32_e32 v111, 32, v111
	v_subrev_nc_u32_e32 v120, 28, v111
	v_sub_nc_u32_e32 v111, 29, v111
	s_wait_alu 0xfffd
	s_delay_alu instid0(VALU_DEP_1) | instskip(NEXT) | instid1(VALU_DEP_1)
	v_dual_cndmask_b32 v111, v121, v111 :: v_dual_lshlrev_b32 v120, v120, v62
	v_lshl_add_u32 v111, v111, 23, 0x3b800000
	s_delay_alu instid0(VALU_DEP_2) | instskip(NEXT) | instid1(VALU_DEP_1)
	v_and_b32_e32 v120, 7, v120
	v_cndmask_b32_e32 v62, v62, v120, vcc_lo
	s_delay_alu instid0(VALU_DEP_1) | instskip(NEXT) | instid1(VALU_DEP_1)
	v_lshlrev_b32_e32 v62, 20, v62
	v_or3_b32 v62, v108, v111, v62
.LBB7_1058:                             ;   in Loop: Header=BB7_62 Depth=1
	s_wait_alu 0xfffe
	s_or_b32 exec_lo, exec_lo, s1
	v_and_b32_e32 v111, 0xff, v106
	s_mov_b32 s0, 0
	s_mov_b32 s1, exec_lo
	s_delay_alu instid0(VALU_DEP_1)
	v_cmpx_lt_i16_e32 0x7f, v111
	s_wait_alu 0xfffe
	s_xor_b32 s1, exec_lo, s1
	s_cbranch_execnz .LBB7_2081
; %bb.1059:                             ;   in Loop: Header=BB7_62 Depth=1
	s_wait_alu 0xfffe
	s_or_saveexec_b32 s1, s1
	v_mov_b32_e32 v108, 0x7f800001
	s_wait_alu 0xfffe
	s_xor_b32 exec_lo, exec_lo, s1
	s_cbranch_execnz .LBB7_2084
.LBB7_1060:                             ;   in Loop: Header=BB7_62 Depth=1
	s_or_b32 exec_lo, exec_lo, s1
	s_and_saveexec_b32 s1, s0
	s_cbranch_execz .LBB7_1062
.LBB7_1061:                             ;   in Loop: Header=BB7_62 Depth=1
	v_lshrrev_b16 v121, 3, v106
	s_delay_alu instid0(VALU_DEP_1) | instskip(NEXT) | instid1(VALU_DEP_1)
	v_and_b32_e32 v121, 15, v121
	v_cmp_eq_u16_e32 vcc_lo, 0, v121
	v_and_b32_e32 v108, 7, v106
	v_lshrrev_b16 v106, 7, v106
	s_delay_alu instid0(VALU_DEP_2) | instskip(NEXT) | instid1(VALU_DEP_2)
	v_clz_i32_u32_e32 v111, v108
	v_lshlrev_b32_e32 v106, 31, v106
	s_delay_alu instid0(VALU_DEP_2) | instskip(NEXT) | instid1(VALU_DEP_1)
	v_min_u32_e32 v111, 32, v111
	v_subrev_nc_u32_e32 v120, 28, v111
	v_sub_nc_u32_e32 v111, 29, v111
	s_wait_alu 0xfffd
	s_delay_alu instid0(VALU_DEP_1) | instskip(NEXT) | instid1(VALU_DEP_1)
	v_dual_cndmask_b32 v111, v121, v111 :: v_dual_lshlrev_b32 v120, v120, v108
	v_lshl_add_u32 v111, v111, 23, 0x3b800000
	s_delay_alu instid0(VALU_DEP_2) | instskip(NEXT) | instid1(VALU_DEP_1)
	v_and_b32_e32 v120, 7, v120
	v_cndmask_b32_e32 v108, v108, v120, vcc_lo
	s_delay_alu instid0(VALU_DEP_1) | instskip(NEXT) | instid1(VALU_DEP_1)
	v_lshlrev_b32_e32 v108, 20, v108
	v_or3_b32 v108, v106, v111, v108
.LBB7_1062:                             ;   in Loop: Header=BB7_62 Depth=1
	s_wait_alu 0xfffe
	s_or_b32 exec_lo, exec_lo, s1
	s_mov_b32 s0, 0
	s_mov_b32 s1, exec_lo
	v_cmpx_lt_i16_e32 0x7f, v105
	s_wait_alu 0xfffe
	s_xor_b32 s1, exec_lo, s1
	s_cbranch_execnz .LBB7_2085
; %bb.1063:                             ;   in Loop: Header=BB7_62 Depth=1
	s_wait_alu 0xfffe
	s_or_saveexec_b32 s1, s1
	v_mov_b32_e32 v106, 0x7f800001
	s_wait_alu 0xfffe
	s_xor_b32 exec_lo, exec_lo, s1
	s_cbranch_execnz .LBB7_2088
.LBB7_1064:                             ;   in Loop: Header=BB7_62 Depth=1
	s_or_b32 exec_lo, exec_lo, s1
	s_and_saveexec_b32 s1, s0
	s_cbranch_execz .LBB7_1066
.LBB7_1065:                             ;   in Loop: Header=BB7_62 Depth=1
	v_lshrrev_b16 v121, 3, v105
	s_delay_alu instid0(VALU_DEP_1) | instskip(NEXT) | instid1(VALU_DEP_1)
	v_and_b32_e32 v121, 15, v121
	v_cmp_eq_u16_e32 vcc_lo, 0, v121
	v_and_b32_e32 v106, 7, v105
	v_lshrrev_b16 v105, 7, v105
	s_delay_alu instid0(VALU_DEP_2) | instskip(NEXT) | instid1(VALU_DEP_2)
	v_clz_i32_u32_e32 v111, v106
	v_lshlrev_b32_e32 v105, 31, v105
	s_delay_alu instid0(VALU_DEP_2) | instskip(NEXT) | instid1(VALU_DEP_1)
	v_min_u32_e32 v111, 32, v111
	v_subrev_nc_u32_e32 v120, 28, v111
	v_sub_nc_u32_e32 v111, 29, v111
	s_wait_alu 0xfffd
	s_delay_alu instid0(VALU_DEP_1) | instskip(NEXT) | instid1(VALU_DEP_1)
	v_dual_cndmask_b32 v111, v121, v111 :: v_dual_lshlrev_b32 v120, v120, v106
	v_lshl_add_u32 v111, v111, 23, 0x3b800000
	s_delay_alu instid0(VALU_DEP_2) | instskip(NEXT) | instid1(VALU_DEP_1)
	v_and_b32_e32 v120, 7, v120
	v_cndmask_b32_e32 v106, v106, v120, vcc_lo
	s_delay_alu instid0(VALU_DEP_1) | instskip(NEXT) | instid1(VALU_DEP_1)
	v_lshlrev_b32_e32 v106, 20, v106
	v_or3_b32 v106, v105, v111, v106
.LBB7_1066:                             ;   in Loop: Header=BB7_62 Depth=1
	s_wait_alu 0xfffe
	s_or_b32 exec_lo, exec_lo, s1
	v_and_b32_e32 v111, 0xff, v63
	s_mov_b32 s0, 0
	s_mov_b32 s1, exec_lo
	s_delay_alu instid0(VALU_DEP_1)
	v_cmpx_lt_i16_e32 0x7f, v111
	s_wait_alu 0xfffe
	s_xor_b32 s1, exec_lo, s1
	s_cbranch_execnz .LBB7_2089
; %bb.1067:                             ;   in Loop: Header=BB7_62 Depth=1
	s_wait_alu 0xfffe
	s_or_saveexec_b32 s1, s1
	v_mov_b32_e32 v105, 0x7f800001
	s_wait_alu 0xfffe
	s_xor_b32 exec_lo, exec_lo, s1
	s_cbranch_execnz .LBB7_2092
.LBB7_1068:                             ;   in Loop: Header=BB7_62 Depth=1
	s_or_b32 exec_lo, exec_lo, s1
	s_and_saveexec_b32 s1, s0
	s_cbranch_execz .LBB7_1070
.LBB7_1069:                             ;   in Loop: Header=BB7_62 Depth=1
	v_and_b32_e32 v105, 7, v63
	v_lshrrev_b16 v121, 3, v63
	v_lshrrev_b16 v63, 7, v63
	s_delay_alu instid0(VALU_DEP_3) | instskip(NEXT) | instid1(VALU_DEP_3)
	v_clz_i32_u32_e32 v111, v105
	v_and_b32_e32 v121, 15, v121
	s_delay_alu instid0(VALU_DEP_3) | instskip(NEXT) | instid1(VALU_DEP_3)
	v_lshlrev_b32_e32 v63, 31, v63
	v_min_u32_e32 v111, 32, v111
	s_delay_alu instid0(VALU_DEP_3) | instskip(NEXT) | instid1(VALU_DEP_2)
	v_cmp_eq_u16_e32 vcc_lo, 0, v121
	v_subrev_nc_u32_e32 v120, 28, v111
	v_sub_nc_u32_e32 v111, 29, v111
	s_wait_alu 0xfffd
	s_delay_alu instid0(VALU_DEP_1) | instskip(NEXT) | instid1(VALU_DEP_1)
	v_dual_cndmask_b32 v111, v121, v111 :: v_dual_lshlrev_b32 v120, v120, v105
	v_and_b32_e32 v120, 7, v120
	s_delay_alu instid0(VALU_DEP_2) | instskip(NEXT) | instid1(VALU_DEP_2)
	v_lshl_add_u32 v111, v111, 23, 0x3b800000
	v_cndmask_b32_e32 v105, v105, v120, vcc_lo
	s_delay_alu instid0(VALU_DEP_1) | instskip(NEXT) | instid1(VALU_DEP_1)
	v_lshlrev_b32_e32 v105, 20, v105
	v_or3_b32 v105, v63, v111, v105
.LBB7_1070:                             ;   in Loop: Header=BB7_62 Depth=1
	s_wait_alu 0xfffe
	s_or_b32 exec_lo, exec_lo, s1
	v_and_b32_e32 v111, 0xff, v94
	s_mov_b32 s0, 0
	s_mov_b32 s1, exec_lo
	s_delay_alu instid0(VALU_DEP_1)
	v_cmpx_lt_i16_e32 0x7f, v111
	s_wait_alu 0xfffe
	s_xor_b32 s1, exec_lo, s1
	s_cbranch_execnz .LBB7_2093
; %bb.1071:                             ;   in Loop: Header=BB7_62 Depth=1
	s_wait_alu 0xfffe
	s_or_saveexec_b32 s1, s1
	v_mov_b32_e32 v63, 0x7f800001
	s_wait_alu 0xfffe
	s_xor_b32 exec_lo, exec_lo, s1
	s_cbranch_execnz .LBB7_2096
.LBB7_1072:                             ;   in Loop: Header=BB7_62 Depth=1
	s_or_b32 exec_lo, exec_lo, s1
	s_and_saveexec_b32 s1, s0
	s_cbranch_execz .LBB7_1074
.LBB7_1073:                             ;   in Loop: Header=BB7_62 Depth=1
	v_and_b32_e32 v63, 7, v94
	v_lshrrev_b16 v121, 3, v94
	v_lshrrev_b16 v94, 7, v94
	s_delay_alu instid0(VALU_DEP_3) | instskip(NEXT) | instid1(VALU_DEP_3)
	v_clz_i32_u32_e32 v111, v63
	v_and_b32_e32 v121, 15, v121
	s_delay_alu instid0(VALU_DEP_3) | instskip(NEXT) | instid1(VALU_DEP_3)
	v_lshlrev_b32_e32 v94, 31, v94
	v_min_u32_e32 v111, 32, v111
	s_delay_alu instid0(VALU_DEP_3) | instskip(NEXT) | instid1(VALU_DEP_2)
	v_cmp_eq_u16_e32 vcc_lo, 0, v121
	v_subrev_nc_u32_e32 v120, 28, v111
	v_sub_nc_u32_e32 v111, 29, v111
	s_delay_alu instid0(VALU_DEP_2) | instskip(SKIP_1) | instid1(VALU_DEP_1)
	v_lshlrev_b32_e32 v120, v120, v63
	s_wait_alu 0xfffd
	v_dual_cndmask_b32 v111, v121, v111 :: v_dual_and_b32 v120, 7, v120
	s_delay_alu instid0(VALU_DEP_1) | instskip(NEXT) | instid1(VALU_DEP_2)
	v_lshl_add_u32 v111, v111, 23, 0x3b800000
	v_cndmask_b32_e32 v63, v63, v120, vcc_lo
	s_delay_alu instid0(VALU_DEP_1) | instskip(NEXT) | instid1(VALU_DEP_1)
	v_lshlrev_b32_e32 v63, 20, v63
	v_or3_b32 v63, v94, v111, v63
.LBB7_1074:                             ;   in Loop: Header=BB7_62 Depth=1
	s_wait_alu 0xfffe
	s_or_b32 exec_lo, exec_lo, s1
	v_and_b32_e32 v111, 0xff, v88
	s_mov_b32 s0, 0
	s_mov_b32 s1, exec_lo
	s_delay_alu instid0(VALU_DEP_1)
	v_cmpx_lt_i16_e32 0x7f, v111
	s_wait_alu 0xfffe
	s_xor_b32 s1, exec_lo, s1
	s_cbranch_execnz .LBB7_2097
; %bb.1075:                             ;   in Loop: Header=BB7_62 Depth=1
	s_wait_alu 0xfffe
	s_or_saveexec_b32 s1, s1
	v_mov_b32_e32 v94, 0x7f800001
	s_wait_alu 0xfffe
	s_xor_b32 exec_lo, exec_lo, s1
	s_cbranch_execnz .LBB7_2100
.LBB7_1076:                             ;   in Loop: Header=BB7_62 Depth=1
	s_or_b32 exec_lo, exec_lo, s1
	s_and_saveexec_b32 s1, s0
	s_cbranch_execz .LBB7_1078
.LBB7_1077:                             ;   in Loop: Header=BB7_62 Depth=1
	v_lshrrev_b16 v121, 3, v88
	s_delay_alu instid0(VALU_DEP_1) | instskip(NEXT) | instid1(VALU_DEP_1)
	v_and_b32_e32 v121, 15, v121
	v_cmp_eq_u16_e32 vcc_lo, 0, v121
	v_and_b32_e32 v94, 7, v88
	v_lshrrev_b16 v88, 7, v88
	s_delay_alu instid0(VALU_DEP_2) | instskip(NEXT) | instid1(VALU_DEP_2)
	v_clz_i32_u32_e32 v111, v94
	v_lshlrev_b32_e32 v88, 31, v88
	s_delay_alu instid0(VALU_DEP_2) | instskip(NEXT) | instid1(VALU_DEP_1)
	v_min_u32_e32 v111, 32, v111
	v_subrev_nc_u32_e32 v120, 28, v111
	v_sub_nc_u32_e32 v111, 29, v111
	s_wait_alu 0xfffd
	s_delay_alu instid0(VALU_DEP_1) | instskip(NEXT) | instid1(VALU_DEP_1)
	v_dual_cndmask_b32 v111, v121, v111 :: v_dual_lshlrev_b32 v120, v120, v94
	v_lshl_add_u32 v111, v111, 23, 0x3b800000
	s_delay_alu instid0(VALU_DEP_2) | instskip(NEXT) | instid1(VALU_DEP_1)
	v_and_b32_e32 v120, 7, v120
	v_cndmask_b32_e32 v94, v94, v120, vcc_lo
	s_delay_alu instid0(VALU_DEP_1) | instskip(NEXT) | instid1(VALU_DEP_1)
	v_lshlrev_b32_e32 v94, 20, v94
	v_or3_b32 v94, v88, v111, v94
.LBB7_1078:                             ;   in Loop: Header=BB7_62 Depth=1
	s_wait_alu 0xfffe
	s_or_b32 exec_lo, exec_lo, s1
	s_mov_b32 s0, 0
	s_mov_b32 s1, exec_lo
	v_cmpx_lt_i16_e32 0x7f, v76
	s_wait_alu 0xfffe
	s_xor_b32 s1, exec_lo, s1
	s_cbranch_execnz .LBB7_2101
; %bb.1079:                             ;   in Loop: Header=BB7_62 Depth=1
	s_wait_alu 0xfffe
	s_or_saveexec_b32 s1, s1
	v_mov_b32_e32 v88, 0x7f800001
	s_wait_alu 0xfffe
	s_xor_b32 exec_lo, exec_lo, s1
	s_cbranch_execnz .LBB7_2104
.LBB7_1080:                             ;   in Loop: Header=BB7_62 Depth=1
	s_or_b32 exec_lo, exec_lo, s1
	s_and_saveexec_b32 s1, s0
	s_cbranch_execz .LBB7_1082
.LBB7_1081:                             ;   in Loop: Header=BB7_62 Depth=1
	v_lshrrev_b16 v121, 3, v76
	s_delay_alu instid0(VALU_DEP_1) | instskip(NEXT) | instid1(VALU_DEP_1)
	v_and_b32_e32 v121, 15, v121
	v_cmp_eq_u16_e32 vcc_lo, 0, v121
	v_and_b32_e32 v88, 7, v76
	v_lshrrev_b16 v76, 7, v76
	s_delay_alu instid0(VALU_DEP_2) | instskip(NEXT) | instid1(VALU_DEP_2)
	v_clz_i32_u32_e32 v111, v88
	v_lshlrev_b32_e32 v76, 31, v76
	s_delay_alu instid0(VALU_DEP_2) | instskip(NEXT) | instid1(VALU_DEP_1)
	v_min_u32_e32 v111, 32, v111
	v_subrev_nc_u32_e32 v120, 28, v111
	v_sub_nc_u32_e32 v111, 29, v111
	s_wait_alu 0xfffd
	s_delay_alu instid0(VALU_DEP_1) | instskip(NEXT) | instid1(VALU_DEP_1)
	v_dual_cndmask_b32 v111, v121, v111 :: v_dual_lshlrev_b32 v120, v120, v88
	v_lshl_add_u32 v111, v111, 23, 0x3b800000
	s_delay_alu instid0(VALU_DEP_2) | instskip(NEXT) | instid1(VALU_DEP_1)
	v_and_b32_e32 v120, 7, v120
	v_cndmask_b32_e32 v88, v88, v120, vcc_lo
	s_delay_alu instid0(VALU_DEP_1) | instskip(NEXT) | instid1(VALU_DEP_1)
	v_lshlrev_b32_e32 v88, 20, v88
	v_or3_b32 v88, v76, v111, v88
.LBB7_1082:                             ;   in Loop: Header=BB7_62 Depth=1
	s_wait_alu 0xfffe
	s_or_b32 exec_lo, exec_lo, s1
	v_cvt_pk_rtz_f16_f32_e32 v124, v75, v60
	v_cvt_pk_rtz_f16_f32_e32 v125, v93, v95
	v_cvt_pk_rtz_f16_f32_e32 v126, v104, v61
	v_cvt_pk_rtz_f16_f32_e32 v127, v107, v109
	v_cvt_pk_rtz_f16_f32_e32 v122, v105, v63
	v_cvt_pk_rtz_f16_f32_e32 v120, v110, v62
	v_cvt_pk_rtz_f16_f32_e32 v121, v108, v106
	v_cvt_pk_rtz_f16_f32_e32 v123, v94, v88
	s_clause 0x1
	scratch_store_b128 off, v[124:127], s33 offset:192
	scratch_store_b128 off, v[120:123], s33 offset:208
	flat_load_b64 v[60:61], v[134:135]
	v_add_nc_u32_e32 v62, 0x70, v89
	s_mov_b32 s0, 0
	s_mov_b32 s1, exec_lo
	s_delay_alu instid0(VALU_DEP_1) | instskip(NEXT) | instid1(VALU_DEP_1)
	v_ashrrev_i32_e32 v63, 31, v62
	v_lshrrev_b32_e32 v63, 28, v63
	s_delay_alu instid0(VALU_DEP_1) | instskip(NEXT) | instid1(VALU_DEP_1)
	v_add_nc_u32_e32 v63, v62, v63
	v_lshrrev_b32_e32 v75, 4, v63
	v_and_b32_e32 v63, -16, v63
	s_delay_alu instid0(VALU_DEP_2) | instskip(NEXT) | instid1(VALU_DEP_2)
	v_add_nc_u32_e32 v75, v75, v91
	v_sub_nc_u32_e32 v62, v62, v63
	s_delay_alu instid0(VALU_DEP_2) | instskip(NEXT) | instid1(VALU_DEP_1)
	v_xor_b32_e32 v75, v75, v92
	v_sub_nc_u32_e32 v75, v75, v77
	s_delay_alu instid0(VALU_DEP_1) | instskip(NEXT) | instid1(VALU_DEP_1)
	v_lshlrev_b32_e32 v63, 4, v75
	v_add3_u32 v62, v63, v62, v78
	s_delay_alu instid0(VALU_DEP_1) | instskip(SKIP_3) | instid1(VALU_DEP_2)
	v_ashrrev_i32_e32 v63, 31, v62
	s_wait_loadcnt_dscnt 0x0
	v_add_co_u32 v60, vcc_lo, v60, v62
	s_wait_alu 0xfffd
	v_add_co_ci_u32_e64 v61, null, v61, v63, vcc_lo
	flat_load_b128 v[60:63], v[60:61]
	s_wait_loadcnt_dscnt 0x0
	v_and_b32_e32 v76, 0xff, v60
	s_delay_alu instid0(VALU_DEP_1)
	v_cmpx_lt_i16_e32 0x7f, v76
	s_wait_alu 0xfffe
	s_xor_b32 s1, exec_lo, s1
	s_cbranch_execnz .LBB7_2105
; %bb.1083:                             ;   in Loop: Header=BB7_62 Depth=1
	s_wait_alu 0xfffe
	s_or_saveexec_b32 s1, s1
	v_mov_b32_e32 v75, 0x7f800001
	s_wait_alu 0xfffe
	s_xor_b32 exec_lo, exec_lo, s1
	s_cbranch_execnz .LBB7_2108
.LBB7_1084:                             ;   in Loop: Header=BB7_62 Depth=1
	s_or_b32 exec_lo, exec_lo, s1
	s_and_saveexec_b32 s1, s0
	s_cbranch_execz .LBB7_1086
.LBB7_1085:                             ;   in Loop: Header=BB7_62 Depth=1
	v_and_b32_e32 v75, 7, v60
	v_lshrrev_b16 v78, 3, v60
	v_lshrrev_b16 v88, 7, v60
	s_delay_alu instid0(VALU_DEP_3) | instskip(NEXT) | instid1(VALU_DEP_3)
	v_clz_i32_u32_e32 v76, v75
	v_and_b32_e32 v78, 15, v78
	s_delay_alu instid0(VALU_DEP_2) | instskip(NEXT) | instid1(VALU_DEP_2)
	v_min_u32_e32 v76, 32, v76
	v_cmp_eq_u16_e32 vcc_lo, 0, v78
	s_delay_alu instid0(VALU_DEP_2) | instskip(SKIP_2) | instid1(VALU_DEP_1)
	v_subrev_nc_u32_e32 v77, 28, v76
	v_sub_nc_u32_e32 v76, 29, v76
	s_wait_alu 0xfffd
	v_dual_cndmask_b32 v76, v78, v76 :: v_dual_lshlrev_b32 v77, v77, v75
	s_delay_alu instid0(VALU_DEP_1) | instskip(NEXT) | instid1(VALU_DEP_2)
	v_and_b32_e32 v77, 7, v77
	v_lshl_add_u32 v76, v76, 23, 0x3b800000
	s_delay_alu instid0(VALU_DEP_2) | instskip(SKIP_1) | instid1(VALU_DEP_2)
	v_cndmask_b32_e32 v75, v75, v77, vcc_lo
	v_lshlrev_b32_e32 v77, 31, v88
	v_lshlrev_b32_e32 v75, 20, v75
	s_delay_alu instid0(VALU_DEP_1)
	v_or3_b32 v75, v77, v76, v75
.LBB7_1086:                             ;   in Loop: Header=BB7_62 Depth=1
	s_wait_alu 0xfffe
	s_or_b32 exec_lo, exec_lo, s1
	v_lshrrev_b32_e32 v78, 8, v60
	v_lshrrev_b32_e32 v76, 24, v63
	;; [unrolled: 1-line block ×12, first 2 shown]
	v_and_b32_e32 v106, 0xff, v78
	s_mov_b32 s0, 0
	s_mov_b32 s1, exec_lo
	s_delay_alu instid0(VALU_DEP_1)
	v_cmpx_lt_i16_e32 0x7f, v106
	s_wait_alu 0xfffe
	s_xor_b32 s1, exec_lo, s1
	s_cbranch_execnz .LBB7_2109
; %bb.1087:                             ;   in Loop: Header=BB7_62 Depth=1
	s_wait_alu 0xfffe
	s_or_saveexec_b32 s1, s1
	v_mov_b32_e32 v60, 0x7f800001
	s_wait_alu 0xfffe
	s_xor_b32 exec_lo, exec_lo, s1
	s_cbranch_execnz .LBB7_2112
.LBB7_1088:                             ;   in Loop: Header=BB7_62 Depth=1
	s_or_b32 exec_lo, exec_lo, s1
	s_and_saveexec_b32 s1, s0
	s_cbranch_execz .LBB7_1090
.LBB7_1089:                             ;   in Loop: Header=BB7_62 Depth=1
	v_and_b32_e32 v60, 7, v78
	v_lshrrev_b16 v108, 3, v78
	v_lshrrev_b16 v78, 7, v78
	s_delay_alu instid0(VALU_DEP_3) | instskip(NEXT) | instid1(VALU_DEP_3)
	v_clz_i32_u32_e32 v106, v60
	v_and_b32_e32 v108, 15, v108
	s_delay_alu instid0(VALU_DEP_3) | instskip(NEXT) | instid1(VALU_DEP_3)
	v_lshlrev_b32_e32 v78, 31, v78
	v_min_u32_e32 v106, 32, v106
	s_delay_alu instid0(VALU_DEP_3) | instskip(NEXT) | instid1(VALU_DEP_2)
	v_cmp_eq_u16_e32 vcc_lo, 0, v108
	v_subrev_nc_u32_e32 v107, 28, v106
	v_sub_nc_u32_e32 v106, 29, v106
	s_wait_alu 0xfffd
	s_delay_alu instid0(VALU_DEP_1) | instskip(NEXT) | instid1(VALU_DEP_1)
	v_dual_cndmask_b32 v106, v108, v106 :: v_dual_lshlrev_b32 v107, v107, v60
	v_and_b32_e32 v107, 7, v107
	s_delay_alu instid0(VALU_DEP_2) | instskip(NEXT) | instid1(VALU_DEP_2)
	v_lshl_add_u32 v106, v106, 23, 0x3b800000
	v_cndmask_b32_e32 v60, v60, v107, vcc_lo
	s_delay_alu instid0(VALU_DEP_1) | instskip(NEXT) | instid1(VALU_DEP_1)
	v_lshlrev_b32_e32 v60, 20, v60
	v_or3_b32 v60, v78, v106, v60
.LBB7_1090:                             ;   in Loop: Header=BB7_62 Depth=1
	s_wait_alu 0xfffe
	s_or_b32 exec_lo, exec_lo, s1
	v_and_b32_e32 v106, 0xff, v89
	s_mov_b32 s0, 0
	s_mov_b32 s1, exec_lo
	s_delay_alu instid0(VALU_DEP_1)
	v_cmpx_lt_i16_e32 0x7f, v106
	s_wait_alu 0xfffe
	s_xor_b32 s1, exec_lo, s1
	s_cbranch_execnz .LBB7_2113
; %bb.1091:                             ;   in Loop: Header=BB7_62 Depth=1
	s_wait_alu 0xfffe
	s_or_saveexec_b32 s1, s1
	v_mov_b32_e32 v78, 0x7f800001
	s_wait_alu 0xfffe
	s_xor_b32 exec_lo, exec_lo, s1
	s_cbranch_execnz .LBB7_2116
.LBB7_1092:                             ;   in Loop: Header=BB7_62 Depth=1
	s_or_b32 exec_lo, exec_lo, s1
	s_and_saveexec_b32 s1, s0
	s_cbranch_execz .LBB7_1094
.LBB7_1093:                             ;   in Loop: Header=BB7_62 Depth=1
	v_and_b32_e32 v78, 7, v89
	v_lshrrev_b16 v108, 3, v89
	v_lshrrev_b16 v89, 7, v89
	s_delay_alu instid0(VALU_DEP_3) | instskip(NEXT) | instid1(VALU_DEP_3)
	v_clz_i32_u32_e32 v106, v78
	v_and_b32_e32 v108, 15, v108
	s_delay_alu instid0(VALU_DEP_3) | instskip(NEXT) | instid1(VALU_DEP_3)
	v_lshlrev_b32_e32 v89, 31, v89
	v_min_u32_e32 v106, 32, v106
	s_delay_alu instid0(VALU_DEP_3) | instskip(NEXT) | instid1(VALU_DEP_2)
	v_cmp_eq_u16_e32 vcc_lo, 0, v108
	v_subrev_nc_u32_e32 v107, 28, v106
	v_sub_nc_u32_e32 v106, 29, v106
	s_delay_alu instid0(VALU_DEP_2) | instskip(SKIP_1) | instid1(VALU_DEP_1)
	v_lshlrev_b32_e32 v107, v107, v78
	s_wait_alu 0xfffd
	v_dual_cndmask_b32 v106, v108, v106 :: v_dual_and_b32 v107, 7, v107
	s_delay_alu instid0(VALU_DEP_1) | instskip(NEXT) | instid1(VALU_DEP_2)
	v_lshl_add_u32 v106, v106, 23, 0x3b800000
	v_cndmask_b32_e32 v78, v78, v107, vcc_lo
	s_delay_alu instid0(VALU_DEP_1) | instskip(NEXT) | instid1(VALU_DEP_1)
	v_lshlrev_b32_e32 v78, 20, v78
	v_or3_b32 v78, v89, v106, v78
.LBB7_1094:                             ;   in Loop: Header=BB7_62 Depth=1
	s_wait_alu 0xfffe
	s_or_b32 exec_lo, exec_lo, s1
	s_mov_b32 s0, 0
	s_mov_b32 s1, exec_lo
	v_cmpx_lt_i16_e32 0x7f, v91
	s_wait_alu 0xfffe
	s_xor_b32 s1, exec_lo, s1
	s_cbranch_execnz .LBB7_2117
; %bb.1095:                             ;   in Loop: Header=BB7_62 Depth=1
	s_wait_alu 0xfffe
	s_or_saveexec_b32 s1, s1
	v_mov_b32_e32 v89, 0x7f800001
	s_wait_alu 0xfffe
	s_xor_b32 exec_lo, exec_lo, s1
	s_cbranch_execnz .LBB7_2120
.LBB7_1096:                             ;   in Loop: Header=BB7_62 Depth=1
	s_or_b32 exec_lo, exec_lo, s1
	s_and_saveexec_b32 s1, s0
	s_cbranch_execz .LBB7_1098
.LBB7_1097:                             ;   in Loop: Header=BB7_62 Depth=1
	v_lshrrev_b16 v108, 3, v91
	s_delay_alu instid0(VALU_DEP_1) | instskip(NEXT) | instid1(VALU_DEP_1)
	v_and_b32_e32 v108, 15, v108
	v_cmp_eq_u16_e32 vcc_lo, 0, v108
	v_and_b32_e32 v89, 7, v91
	v_lshrrev_b16 v91, 7, v91
	s_delay_alu instid0(VALU_DEP_2) | instskip(NEXT) | instid1(VALU_DEP_2)
	v_clz_i32_u32_e32 v106, v89
	v_lshlrev_b32_e32 v91, 31, v91
	s_delay_alu instid0(VALU_DEP_2) | instskip(NEXT) | instid1(VALU_DEP_1)
	v_min_u32_e32 v106, 32, v106
	v_subrev_nc_u32_e32 v107, 28, v106
	v_sub_nc_u32_e32 v106, 29, v106
	s_wait_alu 0xfffd
	s_delay_alu instid0(VALU_DEP_1) | instskip(NEXT) | instid1(VALU_DEP_1)
	v_dual_cndmask_b32 v106, v108, v106 :: v_dual_lshlrev_b32 v107, v107, v89
	v_lshl_add_u32 v106, v106, 23, 0x3b800000
	s_delay_alu instid0(VALU_DEP_2) | instskip(NEXT) | instid1(VALU_DEP_1)
	v_and_b32_e32 v107, 7, v107
	v_cndmask_b32_e32 v89, v89, v107, vcc_lo
	s_delay_alu instid0(VALU_DEP_1) | instskip(NEXT) | instid1(VALU_DEP_1)
	v_lshlrev_b32_e32 v89, 20, v89
	v_or3_b32 v89, v91, v106, v89
.LBB7_1098:                             ;   in Loop: Header=BB7_62 Depth=1
	s_wait_alu 0xfffe
	s_or_b32 exec_lo, exec_lo, s1
	v_and_b32_e32 v106, 0xff, v61
	s_mov_b32 s0, 0
	s_mov_b32 s1, exec_lo
	s_delay_alu instid0(VALU_DEP_1)
	v_cmpx_lt_i16_e32 0x7f, v106
	s_wait_alu 0xfffe
	s_xor_b32 s1, exec_lo, s1
	s_cbranch_execnz .LBB7_2121
; %bb.1099:                             ;   in Loop: Header=BB7_62 Depth=1
	s_wait_alu 0xfffe
	s_or_saveexec_b32 s1, s1
	v_mov_b32_e32 v91, 0x7f800001
	s_wait_alu 0xfffe
	s_xor_b32 exec_lo, exec_lo, s1
	s_cbranch_execnz .LBB7_2124
.LBB7_1100:                             ;   in Loop: Header=BB7_62 Depth=1
	s_or_b32 exec_lo, exec_lo, s1
	s_and_saveexec_b32 s1, s0
	s_cbranch_execz .LBB7_1102
.LBB7_1101:                             ;   in Loop: Header=BB7_62 Depth=1
	v_lshrrev_b16 v108, 3, v61
	s_delay_alu instid0(VALU_DEP_1) | instskip(NEXT) | instid1(VALU_DEP_1)
	v_and_b32_e32 v108, 15, v108
	v_cmp_eq_u16_e32 vcc_lo, 0, v108
	v_and_b32_e32 v91, 7, v61
	v_lshrrev_b16 v61, 7, v61
	s_delay_alu instid0(VALU_DEP_2) | instskip(NEXT) | instid1(VALU_DEP_2)
	v_clz_i32_u32_e32 v106, v91
	v_lshlrev_b32_e32 v61, 31, v61
	s_delay_alu instid0(VALU_DEP_2) | instskip(NEXT) | instid1(VALU_DEP_1)
	v_min_u32_e32 v106, 32, v106
	v_subrev_nc_u32_e32 v107, 28, v106
	v_sub_nc_u32_e32 v106, 29, v106
	s_wait_alu 0xfffd
	s_delay_alu instid0(VALU_DEP_1) | instskip(NEXT) | instid1(VALU_DEP_1)
	v_dual_cndmask_b32 v106, v108, v106 :: v_dual_lshlrev_b32 v107, v107, v91
	v_lshl_add_u32 v106, v106, 23, 0x3b800000
	s_delay_alu instid0(VALU_DEP_2) | instskip(NEXT) | instid1(VALU_DEP_1)
	v_and_b32_e32 v107, 7, v107
	v_cndmask_b32_e32 v91, v91, v107, vcc_lo
	s_delay_alu instid0(VALU_DEP_1) | instskip(NEXT) | instid1(VALU_DEP_1)
	v_lshlrev_b32_e32 v91, 20, v91
	v_or3_b32 v91, v61, v106, v91
.LBB7_1102:                             ;   in Loop: Header=BB7_62 Depth=1
	s_wait_alu 0xfffe
	s_or_b32 exec_lo, exec_lo, s1
	v_and_b32_e32 v106, 0xff, v94
	s_mov_b32 s0, 0
	s_mov_b32 s1, exec_lo
	s_delay_alu instid0(VALU_DEP_1)
	v_cmpx_lt_i16_e32 0x7f, v106
	s_wait_alu 0xfffe
	s_xor_b32 s1, exec_lo, s1
	s_cbranch_execnz .LBB7_2125
; %bb.1103:                             ;   in Loop: Header=BB7_62 Depth=1
	s_wait_alu 0xfffe
	s_or_saveexec_b32 s1, s1
	v_mov_b32_e32 v61, 0x7f800001
	s_wait_alu 0xfffe
	s_xor_b32 exec_lo, exec_lo, s1
	s_cbranch_execnz .LBB7_2128
.LBB7_1104:                             ;   in Loop: Header=BB7_62 Depth=1
	s_or_b32 exec_lo, exec_lo, s1
	s_and_saveexec_b32 s1, s0
	s_cbranch_execz .LBB7_1106
.LBB7_1105:                             ;   in Loop: Header=BB7_62 Depth=1
	v_and_b32_e32 v61, 7, v94
	v_lshrrev_b16 v108, 3, v94
	v_lshrrev_b16 v94, 7, v94
	s_delay_alu instid0(VALU_DEP_3) | instskip(NEXT) | instid1(VALU_DEP_3)
	v_clz_i32_u32_e32 v106, v61
	v_and_b32_e32 v108, 15, v108
	s_delay_alu instid0(VALU_DEP_3) | instskip(NEXT) | instid1(VALU_DEP_3)
	v_lshlrev_b32_e32 v94, 31, v94
	v_min_u32_e32 v106, 32, v106
	s_delay_alu instid0(VALU_DEP_3) | instskip(NEXT) | instid1(VALU_DEP_2)
	v_cmp_eq_u16_e32 vcc_lo, 0, v108
	v_subrev_nc_u32_e32 v107, 28, v106
	v_sub_nc_u32_e32 v106, 29, v106
	s_wait_alu 0xfffd
	s_delay_alu instid0(VALU_DEP_1) | instskip(NEXT) | instid1(VALU_DEP_1)
	v_dual_cndmask_b32 v106, v108, v106 :: v_dual_lshlrev_b32 v107, v107, v61
	v_and_b32_e32 v107, 7, v107
	s_delay_alu instid0(VALU_DEP_2) | instskip(NEXT) | instid1(VALU_DEP_2)
	v_lshl_add_u32 v106, v106, 23, 0x3b800000
	v_cndmask_b32_e32 v61, v61, v107, vcc_lo
	s_delay_alu instid0(VALU_DEP_1) | instskip(NEXT) | instid1(VALU_DEP_1)
	v_lshlrev_b32_e32 v61, 20, v61
	v_or3_b32 v61, v94, v106, v61
.LBB7_1106:                             ;   in Loop: Header=BB7_62 Depth=1
	s_wait_alu 0xfffe
	s_or_b32 exec_lo, exec_lo, s1
	v_and_b32_e32 v106, 0xff, v104
	s_mov_b32 s0, 0
	s_mov_b32 s1, exec_lo
	s_delay_alu instid0(VALU_DEP_1)
	v_cmpx_lt_i16_e32 0x7f, v106
	s_wait_alu 0xfffe
	s_xor_b32 s1, exec_lo, s1
	s_cbranch_execnz .LBB7_2129
; %bb.1107:                             ;   in Loop: Header=BB7_62 Depth=1
	s_wait_alu 0xfffe
	s_or_saveexec_b32 s1, s1
	v_mov_b32_e32 v94, 0x7f800001
	s_wait_alu 0xfffe
	s_xor_b32 exec_lo, exec_lo, s1
	s_cbranch_execnz .LBB7_2132
.LBB7_1108:                             ;   in Loop: Header=BB7_62 Depth=1
	s_or_b32 exec_lo, exec_lo, s1
	s_and_saveexec_b32 s1, s0
	s_cbranch_execz .LBB7_1110
.LBB7_1109:                             ;   in Loop: Header=BB7_62 Depth=1
	v_and_b32_e32 v94, 7, v104
	v_lshrrev_b16 v108, 3, v104
	v_lshrrev_b16 v104, 7, v104
	s_delay_alu instid0(VALU_DEP_3) | instskip(NEXT) | instid1(VALU_DEP_3)
	v_clz_i32_u32_e32 v106, v94
	v_and_b32_e32 v108, 15, v108
	s_delay_alu instid0(VALU_DEP_3) | instskip(NEXT) | instid1(VALU_DEP_3)
	v_lshlrev_b32_e32 v104, 31, v104
	v_min_u32_e32 v106, 32, v106
	s_delay_alu instid0(VALU_DEP_3) | instskip(NEXT) | instid1(VALU_DEP_2)
	v_cmp_eq_u16_e32 vcc_lo, 0, v108
	v_subrev_nc_u32_e32 v107, 28, v106
	v_sub_nc_u32_e32 v106, 29, v106
	s_delay_alu instid0(VALU_DEP_2) | instskip(SKIP_1) | instid1(VALU_DEP_1)
	v_lshlrev_b32_e32 v107, v107, v94
	s_wait_alu 0xfffd
	v_dual_cndmask_b32 v106, v108, v106 :: v_dual_and_b32 v107, 7, v107
	s_delay_alu instid0(VALU_DEP_1) | instskip(NEXT) | instid1(VALU_DEP_2)
	v_lshl_add_u32 v106, v106, 23, 0x3b800000
	v_cndmask_b32_e32 v94, v94, v107, vcc_lo
	s_delay_alu instid0(VALU_DEP_1) | instskip(NEXT) | instid1(VALU_DEP_1)
	v_lshlrev_b32_e32 v94, 20, v94
	v_or3_b32 v94, v104, v106, v94
.LBB7_1110:                             ;   in Loop: Header=BB7_62 Depth=1
	s_wait_alu 0xfffe
	s_or_b32 exec_lo, exec_lo, s1
	s_mov_b32 s0, 0
	s_mov_b32 s1, exec_lo
	v_cmpx_lt_i16_e32 0x7f, v105
	s_wait_alu 0xfffe
	s_xor_b32 s1, exec_lo, s1
	s_cbranch_execnz .LBB7_2133
; %bb.1111:                             ;   in Loop: Header=BB7_62 Depth=1
	s_wait_alu 0xfffe
	s_or_saveexec_b32 s1, s1
	v_mov_b32_e32 v104, 0x7f800001
	s_wait_alu 0xfffe
	s_xor_b32 exec_lo, exec_lo, s1
	s_cbranch_execnz .LBB7_2136
.LBB7_1112:                             ;   in Loop: Header=BB7_62 Depth=1
	s_or_b32 exec_lo, exec_lo, s1
	s_and_saveexec_b32 s1, s0
	s_cbranch_execz .LBB7_1114
.LBB7_1113:                             ;   in Loop: Header=BB7_62 Depth=1
	v_and_b32_e32 v104, 7, v105
	v_lshrrev_b16 v108, 3, v105
	v_lshrrev_b16 v105, 7, v105
	s_delay_alu instid0(VALU_DEP_3) | instskip(NEXT) | instid1(VALU_DEP_3)
	v_clz_i32_u32_e32 v106, v104
	v_and_b32_e32 v108, 15, v108
	s_delay_alu instid0(VALU_DEP_3) | instskip(NEXT) | instid1(VALU_DEP_3)
	v_lshlrev_b32_e32 v105, 31, v105
	v_min_u32_e32 v106, 32, v106
	s_delay_alu instid0(VALU_DEP_3) | instskip(NEXT) | instid1(VALU_DEP_2)
	v_cmp_eq_u16_e32 vcc_lo, 0, v108
	v_subrev_nc_u32_e32 v107, 28, v106
	v_sub_nc_u32_e32 v106, 29, v106
	s_wait_alu 0xfffd
	s_delay_alu instid0(VALU_DEP_1) | instskip(NEXT) | instid1(VALU_DEP_1)
	v_dual_cndmask_b32 v106, v108, v106 :: v_dual_lshlrev_b32 v107, v107, v104
	v_and_b32_e32 v107, 7, v107
	s_delay_alu instid0(VALU_DEP_2) | instskip(NEXT) | instid1(VALU_DEP_2)
	v_lshl_add_u32 v106, v106, 23, 0x3b800000
	v_cndmask_b32_e32 v104, v104, v107, vcc_lo
	s_delay_alu instid0(VALU_DEP_1) | instskip(NEXT) | instid1(VALU_DEP_1)
	v_lshlrev_b32_e32 v104, 20, v104
	v_or3_b32 v104, v105, v106, v104
.LBB7_1114:                             ;   in Loop: Header=BB7_62 Depth=1
	s_wait_alu 0xfffe
	s_or_b32 exec_lo, exec_lo, s1
	v_and_b32_e32 v106, 0xff, v62
	s_mov_b32 s0, 0
	s_mov_b32 s1, exec_lo
	s_delay_alu instid0(VALU_DEP_1)
	v_cmpx_lt_i16_e32 0x7f, v106
	s_wait_alu 0xfffe
	s_xor_b32 s1, exec_lo, s1
	s_cbranch_execnz .LBB7_2137
; %bb.1115:                             ;   in Loop: Header=BB7_62 Depth=1
	s_wait_alu 0xfffe
	s_or_saveexec_b32 s1, s1
	v_mov_b32_e32 v105, 0x7f800001
	s_wait_alu 0xfffe
	s_xor_b32 exec_lo, exec_lo, s1
	s_cbranch_execnz .LBB7_2140
.LBB7_1116:                             ;   in Loop: Header=BB7_62 Depth=1
	s_or_b32 exec_lo, exec_lo, s1
	s_and_saveexec_b32 s1, s0
	s_cbranch_execz .LBB7_1118
.LBB7_1117:                             ;   in Loop: Header=BB7_62 Depth=1
	v_and_b32_e32 v105, 7, v62
	v_lshrrev_b16 v108, 3, v62
	v_lshrrev_b16 v62, 7, v62
	s_delay_alu instid0(VALU_DEP_3) | instskip(NEXT) | instid1(VALU_DEP_3)
	v_clz_i32_u32_e32 v106, v105
	v_and_b32_e32 v108, 15, v108
	s_delay_alu instid0(VALU_DEP_3) | instskip(NEXT) | instid1(VALU_DEP_3)
	v_lshlrev_b32_e32 v62, 31, v62
	v_min_u32_e32 v106, 32, v106
	s_delay_alu instid0(VALU_DEP_3) | instskip(NEXT) | instid1(VALU_DEP_2)
	v_cmp_eq_u16_e32 vcc_lo, 0, v108
	v_subrev_nc_u32_e32 v107, 28, v106
	v_sub_nc_u32_e32 v106, 29, v106
	s_wait_alu 0xfffd
	s_delay_alu instid0(VALU_DEP_1) | instskip(NEXT) | instid1(VALU_DEP_1)
	v_dual_cndmask_b32 v106, v108, v106 :: v_dual_lshlrev_b32 v107, v107, v105
	v_and_b32_e32 v107, 7, v107
	s_delay_alu instid0(VALU_DEP_2) | instskip(NEXT) | instid1(VALU_DEP_2)
	v_lshl_add_u32 v106, v106, 23, 0x3b800000
	v_cndmask_b32_e32 v105, v105, v107, vcc_lo
	s_delay_alu instid0(VALU_DEP_1) | instskip(NEXT) | instid1(VALU_DEP_1)
	v_lshlrev_b32_e32 v105, 20, v105
	v_or3_b32 v105, v62, v106, v105
.LBB7_1118:                             ;   in Loop: Header=BB7_62 Depth=1
	s_wait_alu 0xfffe
	s_or_b32 exec_lo, exec_lo, s1
	v_and_b32_e32 v106, 0xff, v95
	s_mov_b32 s0, 0
	s_mov_b32 s1, exec_lo
	s_delay_alu instid0(VALU_DEP_1)
	v_cmpx_lt_i16_e32 0x7f, v106
	s_wait_alu 0xfffe
	s_xor_b32 s1, exec_lo, s1
	s_cbranch_execnz .LBB7_2141
; %bb.1119:                             ;   in Loop: Header=BB7_62 Depth=1
	s_wait_alu 0xfffe
	s_or_saveexec_b32 s1, s1
	v_mov_b32_e32 v62, 0x7f800001
	s_wait_alu 0xfffe
	s_xor_b32 exec_lo, exec_lo, s1
	s_cbranch_execnz .LBB7_2144
.LBB7_1120:                             ;   in Loop: Header=BB7_62 Depth=1
	s_or_b32 exec_lo, exec_lo, s1
	s_and_saveexec_b32 s1, s0
	s_cbranch_execz .LBB7_1122
.LBB7_1121:                             ;   in Loop: Header=BB7_62 Depth=1
	v_and_b32_e32 v62, 7, v95
	v_lshrrev_b16 v108, 3, v95
	v_lshrrev_b16 v95, 7, v95
	s_delay_alu instid0(VALU_DEP_3) | instskip(NEXT) | instid1(VALU_DEP_3)
	v_clz_i32_u32_e32 v106, v62
	v_and_b32_e32 v108, 15, v108
	s_delay_alu instid0(VALU_DEP_3) | instskip(NEXT) | instid1(VALU_DEP_3)
	v_lshlrev_b32_e32 v95, 31, v95
	v_min_u32_e32 v106, 32, v106
	s_delay_alu instid0(VALU_DEP_3) | instskip(NEXT) | instid1(VALU_DEP_2)
	v_cmp_eq_u16_e32 vcc_lo, 0, v108
	v_subrev_nc_u32_e32 v107, 28, v106
	v_sub_nc_u32_e32 v106, 29, v106
	s_delay_alu instid0(VALU_DEP_2) | instskip(SKIP_1) | instid1(VALU_DEP_1)
	v_lshlrev_b32_e32 v107, v107, v62
	s_wait_alu 0xfffd
	v_dual_cndmask_b32 v106, v108, v106 :: v_dual_and_b32 v107, 7, v107
	s_delay_alu instid0(VALU_DEP_1) | instskip(NEXT) | instid1(VALU_DEP_2)
	v_lshl_add_u32 v106, v106, 23, 0x3b800000
	v_cndmask_b32_e32 v62, v62, v107, vcc_lo
	s_delay_alu instid0(VALU_DEP_1) | instskip(NEXT) | instid1(VALU_DEP_1)
	v_lshlrev_b32_e32 v62, 20, v62
	v_or3_b32 v62, v95, v106, v62
.LBB7_1122:                             ;   in Loop: Header=BB7_62 Depth=1
	s_wait_alu 0xfffe
	s_or_b32 exec_lo, exec_lo, s1
	v_and_b32_e32 v106, 0xff, v93
	s_mov_b32 s0, 0
	s_mov_b32 s1, exec_lo
	s_delay_alu instid0(VALU_DEP_1)
	v_cmpx_lt_i16_e32 0x7f, v106
	s_wait_alu 0xfffe
	s_xor_b32 s1, exec_lo, s1
	s_cbranch_execnz .LBB7_2145
; %bb.1123:                             ;   in Loop: Header=BB7_62 Depth=1
	s_wait_alu 0xfffe
	s_or_saveexec_b32 s1, s1
	v_mov_b32_e32 v95, 0x7f800001
	s_wait_alu 0xfffe
	s_xor_b32 exec_lo, exec_lo, s1
	s_cbranch_execnz .LBB7_2148
.LBB7_1124:                             ;   in Loop: Header=BB7_62 Depth=1
	s_or_b32 exec_lo, exec_lo, s1
	s_and_saveexec_b32 s1, s0
	s_cbranch_execz .LBB7_1126
.LBB7_1125:                             ;   in Loop: Header=BB7_62 Depth=1
	v_lshrrev_b16 v108, 3, v93
	s_delay_alu instid0(VALU_DEP_1) | instskip(NEXT) | instid1(VALU_DEP_1)
	v_and_b32_e32 v108, 15, v108
	v_cmp_eq_u16_e32 vcc_lo, 0, v108
	v_and_b32_e32 v95, 7, v93
	v_lshrrev_b16 v93, 7, v93
	s_delay_alu instid0(VALU_DEP_2) | instskip(NEXT) | instid1(VALU_DEP_2)
	v_clz_i32_u32_e32 v106, v95
	v_lshlrev_b32_e32 v93, 31, v93
	s_delay_alu instid0(VALU_DEP_2) | instskip(NEXT) | instid1(VALU_DEP_1)
	v_min_u32_e32 v106, 32, v106
	v_subrev_nc_u32_e32 v107, 28, v106
	v_sub_nc_u32_e32 v106, 29, v106
	s_wait_alu 0xfffd
	s_delay_alu instid0(VALU_DEP_1) | instskip(NEXT) | instid1(VALU_DEP_1)
	v_dual_cndmask_b32 v106, v108, v106 :: v_dual_lshlrev_b32 v107, v107, v95
	v_lshl_add_u32 v106, v106, 23, 0x3b800000
	s_delay_alu instid0(VALU_DEP_2) | instskip(NEXT) | instid1(VALU_DEP_1)
	v_and_b32_e32 v107, 7, v107
	v_cndmask_b32_e32 v95, v95, v107, vcc_lo
	s_delay_alu instid0(VALU_DEP_1) | instskip(NEXT) | instid1(VALU_DEP_1)
	v_lshlrev_b32_e32 v95, 20, v95
	v_or3_b32 v95, v93, v106, v95
.LBB7_1126:                             ;   in Loop: Header=BB7_62 Depth=1
	s_wait_alu 0xfffe
	s_or_b32 exec_lo, exec_lo, s1
	s_mov_b32 s0, 0
	s_mov_b32 s1, exec_lo
	v_cmpx_lt_i16_e32 0x7f, v92
	s_wait_alu 0xfffe
	s_xor_b32 s1, exec_lo, s1
	s_cbranch_execnz .LBB7_2149
; %bb.1127:                             ;   in Loop: Header=BB7_62 Depth=1
	s_wait_alu 0xfffe
	s_or_saveexec_b32 s1, s1
	v_mov_b32_e32 v93, 0x7f800001
	s_wait_alu 0xfffe
	s_xor_b32 exec_lo, exec_lo, s1
	s_cbranch_execnz .LBB7_2152
.LBB7_1128:                             ;   in Loop: Header=BB7_62 Depth=1
	s_or_b32 exec_lo, exec_lo, s1
	s_and_saveexec_b32 s1, s0
	s_cbranch_execz .LBB7_1130
.LBB7_1129:                             ;   in Loop: Header=BB7_62 Depth=1
	v_lshrrev_b16 v108, 3, v92
	s_delay_alu instid0(VALU_DEP_1) | instskip(NEXT) | instid1(VALU_DEP_1)
	v_and_b32_e32 v108, 15, v108
	v_cmp_eq_u16_e32 vcc_lo, 0, v108
	v_and_b32_e32 v93, 7, v92
	v_lshrrev_b16 v92, 7, v92
	s_delay_alu instid0(VALU_DEP_2) | instskip(NEXT) | instid1(VALU_DEP_2)
	v_clz_i32_u32_e32 v106, v93
	v_lshlrev_b32_e32 v92, 31, v92
	s_delay_alu instid0(VALU_DEP_2) | instskip(NEXT) | instid1(VALU_DEP_1)
	v_min_u32_e32 v106, 32, v106
	v_subrev_nc_u32_e32 v107, 28, v106
	v_sub_nc_u32_e32 v106, 29, v106
	s_wait_alu 0xfffd
	s_delay_alu instid0(VALU_DEP_1) | instskip(NEXT) | instid1(VALU_DEP_1)
	v_dual_cndmask_b32 v106, v108, v106 :: v_dual_lshlrev_b32 v107, v107, v93
	v_lshl_add_u32 v106, v106, 23, 0x3b800000
	s_delay_alu instid0(VALU_DEP_2) | instskip(NEXT) | instid1(VALU_DEP_1)
	v_and_b32_e32 v107, 7, v107
	v_cndmask_b32_e32 v93, v93, v107, vcc_lo
	s_delay_alu instid0(VALU_DEP_1) | instskip(NEXT) | instid1(VALU_DEP_1)
	v_lshlrev_b32_e32 v93, 20, v93
	v_or3_b32 v93, v92, v106, v93
.LBB7_1130:                             ;   in Loop: Header=BB7_62 Depth=1
	s_wait_alu 0xfffe
	s_or_b32 exec_lo, exec_lo, s1
	v_and_b32_e32 v106, 0xff, v63
	s_mov_b32 s0, 0
	s_mov_b32 s1, exec_lo
	s_delay_alu instid0(VALU_DEP_1)
	v_cmpx_lt_i16_e32 0x7f, v106
	s_wait_alu 0xfffe
	s_xor_b32 s1, exec_lo, s1
	s_cbranch_execnz .LBB7_2153
; %bb.1131:                             ;   in Loop: Header=BB7_62 Depth=1
	s_wait_alu 0xfffe
	s_or_saveexec_b32 s1, s1
	v_mov_b32_e32 v92, 0x7f800001
	s_wait_alu 0xfffe
	s_xor_b32 exec_lo, exec_lo, s1
	s_cbranch_execnz .LBB7_2156
.LBB7_1132:                             ;   in Loop: Header=BB7_62 Depth=1
	s_or_b32 exec_lo, exec_lo, s1
	s_and_saveexec_b32 s1, s0
	s_cbranch_execz .LBB7_1134
.LBB7_1133:                             ;   in Loop: Header=BB7_62 Depth=1
	v_and_b32_e32 v92, 7, v63
	v_lshrrev_b16 v108, 3, v63
	v_lshrrev_b16 v63, 7, v63
	s_delay_alu instid0(VALU_DEP_3) | instskip(NEXT) | instid1(VALU_DEP_3)
	v_clz_i32_u32_e32 v106, v92
	v_and_b32_e32 v108, 15, v108
	s_delay_alu instid0(VALU_DEP_3) | instskip(NEXT) | instid1(VALU_DEP_3)
	v_lshlrev_b32_e32 v63, 31, v63
	v_min_u32_e32 v106, 32, v106
	s_delay_alu instid0(VALU_DEP_3) | instskip(NEXT) | instid1(VALU_DEP_2)
	v_cmp_eq_u16_e32 vcc_lo, 0, v108
	v_subrev_nc_u32_e32 v107, 28, v106
	v_sub_nc_u32_e32 v106, 29, v106
	s_wait_alu 0xfffd
	s_delay_alu instid0(VALU_DEP_1) | instskip(NEXT) | instid1(VALU_DEP_1)
	v_dual_cndmask_b32 v106, v108, v106 :: v_dual_lshlrev_b32 v107, v107, v92
	v_and_b32_e32 v107, 7, v107
	s_delay_alu instid0(VALU_DEP_2) | instskip(NEXT) | instid1(VALU_DEP_2)
	v_lshl_add_u32 v106, v106, 23, 0x3b800000
	v_cndmask_b32_e32 v92, v92, v107, vcc_lo
	s_delay_alu instid0(VALU_DEP_1) | instskip(NEXT) | instid1(VALU_DEP_1)
	v_lshlrev_b32_e32 v92, 20, v92
	v_or3_b32 v92, v63, v106, v92
.LBB7_1134:                             ;   in Loop: Header=BB7_62 Depth=1
	s_wait_alu 0xfffe
	s_or_b32 exec_lo, exec_lo, s1
	v_and_b32_e32 v106, 0xff, v88
	s_mov_b32 s0, 0
	s_mov_b32 s1, exec_lo
	s_delay_alu instid0(VALU_DEP_1)
	v_cmpx_lt_i16_e32 0x7f, v106
	s_wait_alu 0xfffe
	s_xor_b32 s1, exec_lo, s1
	s_cbranch_execnz .LBB7_2157
; %bb.1135:                             ;   in Loop: Header=BB7_62 Depth=1
	s_wait_alu 0xfffe
	s_or_saveexec_b32 s1, s1
	v_mov_b32_e32 v63, 0x7f800001
	s_wait_alu 0xfffe
	s_xor_b32 exec_lo, exec_lo, s1
	s_cbranch_execnz .LBB7_2160
.LBB7_1136:                             ;   in Loop: Header=BB7_62 Depth=1
	s_or_b32 exec_lo, exec_lo, s1
	s_and_saveexec_b32 s1, s0
	s_cbranch_execz .LBB7_1138
.LBB7_1137:                             ;   in Loop: Header=BB7_62 Depth=1
	v_lshrrev_b16 v108, 3, v88
	s_delay_alu instid0(VALU_DEP_1) | instskip(NEXT) | instid1(VALU_DEP_1)
	v_and_b32_e32 v108, 15, v108
	v_cmp_eq_u16_e32 vcc_lo, 0, v108
	v_and_b32_e32 v63, 7, v88
	v_lshrrev_b16 v88, 7, v88
	s_delay_alu instid0(VALU_DEP_2) | instskip(NEXT) | instid1(VALU_DEP_2)
	v_clz_i32_u32_e32 v106, v63
	v_lshlrev_b32_e32 v88, 31, v88
	s_delay_alu instid0(VALU_DEP_2) | instskip(NEXT) | instid1(VALU_DEP_1)
	v_min_u32_e32 v106, 32, v106
	v_subrev_nc_u32_e32 v107, 28, v106
	v_sub_nc_u32_e32 v106, 29, v106
	s_wait_alu 0xfffd
	s_delay_alu instid0(VALU_DEP_1) | instskip(NEXT) | instid1(VALU_DEP_1)
	v_dual_cndmask_b32 v106, v108, v106 :: v_dual_lshlrev_b32 v107, v107, v63
	v_lshl_add_u32 v106, v106, 23, 0x3b800000
	s_delay_alu instid0(VALU_DEP_2) | instskip(NEXT) | instid1(VALU_DEP_1)
	v_and_b32_e32 v107, 7, v107
	v_cndmask_b32_e32 v63, v63, v107, vcc_lo
	s_delay_alu instid0(VALU_DEP_1) | instskip(NEXT) | instid1(VALU_DEP_1)
	v_lshlrev_b32_e32 v63, 20, v63
	v_or3_b32 v63, v88, v106, v63
.LBB7_1138:                             ;   in Loop: Header=BB7_62 Depth=1
	s_wait_alu 0xfffe
	s_or_b32 exec_lo, exec_lo, s1
	v_and_b32_e32 v106, 0xff, v77
	s_mov_b32 s0, 0
	s_mov_b32 s1, exec_lo
	s_delay_alu instid0(VALU_DEP_1)
	v_cmpx_lt_i16_e32 0x7f, v106
	s_wait_alu 0xfffe
	s_xor_b32 s1, exec_lo, s1
	s_cbranch_execnz .LBB7_2161
; %bb.1139:                             ;   in Loop: Header=BB7_62 Depth=1
	s_wait_alu 0xfffe
	s_or_saveexec_b32 s1, s1
	v_mov_b32_e32 v88, 0x7f800001
	s_wait_alu 0xfffe
	s_xor_b32 exec_lo, exec_lo, s1
	s_cbranch_execnz .LBB7_2164
.LBB7_1140:                             ;   in Loop: Header=BB7_62 Depth=1
	s_or_b32 exec_lo, exec_lo, s1
	s_and_saveexec_b32 s1, s0
	s_cbranch_execz .LBB7_1142
.LBB7_1141:                             ;   in Loop: Header=BB7_62 Depth=1
	v_and_b32_e32 v88, 7, v77
	v_lshrrev_b16 v108, 3, v77
	v_lshrrev_b16 v77, 7, v77
	s_delay_alu instid0(VALU_DEP_3) | instskip(NEXT) | instid1(VALU_DEP_3)
	v_clz_i32_u32_e32 v106, v88
	v_and_b32_e32 v108, 15, v108
	s_delay_alu instid0(VALU_DEP_3) | instskip(NEXT) | instid1(VALU_DEP_3)
	v_lshlrev_b32_e32 v77, 31, v77
	v_min_u32_e32 v106, 32, v106
	s_delay_alu instid0(VALU_DEP_3) | instskip(NEXT) | instid1(VALU_DEP_2)
	v_cmp_eq_u16_e32 vcc_lo, 0, v108
	v_subrev_nc_u32_e32 v107, 28, v106
	v_sub_nc_u32_e32 v106, 29, v106
	s_wait_alu 0xfffd
	s_delay_alu instid0(VALU_DEP_1) | instskip(NEXT) | instid1(VALU_DEP_1)
	v_dual_cndmask_b32 v106, v108, v106 :: v_dual_lshlrev_b32 v107, v107, v88
	v_and_b32_e32 v107, 7, v107
	s_delay_alu instid0(VALU_DEP_2) | instskip(NEXT) | instid1(VALU_DEP_2)
	v_lshl_add_u32 v106, v106, 23, 0x3b800000
	v_cndmask_b32_e32 v88, v88, v107, vcc_lo
	s_delay_alu instid0(VALU_DEP_1) | instskip(NEXT) | instid1(VALU_DEP_1)
	v_lshlrev_b32_e32 v88, 20, v88
	v_or3_b32 v88, v77, v106, v88
.LBB7_1142:                             ;   in Loop: Header=BB7_62 Depth=1
	s_wait_alu 0xfffe
	s_or_b32 exec_lo, exec_lo, s1
	s_mov_b32 s0, 0
	s_mov_b32 s1, exec_lo
	v_cmpx_lt_i16_e32 0x7f, v76
	s_wait_alu 0xfffe
	s_xor_b32 s1, exec_lo, s1
	s_cbranch_execnz .LBB7_2165
; %bb.1143:                             ;   in Loop: Header=BB7_62 Depth=1
	s_wait_alu 0xfffe
	s_or_saveexec_b32 s1, s1
	v_mov_b32_e32 v77, 0x7f800001
	s_wait_alu 0xfffe
	s_xor_b32 exec_lo, exec_lo, s1
	s_cbranch_execnz .LBB7_2168
.LBB7_1144:                             ;   in Loop: Header=BB7_62 Depth=1
	s_or_b32 exec_lo, exec_lo, s1
	s_and_saveexec_b32 s1, s0
	s_cbranch_execz .LBB7_61
	s_branch .LBB7_2169
.LBB7_1145:                             ;   in Loop: Header=BB7_62 Depth=1
	s_mov_b32 s0, -1
	s_mov_b32 s2, exec_lo
	v_cmpx_eq_u16_e32 0x80, v103
; %bb.1146:                             ;   in Loop: Header=BB7_62 Depth=1
	s_xor_b32 s0, exec_lo, -1
; %bb.1147:                             ;   in Loop: Header=BB7_62 Depth=1
	s_wait_alu 0xfffe
	s_or_b32 exec_lo, exec_lo, s2
	s_delay_alu instid0(SALU_CYCLE_1)
	s_and_b32 s0, s0, exec_lo
                                        ; implicit-def: $vgpr103
	s_or_saveexec_b32 s1, s1
	v_mov_b32_e32 v102, 0x7f800001
	s_wait_alu 0xfffe
	s_xor_b32 exec_lo, exec_lo, s1
	s_cbranch_execz .LBB7_124
.LBB7_1148:                             ;   in Loop: Header=BB7_62 Depth=1
	v_cmp_ne_u16_e32 vcc_lo, 0, v103
	v_mov_b32_e32 v102, 0
	s_and_not1_b32 s0, s0, exec_lo
	s_and_b32 s2, vcc_lo, exec_lo
	s_wait_alu 0xfffe
	s_or_b32 s0, s0, s2
	s_or_b32 exec_lo, exec_lo, s1
	s_wait_alu 0xfffe
	s_and_saveexec_b32 s1, s0
	s_cbranch_execnz .LBB7_125
	s_branch .LBB7_126
.LBB7_1149:                             ;   in Loop: Header=BB7_62 Depth=1
	s_mov_b32 s0, -1
	s_mov_b32 s2, exec_lo
	v_cmpx_eq_u16_e64 0x80, v192
; %bb.1150:                             ;   in Loop: Header=BB7_62 Depth=1
	s_xor_b32 s0, exec_lo, -1
; %bb.1151:                             ;   in Loop: Header=BB7_62 Depth=1
	s_wait_alu 0xfffe
	s_or_b32 exec_lo, exec_lo, s2
	s_delay_alu instid0(SALU_CYCLE_1)
	s_and_b32 s0, s0, exec_lo
                                        ; implicit-def: $vgpr192
	s_or_saveexec_b32 s1, s1
	v_mov_b32_e32 v96, 0x7f800001
	s_wait_alu 0xfffe
	s_xor_b32 exec_lo, exec_lo, s1
	s_cbranch_execz .LBB7_128
.LBB7_1152:                             ;   in Loop: Header=BB7_62 Depth=1
	v_cmp_ne_u16_e64 vcc_lo, 0, v192
	v_mov_b32_e32 v96, 0
	s_and_not1_b32 s0, s0, exec_lo
	s_and_b32 s2, vcc_lo, exec_lo
	s_wait_alu 0xfffe
	s_or_b32 s0, s0, s2
	s_or_b32 exec_lo, exec_lo, s1
	s_wait_alu 0xfffe
	s_and_saveexec_b32 s1, s0
	s_cbranch_execnz .LBB7_129
	s_branch .LBB7_130
.LBB7_1153:                             ;   in Loop: Header=BB7_62 Depth=1
	s_mov_b32 s0, -1
	s_mov_b32 s2, exec_lo
	v_cmpx_eq_u16_e64 0x80, v192
; %bb.1154:                             ;   in Loop: Header=BB7_62 Depth=1
	s_xor_b32 s0, exec_lo, -1
; %bb.1155:                             ;   in Loop: Header=BB7_62 Depth=1
	s_wait_alu 0xfffe
	s_or_b32 exec_lo, exec_lo, s2
	s_delay_alu instid0(SALU_CYCLE_1)
	s_and_b32 s0, s0, exec_lo
                                        ; implicit-def: $vgpr192
	s_or_saveexec_b32 s1, s1
	v_mov_b32_e32 v113, 0x7f800001
	s_wait_alu 0xfffe
	s_xor_b32 exec_lo, exec_lo, s1
	s_cbranch_execz .LBB7_132
.LBB7_1156:                             ;   in Loop: Header=BB7_62 Depth=1
	v_cmp_ne_u16_e64 vcc_lo, 0, v192
	v_mov_b32_e32 v113, 0
	s_and_not1_b32 s0, s0, exec_lo
	s_and_b32 s2, vcc_lo, exec_lo
	s_wait_alu 0xfffe
	s_or_b32 s0, s0, s2
	s_or_b32 exec_lo, exec_lo, s1
	s_wait_alu 0xfffe
	s_and_saveexec_b32 s1, s0
	s_cbranch_execnz .LBB7_133
	s_branch .LBB7_134
.LBB7_1157:                             ;   in Loop: Header=BB7_62 Depth=1
	s_mov_b32 s0, -1
	s_mov_b32 s2, exec_lo
	v_cmpx_eq_u16_e32 0x80, v117
; %bb.1158:                             ;   in Loop: Header=BB7_62 Depth=1
	s_xor_b32 s0, exec_lo, -1
; %bb.1159:                             ;   in Loop: Header=BB7_62 Depth=1
	s_wait_alu 0xfffe
	s_or_b32 exec_lo, exec_lo, s2
	s_delay_alu instid0(SALU_CYCLE_1)
	s_and_b32 s0, s0, exec_lo
	s_or_saveexec_b32 s1, s1
	v_mov_b32_e32 v115, 0x7f800001
	s_wait_alu 0xfffe
	s_xor_b32 exec_lo, exec_lo, s1
	s_cbranch_execz .LBB7_136
.LBB7_1160:                             ;   in Loop: Header=BB7_62 Depth=1
	v_cmp_ne_u16_e32 vcc_lo, 0, v117
	v_mov_b32_e32 v115, 0
	s_and_not1_b32 s0, s0, exec_lo
	s_and_b32 s2, vcc_lo, exec_lo
	s_wait_alu 0xfffe
	s_or_b32 s0, s0, s2
	s_or_b32 exec_lo, exec_lo, s1
	s_wait_alu 0xfffe
	s_and_saveexec_b32 s1, s0
	s_cbranch_execnz .LBB7_137
	s_branch .LBB7_138
.LBB7_1161:                             ;   in Loop: Header=BB7_62 Depth=1
	s_mov_b32 s0, -1
	s_mov_b32 s2, exec_lo
	v_cmpx_eq_u16_e64 0x80, v192
; %bb.1162:                             ;   in Loop: Header=BB7_62 Depth=1
	s_xor_b32 s0, exec_lo, -1
; %bb.1163:                             ;   in Loop: Header=BB7_62 Depth=1
	s_wait_alu 0xfffe
	s_or_b32 exec_lo, exec_lo, s2
	s_delay_alu instid0(SALU_CYCLE_1)
	s_and_b32 s0, s0, exec_lo
                                        ; implicit-def: $vgpr192
	s_or_saveexec_b32 s1, s1
	v_mov_b32_e32 v117, 0x7f800001
	s_wait_alu 0xfffe
	s_xor_b32 exec_lo, exec_lo, s1
	s_cbranch_execz .LBB7_140
.LBB7_1164:                             ;   in Loop: Header=BB7_62 Depth=1
	v_cmp_ne_u16_e64 vcc_lo, 0, v192
	v_mov_b32_e32 v117, 0
	s_and_not1_b32 s0, s0, exec_lo
	s_and_b32 s2, vcc_lo, exec_lo
	s_wait_alu 0xfffe
	s_or_b32 s0, s0, s2
	s_or_b32 exec_lo, exec_lo, s1
	s_wait_alu 0xfffe
	s_and_saveexec_b32 s1, s0
	s_cbranch_execnz .LBB7_141
	s_branch .LBB7_142
.LBB7_1165:                             ;   in Loop: Header=BB7_62 Depth=1
	s_mov_b32 s0, -1
	s_mov_b32 s2, exec_lo
	v_cmpx_eq_u16_e64 0x80, v192
; %bb.1166:                             ;   in Loop: Header=BB7_62 Depth=1
	s_xor_b32 s0, exec_lo, -1
; %bb.1167:                             ;   in Loop: Header=BB7_62 Depth=1
	s_wait_alu 0xfffe
	s_or_b32 exec_lo, exec_lo, s2
	s_delay_alu instid0(SALU_CYCLE_1)
	s_and_b32 s0, s0, exec_lo
                                        ; implicit-def: $vgpr192
	s_or_saveexec_b32 s1, s1
	v_mov_b32_e32 v97, 0x7f800001
	s_wait_alu 0xfffe
	s_xor_b32 exec_lo, exec_lo, s1
	s_cbranch_execz .LBB7_144
.LBB7_1168:                             ;   in Loop: Header=BB7_62 Depth=1
	v_cmp_ne_u16_e64 vcc_lo, 0, v192
	v_mov_b32_e32 v97, 0
	s_and_not1_b32 s0, s0, exec_lo
	s_and_b32 s2, vcc_lo, exec_lo
	s_wait_alu 0xfffe
	s_or_b32 s0, s0, s2
	s_or_b32 exec_lo, exec_lo, s1
	s_wait_alu 0xfffe
	s_and_saveexec_b32 s1, s0
	s_cbranch_execnz .LBB7_145
	s_branch .LBB7_146
.LBB7_1169:                             ;   in Loop: Header=BB7_62 Depth=1
	s_mov_b32 s0, -1
	s_mov_b32 s2, exec_lo
	v_cmpx_eq_u16_e64 0x80, v192
; %bb.1170:                             ;   in Loop: Header=BB7_62 Depth=1
	s_xor_b32 s0, exec_lo, -1
; %bb.1171:                             ;   in Loop: Header=BB7_62 Depth=1
	s_wait_alu 0xfffe
	s_or_b32 exec_lo, exec_lo, s2
	s_delay_alu instid0(SALU_CYCLE_1)
	s_and_b32 s0, s0, exec_lo
                                        ; implicit-def: $vgpr192
	s_or_saveexec_b32 s1, s1
	v_mov_b32_e32 v128, 0x7f800001
	s_wait_alu 0xfffe
	s_xor_b32 exec_lo, exec_lo, s1
	s_cbranch_execz .LBB7_148
.LBB7_1172:                             ;   in Loop: Header=BB7_62 Depth=1
	v_cmp_ne_u16_e64 vcc_lo, 0, v192
	v_mov_b32_e32 v128, 0
	s_and_not1_b32 s0, s0, exec_lo
	s_and_b32 s2, vcc_lo, exec_lo
	s_wait_alu 0xfffe
	s_or_b32 s0, s0, s2
	s_or_b32 exec_lo, exec_lo, s1
	s_wait_alu 0xfffe
	s_and_saveexec_b32 s1, s0
	s_cbranch_execnz .LBB7_149
	s_branch .LBB7_150
.LBB7_1173:                             ;   in Loop: Header=BB7_62 Depth=1
	s_mov_b32 s0, -1
	s_mov_b32 s2, exec_lo
	v_cmpx_eq_u16_e64 0x80, v131
; %bb.1174:                             ;   in Loop: Header=BB7_62 Depth=1
	s_xor_b32 s0, exec_lo, -1
; %bb.1175:                             ;   in Loop: Header=BB7_62 Depth=1
	s_wait_alu 0xfffe
	s_or_b32 exec_lo, exec_lo, s2
	s_delay_alu instid0(SALU_CYCLE_1)
	s_and_b32 s0, s0, exec_lo
	s_or_saveexec_b32 s1, s1
	v_mov_b32_e32 v130, 0x7f800001
	s_wait_alu 0xfffe
	s_xor_b32 exec_lo, exec_lo, s1
	s_cbranch_execz .LBB7_152
.LBB7_1176:                             ;   in Loop: Header=BB7_62 Depth=1
	v_cmp_ne_u16_e64 vcc_lo, 0, v131
	v_mov_b32_e32 v130, 0
	s_and_not1_b32 s0, s0, exec_lo
	s_and_b32 s2, vcc_lo, exec_lo
	s_wait_alu 0xfffe
	s_or_b32 s0, s0, s2
	s_or_b32 exec_lo, exec_lo, s1
	s_wait_alu 0xfffe
	s_and_saveexec_b32 s1, s0
	s_cbranch_execnz .LBB7_153
	s_branch .LBB7_154
.LBB7_1177:                             ;   in Loop: Header=BB7_62 Depth=1
	s_mov_b32 s0, -1
	s_mov_b32 s2, exec_lo
	v_cmpx_eq_u16_e64 0x80, v192
; %bb.1178:                             ;   in Loop: Header=BB7_62 Depth=1
	s_xor_b32 s0, exec_lo, -1
; %bb.1179:                             ;   in Loop: Header=BB7_62 Depth=1
	s_wait_alu 0xfffe
	s_or_b32 exec_lo, exec_lo, s2
	s_delay_alu instid0(SALU_CYCLE_1)
	s_and_b32 s0, s0, exec_lo
                                        ; implicit-def: $vgpr192
	s_or_saveexec_b32 s1, s1
	v_mov_b32_e32 v131, 0x7f800001
	s_wait_alu 0xfffe
	s_xor_b32 exec_lo, exec_lo, s1
	s_cbranch_execz .LBB7_156
.LBB7_1180:                             ;   in Loop: Header=BB7_62 Depth=1
	v_cmp_ne_u16_e64 vcc_lo, 0, v192
	v_mov_b32_e32 v131, 0
	s_and_not1_b32 s0, s0, exec_lo
	s_and_b32 s2, vcc_lo, exec_lo
	s_wait_alu 0xfffe
	s_or_b32 s0, s0, s2
	s_or_b32 exec_lo, exec_lo, s1
	s_wait_alu 0xfffe
	s_and_saveexec_b32 s1, s0
	s_cbranch_execnz .LBB7_157
	s_branch .LBB7_158
.LBB7_1181:                             ;   in Loop: Header=BB7_62 Depth=1
	s_mov_b32 s0, -1
	s_mov_b32 s2, exec_lo
	v_cmpx_eq_u16_e64 0x80, v192
; %bb.1182:                             ;   in Loop: Header=BB7_62 Depth=1
	s_xor_b32 s0, exec_lo, -1
; %bb.1183:                             ;   in Loop: Header=BB7_62 Depth=1
	s_wait_alu 0xfffe
	s_or_b32 exec_lo, exec_lo, s2
	s_delay_alu instid0(SALU_CYCLE_1)
	s_and_b32 s0, s0, exec_lo
                                        ; implicit-def: $vgpr192
	s_or_saveexec_b32 s1, s1
	v_mov_b32_e32 v98, 0x7f800001
	s_wait_alu 0xfffe
	s_xor_b32 exec_lo, exec_lo, s1
	s_cbranch_execz .LBB7_160
.LBB7_1184:                             ;   in Loop: Header=BB7_62 Depth=1
	v_cmp_ne_u16_e64 vcc_lo, 0, v192
	v_mov_b32_e32 v98, 0
	s_and_not1_b32 s0, s0, exec_lo
	s_and_b32 s2, vcc_lo, exec_lo
	s_wait_alu 0xfffe
	s_or_b32 s0, s0, s2
	s_or_b32 exec_lo, exec_lo, s1
	s_wait_alu 0xfffe
	s_and_saveexec_b32 s1, s0
	s_cbranch_execnz .LBB7_161
	s_branch .LBB7_162
.LBB7_1185:                             ;   in Loop: Header=BB7_62 Depth=1
	s_mov_b32 s0, -1
	s_mov_b32 s2, exec_lo
	v_cmpx_eq_u16_e64 0x80, v192
; %bb.1186:                             ;   in Loop: Header=BB7_62 Depth=1
	s_xor_b32 s0, exec_lo, -1
; %bb.1187:                             ;   in Loop: Header=BB7_62 Depth=1
	s_wait_alu 0xfffe
	s_or_b32 exec_lo, exec_lo, s2
	s_delay_alu instid0(SALU_CYCLE_1)
	s_and_b32 s0, s0, exec_lo
                                        ; implicit-def: $vgpr192
	s_or_saveexec_b32 s1, s1
	v_mov_b32_e32 v129, 0x7f800001
	s_wait_alu 0xfffe
	s_xor_b32 exec_lo, exec_lo, s1
	s_cbranch_execz .LBB7_164
.LBB7_1188:                             ;   in Loop: Header=BB7_62 Depth=1
	v_cmp_ne_u16_e64 vcc_lo, 0, v192
	v_mov_b32_e32 v129, 0
	s_and_not1_b32 s0, s0, exec_lo
	s_and_b32 s2, vcc_lo, exec_lo
	s_wait_alu 0xfffe
	s_or_b32 s0, s0, s2
	s_or_b32 exec_lo, exec_lo, s1
	s_wait_alu 0xfffe
	s_and_saveexec_b32 s1, s0
	s_cbranch_execnz .LBB7_165
	s_branch .LBB7_166
.LBB7_1189:                             ;   in Loop: Header=BB7_62 Depth=1
	s_mov_b32 s0, -1
	s_mov_b32 s2, exec_lo
	v_cmpx_eq_u16_e32 0x80, v118
; %bb.1190:                             ;   in Loop: Header=BB7_62 Depth=1
	s_xor_b32 s0, exec_lo, -1
; %bb.1191:                             ;   in Loop: Header=BB7_62 Depth=1
	s_wait_alu 0xfffe
	s_or_b32 exec_lo, exec_lo, s2
	s_delay_alu instid0(SALU_CYCLE_1)
	s_and_b32 s0, s0, exec_lo
	s_or_saveexec_b32 s1, s1
	v_mov_b32_e32 v119, 0x7f800001
	s_wait_alu 0xfffe
	s_xor_b32 exec_lo, exec_lo, s1
	s_cbranch_execz .LBB7_168
.LBB7_1192:                             ;   in Loop: Header=BB7_62 Depth=1
	v_cmp_ne_u16_e32 vcc_lo, 0, v118
	v_mov_b32_e32 v119, 0
	s_and_not1_b32 s0, s0, exec_lo
	s_and_b32 s2, vcc_lo, exec_lo
	s_wait_alu 0xfffe
	s_or_b32 s0, s0, s2
	s_or_b32 exec_lo, exec_lo, s1
	s_wait_alu 0xfffe
	s_and_saveexec_b32 s1, s0
	s_cbranch_execnz .LBB7_169
	s_branch .LBB7_170
.LBB7_1193:                             ;   in Loop: Header=BB7_62 Depth=1
	s_mov_b32 s0, -1
	s_mov_b32 s2, exec_lo
	v_cmpx_eq_u16_e64 0x80, v192
; %bb.1194:                             ;   in Loop: Header=BB7_62 Depth=1
	s_xor_b32 s0, exec_lo, -1
; %bb.1195:                             ;   in Loop: Header=BB7_62 Depth=1
	s_wait_alu 0xfffe
	s_or_b32 exec_lo, exec_lo, s2
	s_delay_alu instid0(SALU_CYCLE_1)
	s_and_b32 s0, s0, exec_lo
                                        ; implicit-def: $vgpr192
	s_or_saveexec_b32 s1, s1
	v_mov_b32_e32 v118, 0x7f800001
	s_wait_alu 0xfffe
	s_xor_b32 exec_lo, exec_lo, s1
	s_cbranch_execz .LBB7_172
.LBB7_1196:                             ;   in Loop: Header=BB7_62 Depth=1
	v_cmp_ne_u16_e64 vcc_lo, 0, v192
	v_mov_b32_e32 v118, 0
	s_and_not1_b32 s0, s0, exec_lo
	s_and_b32 s2, vcc_lo, exec_lo
	s_wait_alu 0xfffe
	s_or_b32 s0, s0, s2
	s_or_b32 exec_lo, exec_lo, s1
	s_wait_alu 0xfffe
	s_and_saveexec_b32 s1, s0
	s_cbranch_execnz .LBB7_173
	s_branch .LBB7_174
.LBB7_1197:                             ;   in Loop: Header=BB7_62 Depth=1
	s_mov_b32 s0, -1
	s_mov_b32 s2, exec_lo
	v_cmpx_eq_u16_e64 0x80, v192
; %bb.1198:                             ;   in Loop: Header=BB7_62 Depth=1
	s_xor_b32 s0, exec_lo, -1
; %bb.1199:                             ;   in Loop: Header=BB7_62 Depth=1
	s_wait_alu 0xfffe
	s_or_b32 exec_lo, exec_lo, s2
	s_delay_alu instid0(SALU_CYCLE_1)
	s_and_b32 s0, s0, exec_lo
                                        ; implicit-def: $vgpr192
	s_or_saveexec_b32 s1, s1
	v_mov_b32_e32 v99, 0x7f800001
	s_wait_alu 0xfffe
	s_xor_b32 exec_lo, exec_lo, s1
	s_cbranch_execz .LBB7_176
.LBB7_1200:                             ;   in Loop: Header=BB7_62 Depth=1
	v_cmp_ne_u16_e64 vcc_lo, 0, v192
	v_mov_b32_e32 v99, 0
	s_and_not1_b32 s0, s0, exec_lo
	s_and_b32 s2, vcc_lo, exec_lo
	s_wait_alu 0xfffe
	s_or_b32 s0, s0, s2
	s_or_b32 exec_lo, exec_lo, s1
	s_wait_alu 0xfffe
	s_and_saveexec_b32 s1, s0
	s_cbranch_execnz .LBB7_177
	s_branch .LBB7_178
.LBB7_1201:                             ;   in Loop: Header=BB7_62 Depth=1
	s_mov_b32 s0, -1
	s_mov_b32 s2, exec_lo
	v_cmpx_eq_u16_e64 0x80, v192
; %bb.1202:                             ;   in Loop: Header=BB7_62 Depth=1
	s_xor_b32 s0, exec_lo, -1
; %bb.1203:                             ;   in Loop: Header=BB7_62 Depth=1
	s_wait_alu 0xfffe
	s_or_b32 exec_lo, exec_lo, s2
	s_delay_alu instid0(SALU_CYCLE_1)
	s_and_b32 s0, s0, exec_lo
                                        ; implicit-def: $vgpr192
	s_or_saveexec_b32 s1, s1
	v_mov_b32_e32 v114, 0x7f800001
	s_wait_alu 0xfffe
	s_xor_b32 exec_lo, exec_lo, s1
	s_cbranch_execz .LBB7_180
.LBB7_1204:                             ;   in Loop: Header=BB7_62 Depth=1
	v_cmp_ne_u16_e64 vcc_lo, 0, v192
	v_mov_b32_e32 v114, 0
	s_and_not1_b32 s0, s0, exec_lo
	s_and_b32 s2, vcc_lo, exec_lo
	s_wait_alu 0xfffe
	s_or_b32 s0, s0, s2
	s_or_b32 exec_lo, exec_lo, s1
	s_wait_alu 0xfffe
	s_and_saveexec_b32 s1, s0
	s_cbranch_execnz .LBB7_181
	s_branch .LBB7_182
.LBB7_1205:                             ;   in Loop: Header=BB7_62 Depth=1
	s_mov_b32 s0, -1
	s_mov_b32 s2, exec_lo
	v_cmpx_eq_u16_e32 0x80, v103
; %bb.1206:                             ;   in Loop: Header=BB7_62 Depth=1
	s_xor_b32 s0, exec_lo, -1
; %bb.1207:                             ;   in Loop: Header=BB7_62 Depth=1
	s_wait_alu 0xfffe
	s_or_b32 exec_lo, exec_lo, s2
	s_delay_alu instid0(SALU_CYCLE_1)
	s_and_b32 s0, s0, exec_lo
	s_or_saveexec_b32 s1, s1
	v_mov_b32_e32 v112, 0x7f800001
	s_wait_alu 0xfffe
	s_xor_b32 exec_lo, exec_lo, s1
	s_cbranch_execz .LBB7_184
.LBB7_1208:                             ;   in Loop: Header=BB7_62 Depth=1
	v_cmp_ne_u16_e32 vcc_lo, 0, v103
	v_mov_b32_e32 v112, 0
	s_and_not1_b32 s0, s0, exec_lo
	s_and_b32 s2, vcc_lo, exec_lo
	s_wait_alu 0xfffe
	s_or_b32 s0, s0, s2
	s_or_b32 exec_lo, exec_lo, s1
	s_wait_alu 0xfffe
	s_and_saveexec_b32 s1, s0
	s_cbranch_execnz .LBB7_185
	s_branch .LBB7_186
.LBB7_1209:                             ;   in Loop: Header=BB7_62 Depth=1
	s_mov_b32 s0, -1
	s_mov_b32 s2, exec_lo
	v_cmpx_eq_u16_e32 0x80, v118
; %bb.1210:                             ;   in Loop: Header=BB7_62 Depth=1
	s_xor_b32 s0, exec_lo, -1
; %bb.1211:                             ;   in Loop: Header=BB7_62 Depth=1
	s_wait_alu 0xfffe
	s_or_b32 exec_lo, exec_lo, s2
	s_delay_alu instid0(SALU_CYCLE_1)
	s_and_b32 s0, s0, exec_lo
                                        ; implicit-def: $vgpr118
	s_or_saveexec_b32 s1, s1
	v_mov_b32_e32 v117, 0x7f800001
	s_wait_alu 0xfffe
	s_xor_b32 exec_lo, exec_lo, s1
	s_cbranch_execz .LBB7_188
.LBB7_1212:                             ;   in Loop: Header=BB7_62 Depth=1
	v_cmp_ne_u16_e32 vcc_lo, 0, v118
	v_mov_b32_e32 v117, 0
	s_and_not1_b32 s0, s0, exec_lo
	s_and_b32 s2, vcc_lo, exec_lo
	s_wait_alu 0xfffe
	s_or_b32 s0, s0, s2
	s_or_b32 exec_lo, exec_lo, s1
	s_wait_alu 0xfffe
	s_and_saveexec_b32 s1, s0
	s_cbranch_execnz .LBB7_189
	s_branch .LBB7_190
.LBB7_1213:                             ;   in Loop: Header=BB7_62 Depth=1
	s_mov_b32 s0, -1
	s_mov_b32 s2, exec_lo
	v_cmpx_eq_u16_e64 0x80, v198
; %bb.1214:                             ;   in Loop: Header=BB7_62 Depth=1
	s_xor_b32 s0, exec_lo, -1
; %bb.1215:                             ;   in Loop: Header=BB7_62 Depth=1
	s_wait_alu 0xfffe
	s_or_b32 exec_lo, exec_lo, s2
	s_delay_alu instid0(SALU_CYCLE_1)
	s_and_b32 s0, s0, exec_lo
                                        ; implicit-def: $vgpr198
	s_or_saveexec_b32 s1, s1
	v_mov_b32_e32 v96, 0x7f800001
	s_wait_alu 0xfffe
	s_xor_b32 exec_lo, exec_lo, s1
	s_cbranch_execz .LBB7_192
.LBB7_1216:                             ;   in Loop: Header=BB7_62 Depth=1
	v_cmp_ne_u16_e64 vcc_lo, 0, v198
	v_mov_b32_e32 v96, 0
	s_and_not1_b32 s0, s0, exec_lo
	s_and_b32 s2, vcc_lo, exec_lo
	s_wait_alu 0xfffe
	s_or_b32 s0, s0, s2
	s_or_b32 exec_lo, exec_lo, s1
	s_wait_alu 0xfffe
	s_and_saveexec_b32 s1, s0
	s_cbranch_execnz .LBB7_193
	s_branch .LBB7_194
.LBB7_1217:                             ;   in Loop: Header=BB7_62 Depth=1
	s_mov_b32 s0, -1
	s_mov_b32 s2, exec_lo
	v_cmpx_eq_u16_e64 0x80, v198
; %bb.1218:                             ;   in Loop: Header=BB7_62 Depth=1
	s_xor_b32 s0, exec_lo, -1
; %bb.1219:                             ;   in Loop: Header=BB7_62 Depth=1
	s_wait_alu 0xfffe
	s_or_b32 exec_lo, exec_lo, s2
	s_delay_alu instid0(SALU_CYCLE_1)
	s_and_b32 s0, s0, exec_lo
                                        ; implicit-def: $vgpr198
	s_or_saveexec_b32 s1, s1
	v_mov_b32_e32 v128, 0x7f800001
	s_wait_alu 0xfffe
	s_xor_b32 exec_lo, exec_lo, s1
	s_cbranch_execz .LBB7_196
.LBB7_1220:                             ;   in Loop: Header=BB7_62 Depth=1
	v_cmp_ne_u16_e64 vcc_lo, 0, v198
	v_mov_b32_e32 v128, 0
	s_and_not1_b32 s0, s0, exec_lo
	s_and_b32 s2, vcc_lo, exec_lo
	s_wait_alu 0xfffe
	s_or_b32 s0, s0, s2
	s_or_b32 exec_lo, exec_lo, s1
	s_wait_alu 0xfffe
	s_and_saveexec_b32 s1, s0
	s_cbranch_execnz .LBB7_197
	s_branch .LBB7_198
.LBB7_1221:                             ;   in Loop: Header=BB7_62 Depth=1
	s_mov_b32 s0, -1
	s_mov_b32 s2, exec_lo
	v_cmpx_eq_u16_e64 0x80, v131
; %bb.1222:                             ;   in Loop: Header=BB7_62 Depth=1
	s_xor_b32 s0, exec_lo, -1
; %bb.1223:                             ;   in Loop: Header=BB7_62 Depth=1
	s_wait_alu 0xfffe
	s_or_b32 exec_lo, exec_lo, s2
	s_delay_alu instid0(SALU_CYCLE_1)
	s_and_b32 s0, s0, exec_lo
	s_or_saveexec_b32 s1, s1
	v_mov_b32_e32 v130, 0x7f800001
	s_wait_alu 0xfffe
	s_xor_b32 exec_lo, exec_lo, s1
	s_cbranch_execz .LBB7_200
.LBB7_1224:                             ;   in Loop: Header=BB7_62 Depth=1
	v_cmp_ne_u16_e64 vcc_lo, 0, v131
	v_mov_b32_e32 v130, 0
	s_and_not1_b32 s0, s0, exec_lo
	s_and_b32 s2, vcc_lo, exec_lo
	s_wait_alu 0xfffe
	s_or_b32 s0, s0, s2
	s_or_b32 exec_lo, exec_lo, s1
	s_wait_alu 0xfffe
	s_and_saveexec_b32 s1, s0
	s_cbranch_execnz .LBB7_201
	s_branch .LBB7_202
.LBB7_1225:                             ;   in Loop: Header=BB7_62 Depth=1
	s_mov_b32 s0, -1
	s_mov_b32 s2, exec_lo
	v_cmpx_eq_u16_e64 0x80, v198
; %bb.1226:                             ;   in Loop: Header=BB7_62 Depth=1
	s_xor_b32 s0, exec_lo, -1
; %bb.1227:                             ;   in Loop: Header=BB7_62 Depth=1
	s_wait_alu 0xfffe
	s_or_b32 exec_lo, exec_lo, s2
	s_delay_alu instid0(SALU_CYCLE_1)
	s_and_b32 s0, s0, exec_lo
                                        ; implicit-def: $vgpr198
	s_or_saveexec_b32 s1, s1
	v_mov_b32_e32 v131, 0x7f800001
	s_wait_alu 0xfffe
	s_xor_b32 exec_lo, exec_lo, s1
	s_cbranch_execz .LBB7_204
.LBB7_1228:                             ;   in Loop: Header=BB7_62 Depth=1
	v_cmp_ne_u16_e64 vcc_lo, 0, v198
	v_mov_b32_e32 v131, 0
	s_and_not1_b32 s0, s0, exec_lo
	s_and_b32 s2, vcc_lo, exec_lo
	s_wait_alu 0xfffe
	s_or_b32 s0, s0, s2
	s_or_b32 exec_lo, exec_lo, s1
	s_wait_alu 0xfffe
	s_and_saveexec_b32 s1, s0
	s_cbranch_execnz .LBB7_205
	s_branch .LBB7_206
.LBB7_1229:                             ;   in Loop: Header=BB7_62 Depth=1
	s_mov_b32 s0, -1
	s_mov_b32 s2, exec_lo
	v_cmpx_eq_u16_e64 0x80, v198
; %bb.1230:                             ;   in Loop: Header=BB7_62 Depth=1
	s_xor_b32 s0, exec_lo, -1
; %bb.1231:                             ;   in Loop: Header=BB7_62 Depth=1
	s_wait_alu 0xfffe
	s_or_b32 exec_lo, exec_lo, s2
	s_delay_alu instid0(SALU_CYCLE_1)
	s_and_b32 s0, s0, exec_lo
                                        ; implicit-def: $vgpr198
	s_or_saveexec_b32 s1, s1
	v_mov_b32_e32 v97, 0x7f800001
	s_wait_alu 0xfffe
	s_xor_b32 exec_lo, exec_lo, s1
	s_cbranch_execz .LBB7_208
.LBB7_1232:                             ;   in Loop: Header=BB7_62 Depth=1
	v_cmp_ne_u16_e64 vcc_lo, 0, v198
	v_mov_b32_e32 v97, 0
	s_and_not1_b32 s0, s0, exec_lo
	s_and_b32 s2, vcc_lo, exec_lo
	s_wait_alu 0xfffe
	s_or_b32 s0, s0, s2
	s_or_b32 exec_lo, exec_lo, s1
	s_wait_alu 0xfffe
	s_and_saveexec_b32 s1, s0
	s_cbranch_execnz .LBB7_209
	s_branch .LBB7_210
.LBB7_1233:                             ;   in Loop: Header=BB7_62 Depth=1
	s_mov_b32 s0, -1
	s_mov_b32 s2, exec_lo
	v_cmpx_eq_u16_e64 0x80, v198
; %bb.1234:                             ;   in Loop: Header=BB7_62 Depth=1
	s_xor_b32 s0, exec_lo, -1
; %bb.1235:                             ;   in Loop: Header=BB7_62 Depth=1
	s_wait_alu 0xfffe
	s_or_b32 exec_lo, exec_lo, s2
	s_delay_alu instid0(SALU_CYCLE_1)
	s_and_b32 s0, s0, exec_lo
                                        ; implicit-def: $vgpr198
	s_or_saveexec_b32 s1, s1
	v_mov_b32_e32 v194, 0x7f800001
	s_wait_alu 0xfffe
	s_xor_b32 exec_lo, exec_lo, s1
	s_cbranch_execz .LBB7_212
.LBB7_1236:                             ;   in Loop: Header=BB7_62 Depth=1
	v_cmp_ne_u16_e64 vcc_lo, 0, v198
	v_mov_b32_e32 v194, 0
	s_and_not1_b32 s0, s0, exec_lo
	s_and_b32 s2, vcc_lo, exec_lo
	s_wait_alu 0xfffe
	s_or_b32 s0, s0, s2
	s_or_b32 exec_lo, exec_lo, s1
	s_wait_alu 0xfffe
	s_and_saveexec_b32 s1, s0
	s_cbranch_execnz .LBB7_213
	s_branch .LBB7_214
.LBB7_1237:                             ;   in Loop: Header=BB7_62 Depth=1
	s_mov_b32 s0, -1
	s_mov_b32 s2, exec_lo
	v_cmpx_eq_u16_e64 0x80, v197
; %bb.1238:                             ;   in Loop: Header=BB7_62 Depth=1
	s_xor_b32 s0, exec_lo, -1
; %bb.1239:                             ;   in Loop: Header=BB7_62 Depth=1
	s_wait_alu 0xfffe
	s_or_b32 exec_lo, exec_lo, s2
	s_delay_alu instid0(SALU_CYCLE_1)
	s_and_b32 s0, s0, exec_lo
	s_or_saveexec_b32 s1, s1
	v_mov_b32_e32 v196, 0x7f800001
	s_wait_alu 0xfffe
	s_xor_b32 exec_lo, exec_lo, s1
	s_cbranch_execz .LBB7_216
.LBB7_1240:                             ;   in Loop: Header=BB7_62 Depth=1
	v_cmp_ne_u16_e64 vcc_lo, 0, v197
	v_mov_b32_e32 v196, 0
	s_and_not1_b32 s0, s0, exec_lo
	s_and_b32 s2, vcc_lo, exec_lo
	s_wait_alu 0xfffe
	s_or_b32 s0, s0, s2
	s_or_b32 exec_lo, exec_lo, s1
	s_wait_alu 0xfffe
	s_and_saveexec_b32 s1, s0
	s_cbranch_execnz .LBB7_217
	s_branch .LBB7_218
.LBB7_1241:                             ;   in Loop: Header=BB7_62 Depth=1
	s_mov_b32 s0, -1
	s_mov_b32 s2, exec_lo
	v_cmpx_eq_u16_e64 0x80, v198
; %bb.1242:                             ;   in Loop: Header=BB7_62 Depth=1
	s_xor_b32 s0, exec_lo, -1
; %bb.1243:                             ;   in Loop: Header=BB7_62 Depth=1
	s_wait_alu 0xfffe
	s_or_b32 exec_lo, exec_lo, s2
	s_delay_alu instid0(SALU_CYCLE_1)
	s_and_b32 s0, s0, exec_lo
                                        ; implicit-def: $vgpr198
	s_or_saveexec_b32 s1, s1
	v_mov_b32_e32 v197, 0x7f800001
	s_wait_alu 0xfffe
	s_xor_b32 exec_lo, exec_lo, s1
	s_cbranch_execz .LBB7_220
.LBB7_1244:                             ;   in Loop: Header=BB7_62 Depth=1
	v_cmp_ne_u16_e64 vcc_lo, 0, v198
	v_mov_b32_e32 v197, 0
	s_and_not1_b32 s0, s0, exec_lo
	s_and_b32 s2, vcc_lo, exec_lo
	s_wait_alu 0xfffe
	s_or_b32 s0, s0, s2
	s_or_b32 exec_lo, exec_lo, s1
	s_wait_alu 0xfffe
	s_and_saveexec_b32 s1, s0
	s_cbranch_execnz .LBB7_221
	s_branch .LBB7_222
.LBB7_1245:                             ;   in Loop: Header=BB7_62 Depth=1
	s_mov_b32 s0, -1
	s_mov_b32 s2, exec_lo
	v_cmpx_eq_u16_e64 0x80, v198
; %bb.1246:                             ;   in Loop: Header=BB7_62 Depth=1
	s_xor_b32 s0, exec_lo, -1
; %bb.1247:                             ;   in Loop: Header=BB7_62 Depth=1
	s_wait_alu 0xfffe
	s_or_b32 exec_lo, exec_lo, s2
	s_delay_alu instid0(SALU_CYCLE_1)
	s_and_b32 s0, s0, exec_lo
                                        ; implicit-def: $vgpr198
	s_or_saveexec_b32 s1, s1
	v_mov_b32_e32 v98, 0x7f800001
	s_wait_alu 0xfffe
	s_xor_b32 exec_lo, exec_lo, s1
	s_cbranch_execz .LBB7_224
.LBB7_1248:                             ;   in Loop: Header=BB7_62 Depth=1
	v_cmp_ne_u16_e64 vcc_lo, 0, v198
	v_mov_b32_e32 v98, 0
	s_and_not1_b32 s0, s0, exec_lo
	s_and_b32 s2, vcc_lo, exec_lo
	s_wait_alu 0xfffe
	s_or_b32 s0, s0, s2
	s_or_b32 exec_lo, exec_lo, s1
	s_wait_alu 0xfffe
	s_and_saveexec_b32 s1, s0
	s_cbranch_execnz .LBB7_225
	s_branch .LBB7_226
.LBB7_1249:                             ;   in Loop: Header=BB7_62 Depth=1
	s_mov_b32 s0, -1
	s_mov_b32 s2, exec_lo
	v_cmpx_eq_u16_e64 0x80, v198
; %bb.1250:                             ;   in Loop: Header=BB7_62 Depth=1
	s_xor_b32 s0, exec_lo, -1
; %bb.1251:                             ;   in Loop: Header=BB7_62 Depth=1
	s_wait_alu 0xfffe
	s_or_b32 exec_lo, exec_lo, s2
	s_delay_alu instid0(SALU_CYCLE_1)
	s_and_b32 s0, s0, exec_lo
                                        ; implicit-def: $vgpr198
	s_or_saveexec_b32 s1, s1
	v_mov_b32_e32 v195, 0x7f800001
	s_wait_alu 0xfffe
	s_xor_b32 exec_lo, exec_lo, s1
	s_cbranch_execz .LBB7_228
.LBB7_1252:                             ;   in Loop: Header=BB7_62 Depth=1
	v_cmp_ne_u16_e64 vcc_lo, 0, v198
	v_mov_b32_e32 v195, 0
	s_and_not1_b32 s0, s0, exec_lo
	s_and_b32 s2, vcc_lo, exec_lo
	s_wait_alu 0xfffe
	s_or_b32 s0, s0, s2
	s_or_b32 exec_lo, exec_lo, s1
	s_wait_alu 0xfffe
	s_and_saveexec_b32 s1, s0
	s_cbranch_execnz .LBB7_229
	s_branch .LBB7_230
.LBB7_1253:                             ;   in Loop: Header=BB7_62 Depth=1
	s_mov_b32 s0, -1
	s_mov_b32 s2, exec_lo
	v_cmpx_eq_u16_e64 0x80, v192
; %bb.1254:                             ;   in Loop: Header=BB7_62 Depth=1
	s_xor_b32 s0, exec_lo, -1
; %bb.1255:                             ;   in Loop: Header=BB7_62 Depth=1
	s_wait_alu 0xfffe
	s_or_b32 exec_lo, exec_lo, s2
	s_delay_alu instid0(SALU_CYCLE_1)
	s_and_b32 s0, s0, exec_lo
	s_or_saveexec_b32 s1, s1
	v_mov_b32_e32 v193, 0x7f800001
	s_wait_alu 0xfffe
	s_xor_b32 exec_lo, exec_lo, s1
	s_cbranch_execz .LBB7_232
.LBB7_1256:                             ;   in Loop: Header=BB7_62 Depth=1
	v_cmp_ne_u16_e64 vcc_lo, 0, v192
	v_mov_b32_e32 v193, 0
	s_and_not1_b32 s0, s0, exec_lo
	s_and_b32 s2, vcc_lo, exec_lo
	s_wait_alu 0xfffe
	s_or_b32 s0, s0, s2
	s_or_b32 exec_lo, exec_lo, s1
	s_wait_alu 0xfffe
	s_and_saveexec_b32 s1, s0
	s_cbranch_execnz .LBB7_233
	s_branch .LBB7_234
.LBB7_1257:                             ;   in Loop: Header=BB7_62 Depth=1
	s_mov_b32 s0, -1
	s_mov_b32 s2, exec_lo
	v_cmpx_eq_u16_e64 0x80, v198
; %bb.1258:                             ;   in Loop: Header=BB7_62 Depth=1
	s_xor_b32 s0, exec_lo, -1
; %bb.1259:                             ;   in Loop: Header=BB7_62 Depth=1
	s_wait_alu 0xfffe
	s_or_b32 exec_lo, exec_lo, s2
	s_delay_alu instid0(SALU_CYCLE_1)
	s_and_b32 s0, s0, exec_lo
                                        ; implicit-def: $vgpr198
	s_or_saveexec_b32 s1, s1
	v_mov_b32_e32 v192, 0x7f800001
	s_wait_alu 0xfffe
	s_xor_b32 exec_lo, exec_lo, s1
	s_cbranch_execz .LBB7_236
.LBB7_1260:                             ;   in Loop: Header=BB7_62 Depth=1
	v_cmp_ne_u16_e64 vcc_lo, 0, v198
	v_mov_b32_e32 v192, 0
	s_and_not1_b32 s0, s0, exec_lo
	s_and_b32 s2, vcc_lo, exec_lo
	s_wait_alu 0xfffe
	s_or_b32 s0, s0, s2
	s_or_b32 exec_lo, exec_lo, s1
	s_wait_alu 0xfffe
	s_and_saveexec_b32 s1, s0
	s_cbranch_execnz .LBB7_237
	s_branch .LBB7_238
.LBB7_1261:                             ;   in Loop: Header=BB7_62 Depth=1
	s_mov_b32 s0, -1
	s_mov_b32 s2, exec_lo
	v_cmpx_eq_u16_e64 0x80, v198
; %bb.1262:                             ;   in Loop: Header=BB7_62 Depth=1
	s_xor_b32 s0, exec_lo, -1
; %bb.1263:                             ;   in Loop: Header=BB7_62 Depth=1
	s_wait_alu 0xfffe
	s_or_b32 exec_lo, exec_lo, s2
	s_delay_alu instid0(SALU_CYCLE_1)
	s_and_b32 s0, s0, exec_lo
                                        ; implicit-def: $vgpr198
	s_or_saveexec_b32 s1, s1
	v_mov_b32_e32 v99, 0x7f800001
	s_wait_alu 0xfffe
	s_xor_b32 exec_lo, exec_lo, s1
	s_cbranch_execz .LBB7_240
.LBB7_1264:                             ;   in Loop: Header=BB7_62 Depth=1
	v_cmp_ne_u16_e64 vcc_lo, 0, v198
	v_mov_b32_e32 v99, 0
	s_and_not1_b32 s0, s0, exec_lo
	s_and_b32 s2, vcc_lo, exec_lo
	s_wait_alu 0xfffe
	s_or_b32 s0, s0, s2
	s_or_b32 exec_lo, exec_lo, s1
	s_wait_alu 0xfffe
	s_and_saveexec_b32 s1, s0
	s_cbranch_execnz .LBB7_241
	s_branch .LBB7_242
.LBB7_1265:                             ;   in Loop: Header=BB7_62 Depth=1
	s_mov_b32 s0, -1
	s_mov_b32 s2, exec_lo
	v_cmpx_eq_u16_e64 0x80, v198
; %bb.1266:                             ;   in Loop: Header=BB7_62 Depth=1
	s_xor_b32 s0, exec_lo, -1
; %bb.1267:                             ;   in Loop: Header=BB7_62 Depth=1
	s_wait_alu 0xfffe
	s_or_b32 exec_lo, exec_lo, s2
	s_delay_alu instid0(SALU_CYCLE_1)
	s_and_b32 s0, s0, exec_lo
                                        ; implicit-def: $vgpr198
	s_or_saveexec_b32 s1, s1
	v_mov_b32_e32 v129, 0x7f800001
	s_wait_alu 0xfffe
	s_xor_b32 exec_lo, exec_lo, s1
	s_cbranch_execz .LBB7_244
.LBB7_1268:                             ;   in Loop: Header=BB7_62 Depth=1
	v_cmp_ne_u16_e64 vcc_lo, 0, v198
	v_mov_b32_e32 v129, 0
	s_and_not1_b32 s0, s0, exec_lo
	s_and_b32 s2, vcc_lo, exec_lo
	s_wait_alu 0xfffe
	s_or_b32 s0, s0, s2
	s_or_b32 exec_lo, exec_lo, s1
	s_wait_alu 0xfffe
	s_and_saveexec_b32 s1, s0
	s_cbranch_execnz .LBB7_245
	s_branch .LBB7_246
.LBB7_1269:                             ;   in Loop: Header=BB7_62 Depth=1
	s_mov_b32 s0, -1
	s_mov_b32 s2, exec_lo
	v_cmpx_eq_u16_e32 0x80, v118
; %bb.1270:                             ;   in Loop: Header=BB7_62 Depth=1
	s_xor_b32 s0, exec_lo, -1
; %bb.1271:                             ;   in Loop: Header=BB7_62 Depth=1
	s_wait_alu 0xfffe
	s_or_b32 exec_lo, exec_lo, s2
	s_delay_alu instid0(SALU_CYCLE_1)
	s_and_b32 s0, s0, exec_lo
	s_or_saveexec_b32 s1, s1
	v_mov_b32_e32 v119, 0x7f800001
	s_wait_alu 0xfffe
	s_xor_b32 exec_lo, exec_lo, s1
	s_cbranch_execz .LBB7_248
.LBB7_1272:                             ;   in Loop: Header=BB7_62 Depth=1
	v_cmp_ne_u16_e32 vcc_lo, 0, v118
	v_mov_b32_e32 v119, 0
	s_and_not1_b32 s0, s0, exec_lo
	s_and_b32 s2, vcc_lo, exec_lo
	s_wait_alu 0xfffe
	s_or_b32 s0, s0, s2
	s_or_b32 exec_lo, exec_lo, s1
	s_wait_alu 0xfffe
	s_and_saveexec_b32 s1, s0
	s_cbranch_execnz .LBB7_249
	s_branch .LBB7_250
.LBB7_1273:                             ;   in Loop: Header=BB7_62 Depth=1
	s_mov_b32 s0, -1
	s_mov_b32 s2, exec_lo
	v_cmpx_eq_u16_e32 0x80, v118
; %bb.1274:                             ;   in Loop: Header=BB7_62 Depth=1
	s_xor_b32 s0, exec_lo, -1
; %bb.1275:                             ;   in Loop: Header=BB7_62 Depth=1
	s_wait_alu 0xfffe
	s_or_b32 exec_lo, exec_lo, s2
	s_delay_alu instid0(SALU_CYCLE_1)
	s_and_b32 s0, s0, exec_lo
                                        ; implicit-def: $vgpr118
	s_or_saveexec_b32 s1, s1
	v_mov_b32_e32 v117, 0x7f800001
	s_wait_alu 0xfffe
	s_xor_b32 exec_lo, exec_lo, s1
	s_cbranch_execz .LBB7_252
.LBB7_1276:                             ;   in Loop: Header=BB7_62 Depth=1
	v_cmp_ne_u16_e32 vcc_lo, 0, v118
	v_mov_b32_e32 v117, 0
	s_and_not1_b32 s0, s0, exec_lo
	s_and_b32 s2, vcc_lo, exec_lo
	s_wait_alu 0xfffe
	s_or_b32 s0, s0, s2
	s_or_b32 exec_lo, exec_lo, s1
	s_wait_alu 0xfffe
	s_and_saveexec_b32 s1, s0
	s_cbranch_execnz .LBB7_253
	s_branch .LBB7_254
.LBB7_1277:                             ;   in Loop: Header=BB7_62 Depth=1
	s_mov_b32 s0, -1
	s_mov_b32 s2, exec_lo
	v_cmpx_eq_u16_e64 0x80, v198
; %bb.1278:                             ;   in Loop: Header=BB7_62 Depth=1
	s_xor_b32 s0, exec_lo, -1
; %bb.1279:                             ;   in Loop: Header=BB7_62 Depth=1
	s_wait_alu 0xfffe
	s_or_b32 exec_lo, exec_lo, s2
	s_delay_alu instid0(SALU_CYCLE_1)
	s_and_b32 s0, s0, exec_lo
                                        ; implicit-def: $vgpr198
	s_or_saveexec_b32 s1, s1
	v_mov_b32_e32 v96, 0x7f800001
	s_wait_alu 0xfffe
	s_xor_b32 exec_lo, exec_lo, s1
	s_cbranch_execz .LBB7_256
.LBB7_1280:                             ;   in Loop: Header=BB7_62 Depth=1
	v_cmp_ne_u16_e64 vcc_lo, 0, v198
	v_mov_b32_e32 v96, 0
	s_and_not1_b32 s0, s0, exec_lo
	s_and_b32 s2, vcc_lo, exec_lo
	s_wait_alu 0xfffe
	s_or_b32 s0, s0, s2
	s_or_b32 exec_lo, exec_lo, s1
	s_wait_alu 0xfffe
	s_and_saveexec_b32 s1, s0
	s_cbranch_execnz .LBB7_257
	s_branch .LBB7_258
.LBB7_1281:                             ;   in Loop: Header=BB7_62 Depth=1
	s_mov_b32 s0, -1
	s_mov_b32 s2, exec_lo
	v_cmpx_eq_u16_e64 0x80, v198
; %bb.1282:                             ;   in Loop: Header=BB7_62 Depth=1
	s_xor_b32 s0, exec_lo, -1
; %bb.1283:                             ;   in Loop: Header=BB7_62 Depth=1
	s_wait_alu 0xfffe
	s_or_b32 exec_lo, exec_lo, s2
	s_delay_alu instid0(SALU_CYCLE_1)
	s_and_b32 s0, s0, exec_lo
                                        ; implicit-def: $vgpr198
	s_or_saveexec_b32 s1, s1
	v_mov_b32_e32 v128, 0x7f800001
	s_wait_alu 0xfffe
	s_xor_b32 exec_lo, exec_lo, s1
	s_cbranch_execz .LBB7_260
.LBB7_1284:                             ;   in Loop: Header=BB7_62 Depth=1
	v_cmp_ne_u16_e64 vcc_lo, 0, v198
	v_mov_b32_e32 v128, 0
	s_and_not1_b32 s0, s0, exec_lo
	s_and_b32 s2, vcc_lo, exec_lo
	s_wait_alu 0xfffe
	s_or_b32 s0, s0, s2
	s_or_b32 exec_lo, exec_lo, s1
	s_wait_alu 0xfffe
	s_and_saveexec_b32 s1, s0
	s_cbranch_execnz .LBB7_261
	s_branch .LBB7_262
.LBB7_1285:                             ;   in Loop: Header=BB7_62 Depth=1
	s_mov_b32 s0, -1
	s_mov_b32 s2, exec_lo
	v_cmpx_eq_u16_e64 0x80, v131
; %bb.1286:                             ;   in Loop: Header=BB7_62 Depth=1
	s_xor_b32 s0, exec_lo, -1
; %bb.1287:                             ;   in Loop: Header=BB7_62 Depth=1
	s_wait_alu 0xfffe
	s_or_b32 exec_lo, exec_lo, s2
	s_delay_alu instid0(SALU_CYCLE_1)
	s_and_b32 s0, s0, exec_lo
	s_or_saveexec_b32 s1, s1
	v_mov_b32_e32 v130, 0x7f800001
	s_wait_alu 0xfffe
	s_xor_b32 exec_lo, exec_lo, s1
	s_cbranch_execz .LBB7_264
.LBB7_1288:                             ;   in Loop: Header=BB7_62 Depth=1
	v_cmp_ne_u16_e64 vcc_lo, 0, v131
	v_mov_b32_e32 v130, 0
	s_and_not1_b32 s0, s0, exec_lo
	s_and_b32 s2, vcc_lo, exec_lo
	s_wait_alu 0xfffe
	s_or_b32 s0, s0, s2
	s_or_b32 exec_lo, exec_lo, s1
	s_wait_alu 0xfffe
	s_and_saveexec_b32 s1, s0
	s_cbranch_execnz .LBB7_265
	s_branch .LBB7_266
.LBB7_1289:                             ;   in Loop: Header=BB7_62 Depth=1
	s_mov_b32 s0, -1
	s_mov_b32 s2, exec_lo
	v_cmpx_eq_u16_e64 0x80, v198
; %bb.1290:                             ;   in Loop: Header=BB7_62 Depth=1
	s_xor_b32 s0, exec_lo, -1
; %bb.1291:                             ;   in Loop: Header=BB7_62 Depth=1
	s_wait_alu 0xfffe
	s_or_b32 exec_lo, exec_lo, s2
	s_delay_alu instid0(SALU_CYCLE_1)
	s_and_b32 s0, s0, exec_lo
                                        ; implicit-def: $vgpr198
	s_or_saveexec_b32 s1, s1
	v_mov_b32_e32 v131, 0x7f800001
	s_wait_alu 0xfffe
	s_xor_b32 exec_lo, exec_lo, s1
	s_cbranch_execz .LBB7_268
.LBB7_1292:                             ;   in Loop: Header=BB7_62 Depth=1
	v_cmp_ne_u16_e64 vcc_lo, 0, v198
	v_mov_b32_e32 v131, 0
	s_and_not1_b32 s0, s0, exec_lo
	s_and_b32 s2, vcc_lo, exec_lo
	s_wait_alu 0xfffe
	s_or_b32 s0, s0, s2
	s_or_b32 exec_lo, exec_lo, s1
	s_wait_alu 0xfffe
	s_and_saveexec_b32 s1, s0
	s_cbranch_execnz .LBB7_269
	s_branch .LBB7_270
.LBB7_1293:                             ;   in Loop: Header=BB7_62 Depth=1
	s_mov_b32 s0, -1
	s_mov_b32 s2, exec_lo
	v_cmpx_eq_u16_e64 0x80, v198
; %bb.1294:                             ;   in Loop: Header=BB7_62 Depth=1
	s_xor_b32 s0, exec_lo, -1
; %bb.1295:                             ;   in Loop: Header=BB7_62 Depth=1
	s_wait_alu 0xfffe
	s_or_b32 exec_lo, exec_lo, s2
	s_delay_alu instid0(SALU_CYCLE_1)
	s_and_b32 s0, s0, exec_lo
                                        ; implicit-def: $vgpr198
	s_or_saveexec_b32 s1, s1
	v_mov_b32_e32 v97, 0x7f800001
	s_wait_alu 0xfffe
	s_xor_b32 exec_lo, exec_lo, s1
	s_cbranch_execz .LBB7_272
.LBB7_1296:                             ;   in Loop: Header=BB7_62 Depth=1
	v_cmp_ne_u16_e64 vcc_lo, 0, v198
	v_mov_b32_e32 v97, 0
	s_and_not1_b32 s0, s0, exec_lo
	s_and_b32 s2, vcc_lo, exec_lo
	s_wait_alu 0xfffe
	s_or_b32 s0, s0, s2
	s_or_b32 exec_lo, exec_lo, s1
	s_wait_alu 0xfffe
	s_and_saveexec_b32 s1, s0
	s_cbranch_execnz .LBB7_273
	s_branch .LBB7_274
.LBB7_1297:                             ;   in Loop: Header=BB7_62 Depth=1
	s_mov_b32 s0, -1
	s_mov_b32 s2, exec_lo
	v_cmpx_eq_u16_e64 0x80, v198
; %bb.1298:                             ;   in Loop: Header=BB7_62 Depth=1
	s_xor_b32 s0, exec_lo, -1
; %bb.1299:                             ;   in Loop: Header=BB7_62 Depth=1
	s_wait_alu 0xfffe
	s_or_b32 exec_lo, exec_lo, s2
	s_delay_alu instid0(SALU_CYCLE_1)
	s_and_b32 s0, s0, exec_lo
                                        ; implicit-def: $vgpr198
	s_or_saveexec_b32 s1, s1
	v_mov_b32_e32 v194, 0x7f800001
	s_wait_alu 0xfffe
	s_xor_b32 exec_lo, exec_lo, s1
	s_cbranch_execz .LBB7_276
.LBB7_1300:                             ;   in Loop: Header=BB7_62 Depth=1
	v_cmp_ne_u16_e64 vcc_lo, 0, v198
	v_mov_b32_e32 v194, 0
	s_and_not1_b32 s0, s0, exec_lo
	s_and_b32 s2, vcc_lo, exec_lo
	s_wait_alu 0xfffe
	s_or_b32 s0, s0, s2
	s_or_b32 exec_lo, exec_lo, s1
	s_wait_alu 0xfffe
	s_and_saveexec_b32 s1, s0
	s_cbranch_execnz .LBB7_277
	s_branch .LBB7_278
.LBB7_1301:                             ;   in Loop: Header=BB7_62 Depth=1
	s_mov_b32 s0, -1
	s_mov_b32 s2, exec_lo
	v_cmpx_eq_u16_e64 0x80, v197
; %bb.1302:                             ;   in Loop: Header=BB7_62 Depth=1
	s_xor_b32 s0, exec_lo, -1
; %bb.1303:                             ;   in Loop: Header=BB7_62 Depth=1
	s_wait_alu 0xfffe
	s_or_b32 exec_lo, exec_lo, s2
	s_delay_alu instid0(SALU_CYCLE_1)
	s_and_b32 s0, s0, exec_lo
	s_or_saveexec_b32 s1, s1
	v_mov_b32_e32 v196, 0x7f800001
	s_wait_alu 0xfffe
	s_xor_b32 exec_lo, exec_lo, s1
	s_cbranch_execz .LBB7_280
.LBB7_1304:                             ;   in Loop: Header=BB7_62 Depth=1
	v_cmp_ne_u16_e64 vcc_lo, 0, v197
	v_mov_b32_e32 v196, 0
	s_and_not1_b32 s0, s0, exec_lo
	s_and_b32 s2, vcc_lo, exec_lo
	s_wait_alu 0xfffe
	s_or_b32 s0, s0, s2
	s_or_b32 exec_lo, exec_lo, s1
	s_wait_alu 0xfffe
	s_and_saveexec_b32 s1, s0
	s_cbranch_execnz .LBB7_281
	s_branch .LBB7_282
.LBB7_1305:                             ;   in Loop: Header=BB7_62 Depth=1
	s_mov_b32 s0, -1
	s_mov_b32 s2, exec_lo
	v_cmpx_eq_u16_e64 0x80, v198
; %bb.1306:                             ;   in Loop: Header=BB7_62 Depth=1
	s_xor_b32 s0, exec_lo, -1
; %bb.1307:                             ;   in Loop: Header=BB7_62 Depth=1
	s_wait_alu 0xfffe
	s_or_b32 exec_lo, exec_lo, s2
	s_delay_alu instid0(SALU_CYCLE_1)
	s_and_b32 s0, s0, exec_lo
                                        ; implicit-def: $vgpr198
	s_or_saveexec_b32 s1, s1
	v_mov_b32_e32 v197, 0x7f800001
	s_wait_alu 0xfffe
	s_xor_b32 exec_lo, exec_lo, s1
	s_cbranch_execz .LBB7_284
.LBB7_1308:                             ;   in Loop: Header=BB7_62 Depth=1
	v_cmp_ne_u16_e64 vcc_lo, 0, v198
	v_mov_b32_e32 v197, 0
	s_and_not1_b32 s0, s0, exec_lo
	s_and_b32 s2, vcc_lo, exec_lo
	s_wait_alu 0xfffe
	s_or_b32 s0, s0, s2
	s_or_b32 exec_lo, exec_lo, s1
	s_wait_alu 0xfffe
	s_and_saveexec_b32 s1, s0
	s_cbranch_execnz .LBB7_285
	s_branch .LBB7_286
.LBB7_1309:                             ;   in Loop: Header=BB7_62 Depth=1
	s_mov_b32 s0, -1
	s_mov_b32 s2, exec_lo
	v_cmpx_eq_u16_e64 0x80, v198
; %bb.1310:                             ;   in Loop: Header=BB7_62 Depth=1
	s_xor_b32 s0, exec_lo, -1
; %bb.1311:                             ;   in Loop: Header=BB7_62 Depth=1
	s_wait_alu 0xfffe
	s_or_b32 exec_lo, exec_lo, s2
	s_delay_alu instid0(SALU_CYCLE_1)
	s_and_b32 s0, s0, exec_lo
                                        ; implicit-def: $vgpr198
	s_or_saveexec_b32 s1, s1
	v_mov_b32_e32 v98, 0x7f800001
	s_wait_alu 0xfffe
	s_xor_b32 exec_lo, exec_lo, s1
	s_cbranch_execz .LBB7_288
.LBB7_1312:                             ;   in Loop: Header=BB7_62 Depth=1
	v_cmp_ne_u16_e64 vcc_lo, 0, v198
	v_mov_b32_e32 v98, 0
	s_and_not1_b32 s0, s0, exec_lo
	s_and_b32 s2, vcc_lo, exec_lo
	s_wait_alu 0xfffe
	s_or_b32 s0, s0, s2
	s_or_b32 exec_lo, exec_lo, s1
	s_wait_alu 0xfffe
	s_and_saveexec_b32 s1, s0
	s_cbranch_execnz .LBB7_289
	s_branch .LBB7_290
.LBB7_1313:                             ;   in Loop: Header=BB7_62 Depth=1
	s_mov_b32 s0, -1
	s_mov_b32 s2, exec_lo
	v_cmpx_eq_u16_e64 0x80, v198
; %bb.1314:                             ;   in Loop: Header=BB7_62 Depth=1
	s_xor_b32 s0, exec_lo, -1
; %bb.1315:                             ;   in Loop: Header=BB7_62 Depth=1
	s_wait_alu 0xfffe
	s_or_b32 exec_lo, exec_lo, s2
	s_delay_alu instid0(SALU_CYCLE_1)
	s_and_b32 s0, s0, exec_lo
                                        ; implicit-def: $vgpr198
	s_or_saveexec_b32 s1, s1
	v_mov_b32_e32 v195, 0x7f800001
	s_wait_alu 0xfffe
	s_xor_b32 exec_lo, exec_lo, s1
	s_cbranch_execz .LBB7_292
.LBB7_1316:                             ;   in Loop: Header=BB7_62 Depth=1
	v_cmp_ne_u16_e64 vcc_lo, 0, v198
	v_mov_b32_e32 v195, 0
	s_and_not1_b32 s0, s0, exec_lo
	s_and_b32 s2, vcc_lo, exec_lo
	s_wait_alu 0xfffe
	s_or_b32 s0, s0, s2
	s_or_b32 exec_lo, exec_lo, s1
	s_wait_alu 0xfffe
	s_and_saveexec_b32 s1, s0
	s_cbranch_execnz .LBB7_293
	s_branch .LBB7_294
.LBB7_1317:                             ;   in Loop: Header=BB7_62 Depth=1
	s_mov_b32 s0, -1
	s_mov_b32 s2, exec_lo
	v_cmpx_eq_u16_e64 0x80, v192
; %bb.1318:                             ;   in Loop: Header=BB7_62 Depth=1
	s_xor_b32 s0, exec_lo, -1
; %bb.1319:                             ;   in Loop: Header=BB7_62 Depth=1
	s_wait_alu 0xfffe
	s_or_b32 exec_lo, exec_lo, s2
	s_delay_alu instid0(SALU_CYCLE_1)
	s_and_b32 s0, s0, exec_lo
	s_or_saveexec_b32 s1, s1
	v_mov_b32_e32 v193, 0x7f800001
	s_wait_alu 0xfffe
	s_xor_b32 exec_lo, exec_lo, s1
	s_cbranch_execz .LBB7_296
.LBB7_1320:                             ;   in Loop: Header=BB7_62 Depth=1
	v_cmp_ne_u16_e64 vcc_lo, 0, v192
	v_mov_b32_e32 v193, 0
	s_and_not1_b32 s0, s0, exec_lo
	s_and_b32 s2, vcc_lo, exec_lo
	s_wait_alu 0xfffe
	s_or_b32 s0, s0, s2
	s_or_b32 exec_lo, exec_lo, s1
	s_wait_alu 0xfffe
	s_and_saveexec_b32 s1, s0
	s_cbranch_execnz .LBB7_297
	s_branch .LBB7_298
.LBB7_1321:                             ;   in Loop: Header=BB7_62 Depth=1
	s_mov_b32 s0, -1
	s_mov_b32 s2, exec_lo
	v_cmpx_eq_u16_e64 0x80, v198
; %bb.1322:                             ;   in Loop: Header=BB7_62 Depth=1
	s_xor_b32 s0, exec_lo, -1
; %bb.1323:                             ;   in Loop: Header=BB7_62 Depth=1
	s_wait_alu 0xfffe
	s_or_b32 exec_lo, exec_lo, s2
	s_delay_alu instid0(SALU_CYCLE_1)
	s_and_b32 s0, s0, exec_lo
                                        ; implicit-def: $vgpr198
	s_or_saveexec_b32 s1, s1
	v_mov_b32_e32 v192, 0x7f800001
	s_wait_alu 0xfffe
	s_xor_b32 exec_lo, exec_lo, s1
	s_cbranch_execz .LBB7_300
.LBB7_1324:                             ;   in Loop: Header=BB7_62 Depth=1
	v_cmp_ne_u16_e64 vcc_lo, 0, v198
	v_mov_b32_e32 v192, 0
	s_and_not1_b32 s0, s0, exec_lo
	s_and_b32 s2, vcc_lo, exec_lo
	s_wait_alu 0xfffe
	s_or_b32 s0, s0, s2
	s_or_b32 exec_lo, exec_lo, s1
	s_wait_alu 0xfffe
	s_and_saveexec_b32 s1, s0
	s_cbranch_execnz .LBB7_301
	s_branch .LBB7_302
.LBB7_1325:                             ;   in Loop: Header=BB7_62 Depth=1
	s_mov_b32 s0, -1
	s_mov_b32 s2, exec_lo
	v_cmpx_eq_u16_e64 0x80, v198
; %bb.1326:                             ;   in Loop: Header=BB7_62 Depth=1
	s_xor_b32 s0, exec_lo, -1
; %bb.1327:                             ;   in Loop: Header=BB7_62 Depth=1
	s_wait_alu 0xfffe
	s_or_b32 exec_lo, exec_lo, s2
	s_delay_alu instid0(SALU_CYCLE_1)
	s_and_b32 s0, s0, exec_lo
                                        ; implicit-def: $vgpr198
	s_or_saveexec_b32 s1, s1
	v_mov_b32_e32 v99, 0x7f800001
	s_wait_alu 0xfffe
	s_xor_b32 exec_lo, exec_lo, s1
	s_cbranch_execz .LBB7_304
.LBB7_1328:                             ;   in Loop: Header=BB7_62 Depth=1
	v_cmp_ne_u16_e64 vcc_lo, 0, v198
	v_mov_b32_e32 v99, 0
	s_and_not1_b32 s0, s0, exec_lo
	s_and_b32 s2, vcc_lo, exec_lo
	s_wait_alu 0xfffe
	s_or_b32 s0, s0, s2
	s_or_b32 exec_lo, exec_lo, s1
	s_wait_alu 0xfffe
	s_and_saveexec_b32 s1, s0
	s_cbranch_execnz .LBB7_305
	s_branch .LBB7_306
.LBB7_1329:                             ;   in Loop: Header=BB7_62 Depth=1
	s_mov_b32 s0, -1
	s_mov_b32 s2, exec_lo
	v_cmpx_eq_u16_e64 0x80, v198
; %bb.1330:                             ;   in Loop: Header=BB7_62 Depth=1
	s_xor_b32 s0, exec_lo, -1
; %bb.1331:                             ;   in Loop: Header=BB7_62 Depth=1
	s_wait_alu 0xfffe
	s_or_b32 exec_lo, exec_lo, s2
	s_delay_alu instid0(SALU_CYCLE_1)
	s_and_b32 s0, s0, exec_lo
                                        ; implicit-def: $vgpr198
	s_or_saveexec_b32 s1, s1
	v_mov_b32_e32 v129, 0x7f800001
	s_wait_alu 0xfffe
	s_xor_b32 exec_lo, exec_lo, s1
	s_cbranch_execz .LBB7_308
.LBB7_1332:                             ;   in Loop: Header=BB7_62 Depth=1
	v_cmp_ne_u16_e64 vcc_lo, 0, v198
	v_mov_b32_e32 v129, 0
	s_and_not1_b32 s0, s0, exec_lo
	s_and_b32 s2, vcc_lo, exec_lo
	s_wait_alu 0xfffe
	s_or_b32 s0, s0, s2
	s_or_b32 exec_lo, exec_lo, s1
	s_wait_alu 0xfffe
	s_and_saveexec_b32 s1, s0
	s_cbranch_execnz .LBB7_309
	s_branch .LBB7_310
.LBB7_1333:                             ;   in Loop: Header=BB7_62 Depth=1
	s_mov_b32 s0, -1
	s_mov_b32 s2, exec_lo
	v_cmpx_eq_u16_e32 0x80, v118
; %bb.1334:                             ;   in Loop: Header=BB7_62 Depth=1
	s_xor_b32 s0, exec_lo, -1
; %bb.1335:                             ;   in Loop: Header=BB7_62 Depth=1
	s_wait_alu 0xfffe
	s_or_b32 exec_lo, exec_lo, s2
	s_delay_alu instid0(SALU_CYCLE_1)
	s_and_b32 s0, s0, exec_lo
	s_or_saveexec_b32 s1, s1
	v_mov_b32_e32 v119, 0x7f800001
	s_wait_alu 0xfffe
	s_xor_b32 exec_lo, exec_lo, s1
	s_cbranch_execz .LBB7_312
.LBB7_1336:                             ;   in Loop: Header=BB7_62 Depth=1
	v_cmp_ne_u16_e32 vcc_lo, 0, v118
	v_mov_b32_e32 v119, 0
	s_and_not1_b32 s0, s0, exec_lo
	s_and_b32 s2, vcc_lo, exec_lo
	s_wait_alu 0xfffe
	s_or_b32 s0, s0, s2
	s_or_b32 exec_lo, exec_lo, s1
	s_wait_alu 0xfffe
	s_and_saveexec_b32 s1, s0
	s_cbranch_execnz .LBB7_313
	s_branch .LBB7_314
.LBB7_1337:                             ;   in Loop: Header=BB7_62 Depth=1
	s_mov_b32 s0, -1
	s_mov_b32 s2, exec_lo
	v_cmpx_eq_u16_e32 0x80, v118
; %bb.1338:                             ;   in Loop: Header=BB7_62 Depth=1
	s_xor_b32 s0, exec_lo, -1
; %bb.1339:                             ;   in Loop: Header=BB7_62 Depth=1
	s_wait_alu 0xfffe
	s_or_b32 exec_lo, exec_lo, s2
	s_delay_alu instid0(SALU_CYCLE_1)
	s_and_b32 s0, s0, exec_lo
                                        ; implicit-def: $vgpr118
	s_or_saveexec_b32 s1, s1
	v_mov_b32_e32 v117, 0x7f800001
	s_wait_alu 0xfffe
	s_xor_b32 exec_lo, exec_lo, s1
	s_cbranch_execz .LBB7_316
.LBB7_1340:                             ;   in Loop: Header=BB7_62 Depth=1
	v_cmp_ne_u16_e32 vcc_lo, 0, v118
	v_mov_b32_e32 v117, 0
	s_and_not1_b32 s0, s0, exec_lo
	s_and_b32 s2, vcc_lo, exec_lo
	s_wait_alu 0xfffe
	s_or_b32 s0, s0, s2
	s_or_b32 exec_lo, exec_lo, s1
	s_wait_alu 0xfffe
	s_and_saveexec_b32 s1, s0
	s_cbranch_execnz .LBB7_317
	s_branch .LBB7_318
.LBB7_1341:                             ;   in Loop: Header=BB7_62 Depth=1
	s_mov_b32 s0, -1
	s_mov_b32 s2, exec_lo
	v_cmpx_eq_u16_e64 0x80, v198
; %bb.1342:                             ;   in Loop: Header=BB7_62 Depth=1
	s_xor_b32 s0, exec_lo, -1
; %bb.1343:                             ;   in Loop: Header=BB7_62 Depth=1
	s_wait_alu 0xfffe
	s_or_b32 exec_lo, exec_lo, s2
	s_delay_alu instid0(SALU_CYCLE_1)
	s_and_b32 s0, s0, exec_lo
                                        ; implicit-def: $vgpr198
	s_or_saveexec_b32 s1, s1
	v_mov_b32_e32 v96, 0x7f800001
	s_wait_alu 0xfffe
	s_xor_b32 exec_lo, exec_lo, s1
	s_cbranch_execz .LBB7_320
.LBB7_1344:                             ;   in Loop: Header=BB7_62 Depth=1
	v_cmp_ne_u16_e64 vcc_lo, 0, v198
	v_mov_b32_e32 v96, 0
	s_and_not1_b32 s0, s0, exec_lo
	s_and_b32 s2, vcc_lo, exec_lo
	s_wait_alu 0xfffe
	s_or_b32 s0, s0, s2
	s_or_b32 exec_lo, exec_lo, s1
	s_wait_alu 0xfffe
	s_and_saveexec_b32 s1, s0
	s_cbranch_execnz .LBB7_321
	s_branch .LBB7_322
.LBB7_1345:                             ;   in Loop: Header=BB7_62 Depth=1
	s_mov_b32 s0, -1
	s_mov_b32 s2, exec_lo
	v_cmpx_eq_u16_e64 0x80, v198
; %bb.1346:                             ;   in Loop: Header=BB7_62 Depth=1
	s_xor_b32 s0, exec_lo, -1
; %bb.1347:                             ;   in Loop: Header=BB7_62 Depth=1
	s_wait_alu 0xfffe
	s_or_b32 exec_lo, exec_lo, s2
	s_delay_alu instid0(SALU_CYCLE_1)
	s_and_b32 s0, s0, exec_lo
                                        ; implicit-def: $vgpr198
	s_or_saveexec_b32 s1, s1
	v_mov_b32_e32 v128, 0x7f800001
	s_wait_alu 0xfffe
	s_xor_b32 exec_lo, exec_lo, s1
	s_cbranch_execz .LBB7_324
.LBB7_1348:                             ;   in Loop: Header=BB7_62 Depth=1
	v_cmp_ne_u16_e64 vcc_lo, 0, v198
	v_mov_b32_e32 v128, 0
	s_and_not1_b32 s0, s0, exec_lo
	s_and_b32 s2, vcc_lo, exec_lo
	s_wait_alu 0xfffe
	s_or_b32 s0, s0, s2
	s_or_b32 exec_lo, exec_lo, s1
	s_wait_alu 0xfffe
	s_and_saveexec_b32 s1, s0
	s_cbranch_execnz .LBB7_325
	s_branch .LBB7_326
.LBB7_1349:                             ;   in Loop: Header=BB7_62 Depth=1
	s_mov_b32 s0, -1
	s_mov_b32 s2, exec_lo
	v_cmpx_eq_u16_e64 0x80, v131
; %bb.1350:                             ;   in Loop: Header=BB7_62 Depth=1
	s_xor_b32 s0, exec_lo, -1
; %bb.1351:                             ;   in Loop: Header=BB7_62 Depth=1
	s_wait_alu 0xfffe
	s_or_b32 exec_lo, exec_lo, s2
	s_delay_alu instid0(SALU_CYCLE_1)
	s_and_b32 s0, s0, exec_lo
	s_or_saveexec_b32 s1, s1
	v_mov_b32_e32 v130, 0x7f800001
	s_wait_alu 0xfffe
	s_xor_b32 exec_lo, exec_lo, s1
	s_cbranch_execz .LBB7_328
.LBB7_1352:                             ;   in Loop: Header=BB7_62 Depth=1
	v_cmp_ne_u16_e64 vcc_lo, 0, v131
	v_mov_b32_e32 v130, 0
	s_and_not1_b32 s0, s0, exec_lo
	s_and_b32 s2, vcc_lo, exec_lo
	s_wait_alu 0xfffe
	s_or_b32 s0, s0, s2
	s_or_b32 exec_lo, exec_lo, s1
	s_wait_alu 0xfffe
	s_and_saveexec_b32 s1, s0
	s_cbranch_execnz .LBB7_329
	s_branch .LBB7_330
.LBB7_1353:                             ;   in Loop: Header=BB7_62 Depth=1
	s_mov_b32 s0, -1
	s_mov_b32 s2, exec_lo
	v_cmpx_eq_u16_e64 0x80, v198
; %bb.1354:                             ;   in Loop: Header=BB7_62 Depth=1
	s_xor_b32 s0, exec_lo, -1
; %bb.1355:                             ;   in Loop: Header=BB7_62 Depth=1
	s_wait_alu 0xfffe
	s_or_b32 exec_lo, exec_lo, s2
	s_delay_alu instid0(SALU_CYCLE_1)
	s_and_b32 s0, s0, exec_lo
                                        ; implicit-def: $vgpr198
	s_or_saveexec_b32 s1, s1
	v_mov_b32_e32 v131, 0x7f800001
	s_wait_alu 0xfffe
	s_xor_b32 exec_lo, exec_lo, s1
	s_cbranch_execz .LBB7_332
.LBB7_1356:                             ;   in Loop: Header=BB7_62 Depth=1
	v_cmp_ne_u16_e64 vcc_lo, 0, v198
	v_mov_b32_e32 v131, 0
	s_and_not1_b32 s0, s0, exec_lo
	s_and_b32 s2, vcc_lo, exec_lo
	s_wait_alu 0xfffe
	s_or_b32 s0, s0, s2
	s_or_b32 exec_lo, exec_lo, s1
	s_wait_alu 0xfffe
	s_and_saveexec_b32 s1, s0
	s_cbranch_execnz .LBB7_333
	s_branch .LBB7_334
.LBB7_1357:                             ;   in Loop: Header=BB7_62 Depth=1
	s_mov_b32 s0, -1
	s_mov_b32 s2, exec_lo
	v_cmpx_eq_u16_e64 0x80, v198
; %bb.1358:                             ;   in Loop: Header=BB7_62 Depth=1
	s_xor_b32 s0, exec_lo, -1
; %bb.1359:                             ;   in Loop: Header=BB7_62 Depth=1
	s_wait_alu 0xfffe
	s_or_b32 exec_lo, exec_lo, s2
	s_delay_alu instid0(SALU_CYCLE_1)
	s_and_b32 s0, s0, exec_lo
                                        ; implicit-def: $vgpr198
	s_or_saveexec_b32 s1, s1
	v_mov_b32_e32 v97, 0x7f800001
	s_wait_alu 0xfffe
	s_xor_b32 exec_lo, exec_lo, s1
	s_cbranch_execz .LBB7_336
.LBB7_1360:                             ;   in Loop: Header=BB7_62 Depth=1
	v_cmp_ne_u16_e64 vcc_lo, 0, v198
	v_mov_b32_e32 v97, 0
	s_and_not1_b32 s0, s0, exec_lo
	s_and_b32 s2, vcc_lo, exec_lo
	s_wait_alu 0xfffe
	s_or_b32 s0, s0, s2
	s_or_b32 exec_lo, exec_lo, s1
	s_wait_alu 0xfffe
	s_and_saveexec_b32 s1, s0
	s_cbranch_execnz .LBB7_337
	s_branch .LBB7_338
.LBB7_1361:                             ;   in Loop: Header=BB7_62 Depth=1
	s_mov_b32 s0, -1
	s_mov_b32 s2, exec_lo
	v_cmpx_eq_u16_e64 0x80, v198
; %bb.1362:                             ;   in Loop: Header=BB7_62 Depth=1
	s_xor_b32 s0, exec_lo, -1
; %bb.1363:                             ;   in Loop: Header=BB7_62 Depth=1
	s_wait_alu 0xfffe
	s_or_b32 exec_lo, exec_lo, s2
	s_delay_alu instid0(SALU_CYCLE_1)
	s_and_b32 s0, s0, exec_lo
                                        ; implicit-def: $vgpr198
	s_or_saveexec_b32 s1, s1
	v_mov_b32_e32 v194, 0x7f800001
	s_wait_alu 0xfffe
	s_xor_b32 exec_lo, exec_lo, s1
	s_cbranch_execz .LBB7_340
.LBB7_1364:                             ;   in Loop: Header=BB7_62 Depth=1
	v_cmp_ne_u16_e64 vcc_lo, 0, v198
	v_mov_b32_e32 v194, 0
	s_and_not1_b32 s0, s0, exec_lo
	s_and_b32 s2, vcc_lo, exec_lo
	s_wait_alu 0xfffe
	s_or_b32 s0, s0, s2
	s_or_b32 exec_lo, exec_lo, s1
	s_wait_alu 0xfffe
	s_and_saveexec_b32 s1, s0
	s_cbranch_execnz .LBB7_341
	s_branch .LBB7_342
.LBB7_1365:                             ;   in Loop: Header=BB7_62 Depth=1
	s_mov_b32 s0, -1
	s_mov_b32 s2, exec_lo
	v_cmpx_eq_u16_e64 0x80, v197
; %bb.1366:                             ;   in Loop: Header=BB7_62 Depth=1
	s_xor_b32 s0, exec_lo, -1
; %bb.1367:                             ;   in Loop: Header=BB7_62 Depth=1
	s_wait_alu 0xfffe
	s_or_b32 exec_lo, exec_lo, s2
	s_delay_alu instid0(SALU_CYCLE_1)
	s_and_b32 s0, s0, exec_lo
	s_or_saveexec_b32 s1, s1
	v_mov_b32_e32 v196, 0x7f800001
	s_wait_alu 0xfffe
	s_xor_b32 exec_lo, exec_lo, s1
	s_cbranch_execz .LBB7_344
.LBB7_1368:                             ;   in Loop: Header=BB7_62 Depth=1
	v_cmp_ne_u16_e64 vcc_lo, 0, v197
	v_mov_b32_e32 v196, 0
	s_and_not1_b32 s0, s0, exec_lo
	s_and_b32 s2, vcc_lo, exec_lo
	s_wait_alu 0xfffe
	s_or_b32 s0, s0, s2
	s_or_b32 exec_lo, exec_lo, s1
	s_wait_alu 0xfffe
	s_and_saveexec_b32 s1, s0
	s_cbranch_execnz .LBB7_345
	s_branch .LBB7_346
.LBB7_1369:                             ;   in Loop: Header=BB7_62 Depth=1
	s_mov_b32 s0, -1
	s_mov_b32 s2, exec_lo
	v_cmpx_eq_u16_e64 0x80, v198
; %bb.1370:                             ;   in Loop: Header=BB7_62 Depth=1
	s_xor_b32 s0, exec_lo, -1
; %bb.1371:                             ;   in Loop: Header=BB7_62 Depth=1
	s_wait_alu 0xfffe
	s_or_b32 exec_lo, exec_lo, s2
	s_delay_alu instid0(SALU_CYCLE_1)
	s_and_b32 s0, s0, exec_lo
                                        ; implicit-def: $vgpr198
	s_or_saveexec_b32 s1, s1
	v_mov_b32_e32 v197, 0x7f800001
	s_wait_alu 0xfffe
	s_xor_b32 exec_lo, exec_lo, s1
	s_cbranch_execz .LBB7_348
.LBB7_1372:                             ;   in Loop: Header=BB7_62 Depth=1
	v_cmp_ne_u16_e64 vcc_lo, 0, v198
	v_mov_b32_e32 v197, 0
	s_and_not1_b32 s0, s0, exec_lo
	s_and_b32 s2, vcc_lo, exec_lo
	s_wait_alu 0xfffe
	s_or_b32 s0, s0, s2
	s_or_b32 exec_lo, exec_lo, s1
	s_wait_alu 0xfffe
	s_and_saveexec_b32 s1, s0
	s_cbranch_execnz .LBB7_349
	s_branch .LBB7_350
.LBB7_1373:                             ;   in Loop: Header=BB7_62 Depth=1
	s_mov_b32 s0, -1
	s_mov_b32 s2, exec_lo
	v_cmpx_eq_u16_e64 0x80, v198
; %bb.1374:                             ;   in Loop: Header=BB7_62 Depth=1
	s_xor_b32 s0, exec_lo, -1
; %bb.1375:                             ;   in Loop: Header=BB7_62 Depth=1
	s_wait_alu 0xfffe
	s_or_b32 exec_lo, exec_lo, s2
	s_delay_alu instid0(SALU_CYCLE_1)
	s_and_b32 s0, s0, exec_lo
                                        ; implicit-def: $vgpr198
	s_or_saveexec_b32 s1, s1
	v_mov_b32_e32 v98, 0x7f800001
	s_wait_alu 0xfffe
	s_xor_b32 exec_lo, exec_lo, s1
	s_cbranch_execz .LBB7_352
.LBB7_1376:                             ;   in Loop: Header=BB7_62 Depth=1
	v_cmp_ne_u16_e64 vcc_lo, 0, v198
	v_mov_b32_e32 v98, 0
	s_and_not1_b32 s0, s0, exec_lo
	s_and_b32 s2, vcc_lo, exec_lo
	s_wait_alu 0xfffe
	s_or_b32 s0, s0, s2
	s_or_b32 exec_lo, exec_lo, s1
	s_wait_alu 0xfffe
	s_and_saveexec_b32 s1, s0
	s_cbranch_execnz .LBB7_353
	s_branch .LBB7_354
.LBB7_1377:                             ;   in Loop: Header=BB7_62 Depth=1
	s_mov_b32 s0, -1
	s_mov_b32 s2, exec_lo
	v_cmpx_eq_u16_e64 0x80, v198
; %bb.1378:                             ;   in Loop: Header=BB7_62 Depth=1
	s_xor_b32 s0, exec_lo, -1
; %bb.1379:                             ;   in Loop: Header=BB7_62 Depth=1
	s_wait_alu 0xfffe
	s_or_b32 exec_lo, exec_lo, s2
	s_delay_alu instid0(SALU_CYCLE_1)
	s_and_b32 s0, s0, exec_lo
                                        ; implicit-def: $vgpr198
	s_or_saveexec_b32 s1, s1
	v_mov_b32_e32 v195, 0x7f800001
	s_wait_alu 0xfffe
	s_xor_b32 exec_lo, exec_lo, s1
	s_cbranch_execz .LBB7_356
.LBB7_1380:                             ;   in Loop: Header=BB7_62 Depth=1
	v_cmp_ne_u16_e64 vcc_lo, 0, v198
	v_mov_b32_e32 v195, 0
	s_and_not1_b32 s0, s0, exec_lo
	s_and_b32 s2, vcc_lo, exec_lo
	s_wait_alu 0xfffe
	s_or_b32 s0, s0, s2
	s_or_b32 exec_lo, exec_lo, s1
	s_wait_alu 0xfffe
	s_and_saveexec_b32 s1, s0
	s_cbranch_execnz .LBB7_357
	s_branch .LBB7_358
.LBB7_1381:                             ;   in Loop: Header=BB7_62 Depth=1
	s_mov_b32 s0, -1
	s_mov_b32 s2, exec_lo
	v_cmpx_eq_u16_e64 0x80, v192
; %bb.1382:                             ;   in Loop: Header=BB7_62 Depth=1
	s_xor_b32 s0, exec_lo, -1
; %bb.1383:                             ;   in Loop: Header=BB7_62 Depth=1
	s_wait_alu 0xfffe
	s_or_b32 exec_lo, exec_lo, s2
	s_delay_alu instid0(SALU_CYCLE_1)
	s_and_b32 s0, s0, exec_lo
	s_or_saveexec_b32 s1, s1
	v_mov_b32_e32 v193, 0x7f800001
	s_wait_alu 0xfffe
	s_xor_b32 exec_lo, exec_lo, s1
	s_cbranch_execz .LBB7_360
.LBB7_1384:                             ;   in Loop: Header=BB7_62 Depth=1
	v_cmp_ne_u16_e64 vcc_lo, 0, v192
	v_mov_b32_e32 v193, 0
	s_and_not1_b32 s0, s0, exec_lo
	s_and_b32 s2, vcc_lo, exec_lo
	s_wait_alu 0xfffe
	s_or_b32 s0, s0, s2
	s_or_b32 exec_lo, exec_lo, s1
	s_wait_alu 0xfffe
	s_and_saveexec_b32 s1, s0
	s_cbranch_execnz .LBB7_361
	s_branch .LBB7_362
.LBB7_1385:                             ;   in Loop: Header=BB7_62 Depth=1
	s_mov_b32 s0, -1
	s_mov_b32 s2, exec_lo
	v_cmpx_eq_u16_e64 0x80, v198
; %bb.1386:                             ;   in Loop: Header=BB7_62 Depth=1
	s_xor_b32 s0, exec_lo, -1
; %bb.1387:                             ;   in Loop: Header=BB7_62 Depth=1
	s_wait_alu 0xfffe
	s_or_b32 exec_lo, exec_lo, s2
	s_delay_alu instid0(SALU_CYCLE_1)
	s_and_b32 s0, s0, exec_lo
                                        ; implicit-def: $vgpr198
	s_or_saveexec_b32 s1, s1
	v_mov_b32_e32 v192, 0x7f800001
	s_wait_alu 0xfffe
	s_xor_b32 exec_lo, exec_lo, s1
	s_cbranch_execz .LBB7_364
.LBB7_1388:                             ;   in Loop: Header=BB7_62 Depth=1
	v_cmp_ne_u16_e64 vcc_lo, 0, v198
	v_mov_b32_e32 v192, 0
	s_and_not1_b32 s0, s0, exec_lo
	s_and_b32 s2, vcc_lo, exec_lo
	s_wait_alu 0xfffe
	s_or_b32 s0, s0, s2
	s_or_b32 exec_lo, exec_lo, s1
	s_wait_alu 0xfffe
	s_and_saveexec_b32 s1, s0
	s_cbranch_execnz .LBB7_365
	s_branch .LBB7_366
.LBB7_1389:                             ;   in Loop: Header=BB7_62 Depth=1
	s_mov_b32 s0, -1
	s_mov_b32 s2, exec_lo
	v_cmpx_eq_u16_e64 0x80, v198
; %bb.1390:                             ;   in Loop: Header=BB7_62 Depth=1
	s_xor_b32 s0, exec_lo, -1
; %bb.1391:                             ;   in Loop: Header=BB7_62 Depth=1
	s_wait_alu 0xfffe
	s_or_b32 exec_lo, exec_lo, s2
	s_delay_alu instid0(SALU_CYCLE_1)
	s_and_b32 s0, s0, exec_lo
                                        ; implicit-def: $vgpr198
	s_or_saveexec_b32 s1, s1
	v_mov_b32_e32 v99, 0x7f800001
	s_wait_alu 0xfffe
	s_xor_b32 exec_lo, exec_lo, s1
	s_cbranch_execz .LBB7_368
.LBB7_1392:                             ;   in Loop: Header=BB7_62 Depth=1
	v_cmp_ne_u16_e64 vcc_lo, 0, v198
	v_mov_b32_e32 v99, 0
	s_and_not1_b32 s0, s0, exec_lo
	s_and_b32 s2, vcc_lo, exec_lo
	s_wait_alu 0xfffe
	s_or_b32 s0, s0, s2
	s_or_b32 exec_lo, exec_lo, s1
	s_wait_alu 0xfffe
	s_and_saveexec_b32 s1, s0
	s_cbranch_execnz .LBB7_369
	s_branch .LBB7_370
.LBB7_1393:                             ;   in Loop: Header=BB7_62 Depth=1
	s_mov_b32 s0, -1
	s_mov_b32 s2, exec_lo
	v_cmpx_eq_u16_e64 0x80, v198
; %bb.1394:                             ;   in Loop: Header=BB7_62 Depth=1
	s_xor_b32 s0, exec_lo, -1
; %bb.1395:                             ;   in Loop: Header=BB7_62 Depth=1
	s_wait_alu 0xfffe
	s_or_b32 exec_lo, exec_lo, s2
	s_delay_alu instid0(SALU_CYCLE_1)
	s_and_b32 s0, s0, exec_lo
                                        ; implicit-def: $vgpr198
	s_or_saveexec_b32 s1, s1
	v_mov_b32_e32 v129, 0x7f800001
	s_wait_alu 0xfffe
	s_xor_b32 exec_lo, exec_lo, s1
	s_cbranch_execz .LBB7_372
.LBB7_1396:                             ;   in Loop: Header=BB7_62 Depth=1
	v_cmp_ne_u16_e64 vcc_lo, 0, v198
	v_mov_b32_e32 v129, 0
	s_and_not1_b32 s0, s0, exec_lo
	s_and_b32 s2, vcc_lo, exec_lo
	s_wait_alu 0xfffe
	s_or_b32 s0, s0, s2
	s_or_b32 exec_lo, exec_lo, s1
	s_wait_alu 0xfffe
	s_and_saveexec_b32 s1, s0
	s_cbranch_execnz .LBB7_373
	s_branch .LBB7_374
.LBB7_1397:                             ;   in Loop: Header=BB7_62 Depth=1
	s_mov_b32 s0, -1
	s_mov_b32 s2, exec_lo
	v_cmpx_eq_u16_e32 0x80, v118
; %bb.1398:                             ;   in Loop: Header=BB7_62 Depth=1
	s_xor_b32 s0, exec_lo, -1
; %bb.1399:                             ;   in Loop: Header=BB7_62 Depth=1
	s_wait_alu 0xfffe
	s_or_b32 exec_lo, exec_lo, s2
	s_delay_alu instid0(SALU_CYCLE_1)
	s_and_b32 s0, s0, exec_lo
	s_or_saveexec_b32 s1, s1
	v_mov_b32_e32 v119, 0x7f800001
	s_wait_alu 0xfffe
	s_xor_b32 exec_lo, exec_lo, s1
	s_cbranch_execz .LBB7_376
.LBB7_1400:                             ;   in Loop: Header=BB7_62 Depth=1
	v_cmp_ne_u16_e32 vcc_lo, 0, v118
	v_mov_b32_e32 v119, 0
	s_and_not1_b32 s0, s0, exec_lo
	s_and_b32 s2, vcc_lo, exec_lo
	s_wait_alu 0xfffe
	s_or_b32 s0, s0, s2
	s_or_b32 exec_lo, exec_lo, s1
	s_wait_alu 0xfffe
	s_and_saveexec_b32 s1, s0
	s_cbranch_execnz .LBB7_377
	s_branch .LBB7_378
.LBB7_1401:                             ;   in Loop: Header=BB7_62 Depth=1
	s_mov_b32 s0, -1
	s_mov_b32 s2, exec_lo
	v_cmpx_eq_u16_e32 0x80, v118
; %bb.1402:                             ;   in Loop: Header=BB7_62 Depth=1
	s_xor_b32 s0, exec_lo, -1
; %bb.1403:                             ;   in Loop: Header=BB7_62 Depth=1
	s_wait_alu 0xfffe
	s_or_b32 exec_lo, exec_lo, s2
	s_delay_alu instid0(SALU_CYCLE_1)
	s_and_b32 s0, s0, exec_lo
                                        ; implicit-def: $vgpr118
	s_or_saveexec_b32 s1, s1
	v_mov_b32_e32 v117, 0x7f800001
	s_wait_alu 0xfffe
	s_xor_b32 exec_lo, exec_lo, s1
	s_cbranch_execz .LBB7_380
.LBB7_1404:                             ;   in Loop: Header=BB7_62 Depth=1
	v_cmp_ne_u16_e32 vcc_lo, 0, v118
	v_mov_b32_e32 v117, 0
	s_and_not1_b32 s0, s0, exec_lo
	s_and_b32 s2, vcc_lo, exec_lo
	s_wait_alu 0xfffe
	s_or_b32 s0, s0, s2
	s_or_b32 exec_lo, exec_lo, s1
	s_wait_alu 0xfffe
	s_and_saveexec_b32 s1, s0
	s_cbranch_execnz .LBB7_381
	s_branch .LBB7_382
.LBB7_1405:                             ;   in Loop: Header=BB7_62 Depth=1
	s_mov_b32 s0, -1
	s_mov_b32 s2, exec_lo
	v_cmpx_eq_u16_e64 0x80, v198
; %bb.1406:                             ;   in Loop: Header=BB7_62 Depth=1
	s_xor_b32 s0, exec_lo, -1
; %bb.1407:                             ;   in Loop: Header=BB7_62 Depth=1
	s_wait_alu 0xfffe
	s_or_b32 exec_lo, exec_lo, s2
	s_delay_alu instid0(SALU_CYCLE_1)
	s_and_b32 s0, s0, exec_lo
                                        ; implicit-def: $vgpr198
	s_or_saveexec_b32 s1, s1
	v_mov_b32_e32 v96, 0x7f800001
	s_wait_alu 0xfffe
	s_xor_b32 exec_lo, exec_lo, s1
	s_cbranch_execz .LBB7_384
.LBB7_1408:                             ;   in Loop: Header=BB7_62 Depth=1
	v_cmp_ne_u16_e64 vcc_lo, 0, v198
	v_mov_b32_e32 v96, 0
	s_and_not1_b32 s0, s0, exec_lo
	s_and_b32 s2, vcc_lo, exec_lo
	s_wait_alu 0xfffe
	s_or_b32 s0, s0, s2
	s_or_b32 exec_lo, exec_lo, s1
	s_wait_alu 0xfffe
	s_and_saveexec_b32 s1, s0
	s_cbranch_execnz .LBB7_385
	s_branch .LBB7_386
.LBB7_1409:                             ;   in Loop: Header=BB7_62 Depth=1
	s_mov_b32 s0, -1
	s_mov_b32 s2, exec_lo
	v_cmpx_eq_u16_e64 0x80, v198
; %bb.1410:                             ;   in Loop: Header=BB7_62 Depth=1
	s_xor_b32 s0, exec_lo, -1
; %bb.1411:                             ;   in Loop: Header=BB7_62 Depth=1
	s_wait_alu 0xfffe
	s_or_b32 exec_lo, exec_lo, s2
	s_delay_alu instid0(SALU_CYCLE_1)
	s_and_b32 s0, s0, exec_lo
                                        ; implicit-def: $vgpr198
	s_or_saveexec_b32 s1, s1
	v_mov_b32_e32 v128, 0x7f800001
	s_wait_alu 0xfffe
	s_xor_b32 exec_lo, exec_lo, s1
	s_cbranch_execz .LBB7_388
.LBB7_1412:                             ;   in Loop: Header=BB7_62 Depth=1
	v_cmp_ne_u16_e64 vcc_lo, 0, v198
	v_mov_b32_e32 v128, 0
	s_and_not1_b32 s0, s0, exec_lo
	s_and_b32 s2, vcc_lo, exec_lo
	s_wait_alu 0xfffe
	s_or_b32 s0, s0, s2
	s_or_b32 exec_lo, exec_lo, s1
	s_wait_alu 0xfffe
	s_and_saveexec_b32 s1, s0
	s_cbranch_execnz .LBB7_389
	s_branch .LBB7_390
.LBB7_1413:                             ;   in Loop: Header=BB7_62 Depth=1
	s_mov_b32 s0, -1
	s_mov_b32 s2, exec_lo
	v_cmpx_eq_u16_e64 0x80, v131
; %bb.1414:                             ;   in Loop: Header=BB7_62 Depth=1
	s_xor_b32 s0, exec_lo, -1
; %bb.1415:                             ;   in Loop: Header=BB7_62 Depth=1
	s_wait_alu 0xfffe
	s_or_b32 exec_lo, exec_lo, s2
	s_delay_alu instid0(SALU_CYCLE_1)
	s_and_b32 s0, s0, exec_lo
	s_or_saveexec_b32 s1, s1
	v_mov_b32_e32 v130, 0x7f800001
	s_wait_alu 0xfffe
	s_xor_b32 exec_lo, exec_lo, s1
	s_cbranch_execz .LBB7_392
.LBB7_1416:                             ;   in Loop: Header=BB7_62 Depth=1
	v_cmp_ne_u16_e64 vcc_lo, 0, v131
	v_mov_b32_e32 v130, 0
	s_and_not1_b32 s0, s0, exec_lo
	s_and_b32 s2, vcc_lo, exec_lo
	s_wait_alu 0xfffe
	s_or_b32 s0, s0, s2
	s_or_b32 exec_lo, exec_lo, s1
	s_wait_alu 0xfffe
	s_and_saveexec_b32 s1, s0
	s_cbranch_execnz .LBB7_393
	s_branch .LBB7_394
.LBB7_1417:                             ;   in Loop: Header=BB7_62 Depth=1
	s_mov_b32 s0, -1
	s_mov_b32 s2, exec_lo
	v_cmpx_eq_u16_e64 0x80, v198
; %bb.1418:                             ;   in Loop: Header=BB7_62 Depth=1
	s_xor_b32 s0, exec_lo, -1
; %bb.1419:                             ;   in Loop: Header=BB7_62 Depth=1
	s_wait_alu 0xfffe
	s_or_b32 exec_lo, exec_lo, s2
	s_delay_alu instid0(SALU_CYCLE_1)
	s_and_b32 s0, s0, exec_lo
                                        ; implicit-def: $vgpr198
	s_or_saveexec_b32 s1, s1
	v_mov_b32_e32 v131, 0x7f800001
	s_wait_alu 0xfffe
	s_xor_b32 exec_lo, exec_lo, s1
	s_cbranch_execz .LBB7_396
.LBB7_1420:                             ;   in Loop: Header=BB7_62 Depth=1
	v_cmp_ne_u16_e64 vcc_lo, 0, v198
	v_mov_b32_e32 v131, 0
	s_and_not1_b32 s0, s0, exec_lo
	s_and_b32 s2, vcc_lo, exec_lo
	s_wait_alu 0xfffe
	s_or_b32 s0, s0, s2
	s_or_b32 exec_lo, exec_lo, s1
	s_wait_alu 0xfffe
	s_and_saveexec_b32 s1, s0
	s_cbranch_execnz .LBB7_397
	s_branch .LBB7_398
.LBB7_1421:                             ;   in Loop: Header=BB7_62 Depth=1
	s_mov_b32 s0, -1
	s_mov_b32 s2, exec_lo
	v_cmpx_eq_u16_e64 0x80, v198
; %bb.1422:                             ;   in Loop: Header=BB7_62 Depth=1
	s_xor_b32 s0, exec_lo, -1
; %bb.1423:                             ;   in Loop: Header=BB7_62 Depth=1
	s_wait_alu 0xfffe
	s_or_b32 exec_lo, exec_lo, s2
	s_delay_alu instid0(SALU_CYCLE_1)
	s_and_b32 s0, s0, exec_lo
                                        ; implicit-def: $vgpr198
	s_or_saveexec_b32 s1, s1
	v_mov_b32_e32 v97, 0x7f800001
	s_wait_alu 0xfffe
	s_xor_b32 exec_lo, exec_lo, s1
	s_cbranch_execz .LBB7_400
.LBB7_1424:                             ;   in Loop: Header=BB7_62 Depth=1
	v_cmp_ne_u16_e64 vcc_lo, 0, v198
	v_mov_b32_e32 v97, 0
	s_and_not1_b32 s0, s0, exec_lo
	s_and_b32 s2, vcc_lo, exec_lo
	s_wait_alu 0xfffe
	s_or_b32 s0, s0, s2
	s_or_b32 exec_lo, exec_lo, s1
	s_wait_alu 0xfffe
	s_and_saveexec_b32 s1, s0
	s_cbranch_execnz .LBB7_401
	s_branch .LBB7_402
.LBB7_1425:                             ;   in Loop: Header=BB7_62 Depth=1
	s_mov_b32 s0, -1
	s_mov_b32 s2, exec_lo
	v_cmpx_eq_u16_e64 0x80, v198
; %bb.1426:                             ;   in Loop: Header=BB7_62 Depth=1
	s_xor_b32 s0, exec_lo, -1
; %bb.1427:                             ;   in Loop: Header=BB7_62 Depth=1
	s_wait_alu 0xfffe
	s_or_b32 exec_lo, exec_lo, s2
	s_delay_alu instid0(SALU_CYCLE_1)
	s_and_b32 s0, s0, exec_lo
                                        ; implicit-def: $vgpr198
	s_or_saveexec_b32 s1, s1
	v_mov_b32_e32 v194, 0x7f800001
	s_wait_alu 0xfffe
	s_xor_b32 exec_lo, exec_lo, s1
	s_cbranch_execz .LBB7_404
.LBB7_1428:                             ;   in Loop: Header=BB7_62 Depth=1
	v_cmp_ne_u16_e64 vcc_lo, 0, v198
	v_mov_b32_e32 v194, 0
	s_and_not1_b32 s0, s0, exec_lo
	s_and_b32 s2, vcc_lo, exec_lo
	s_wait_alu 0xfffe
	s_or_b32 s0, s0, s2
	s_or_b32 exec_lo, exec_lo, s1
	s_wait_alu 0xfffe
	s_and_saveexec_b32 s1, s0
	s_cbranch_execnz .LBB7_405
	s_branch .LBB7_406
.LBB7_1429:                             ;   in Loop: Header=BB7_62 Depth=1
	s_mov_b32 s0, -1
	s_mov_b32 s2, exec_lo
	v_cmpx_eq_u16_e64 0x80, v197
; %bb.1430:                             ;   in Loop: Header=BB7_62 Depth=1
	s_xor_b32 s0, exec_lo, -1
; %bb.1431:                             ;   in Loop: Header=BB7_62 Depth=1
	s_wait_alu 0xfffe
	s_or_b32 exec_lo, exec_lo, s2
	s_delay_alu instid0(SALU_CYCLE_1)
	s_and_b32 s0, s0, exec_lo
	s_or_saveexec_b32 s1, s1
	v_mov_b32_e32 v196, 0x7f800001
	s_wait_alu 0xfffe
	s_xor_b32 exec_lo, exec_lo, s1
	s_cbranch_execz .LBB7_408
.LBB7_1432:                             ;   in Loop: Header=BB7_62 Depth=1
	v_cmp_ne_u16_e64 vcc_lo, 0, v197
	v_mov_b32_e32 v196, 0
	s_and_not1_b32 s0, s0, exec_lo
	s_and_b32 s2, vcc_lo, exec_lo
	s_wait_alu 0xfffe
	s_or_b32 s0, s0, s2
	s_or_b32 exec_lo, exec_lo, s1
	s_wait_alu 0xfffe
	s_and_saveexec_b32 s1, s0
	s_cbranch_execnz .LBB7_409
	s_branch .LBB7_410
.LBB7_1433:                             ;   in Loop: Header=BB7_62 Depth=1
	s_mov_b32 s0, -1
	s_mov_b32 s2, exec_lo
	v_cmpx_eq_u16_e64 0x80, v198
; %bb.1434:                             ;   in Loop: Header=BB7_62 Depth=1
	s_xor_b32 s0, exec_lo, -1
; %bb.1435:                             ;   in Loop: Header=BB7_62 Depth=1
	s_wait_alu 0xfffe
	s_or_b32 exec_lo, exec_lo, s2
	s_delay_alu instid0(SALU_CYCLE_1)
	s_and_b32 s0, s0, exec_lo
                                        ; implicit-def: $vgpr198
	s_or_saveexec_b32 s1, s1
	v_mov_b32_e32 v197, 0x7f800001
	s_wait_alu 0xfffe
	s_xor_b32 exec_lo, exec_lo, s1
	s_cbranch_execz .LBB7_412
.LBB7_1436:                             ;   in Loop: Header=BB7_62 Depth=1
	v_cmp_ne_u16_e64 vcc_lo, 0, v198
	v_mov_b32_e32 v197, 0
	s_and_not1_b32 s0, s0, exec_lo
	s_and_b32 s2, vcc_lo, exec_lo
	s_wait_alu 0xfffe
	s_or_b32 s0, s0, s2
	s_or_b32 exec_lo, exec_lo, s1
	s_wait_alu 0xfffe
	s_and_saveexec_b32 s1, s0
	s_cbranch_execnz .LBB7_413
	s_branch .LBB7_414
.LBB7_1437:                             ;   in Loop: Header=BB7_62 Depth=1
	s_mov_b32 s0, -1
	s_mov_b32 s2, exec_lo
	v_cmpx_eq_u16_e64 0x80, v198
; %bb.1438:                             ;   in Loop: Header=BB7_62 Depth=1
	s_xor_b32 s0, exec_lo, -1
; %bb.1439:                             ;   in Loop: Header=BB7_62 Depth=1
	s_wait_alu 0xfffe
	s_or_b32 exec_lo, exec_lo, s2
	s_delay_alu instid0(SALU_CYCLE_1)
	s_and_b32 s0, s0, exec_lo
                                        ; implicit-def: $vgpr198
	s_or_saveexec_b32 s1, s1
	v_mov_b32_e32 v98, 0x7f800001
	s_wait_alu 0xfffe
	s_xor_b32 exec_lo, exec_lo, s1
	s_cbranch_execz .LBB7_416
.LBB7_1440:                             ;   in Loop: Header=BB7_62 Depth=1
	v_cmp_ne_u16_e64 vcc_lo, 0, v198
	v_mov_b32_e32 v98, 0
	s_and_not1_b32 s0, s0, exec_lo
	s_and_b32 s2, vcc_lo, exec_lo
	s_wait_alu 0xfffe
	s_or_b32 s0, s0, s2
	s_or_b32 exec_lo, exec_lo, s1
	s_wait_alu 0xfffe
	s_and_saveexec_b32 s1, s0
	s_cbranch_execnz .LBB7_417
	s_branch .LBB7_418
.LBB7_1441:                             ;   in Loop: Header=BB7_62 Depth=1
	s_mov_b32 s0, -1
	s_mov_b32 s2, exec_lo
	v_cmpx_eq_u16_e64 0x80, v198
; %bb.1442:                             ;   in Loop: Header=BB7_62 Depth=1
	s_xor_b32 s0, exec_lo, -1
; %bb.1443:                             ;   in Loop: Header=BB7_62 Depth=1
	s_wait_alu 0xfffe
	s_or_b32 exec_lo, exec_lo, s2
	s_delay_alu instid0(SALU_CYCLE_1)
	s_and_b32 s0, s0, exec_lo
                                        ; implicit-def: $vgpr198
	s_or_saveexec_b32 s1, s1
	v_mov_b32_e32 v195, 0x7f800001
	s_wait_alu 0xfffe
	s_xor_b32 exec_lo, exec_lo, s1
	s_cbranch_execz .LBB7_420
.LBB7_1444:                             ;   in Loop: Header=BB7_62 Depth=1
	v_cmp_ne_u16_e64 vcc_lo, 0, v198
	v_mov_b32_e32 v195, 0
	s_and_not1_b32 s0, s0, exec_lo
	s_and_b32 s2, vcc_lo, exec_lo
	s_wait_alu 0xfffe
	s_or_b32 s0, s0, s2
	s_or_b32 exec_lo, exec_lo, s1
	s_wait_alu 0xfffe
	s_and_saveexec_b32 s1, s0
	s_cbranch_execnz .LBB7_421
	s_branch .LBB7_422
.LBB7_1445:                             ;   in Loop: Header=BB7_62 Depth=1
	s_mov_b32 s0, -1
	s_mov_b32 s2, exec_lo
	v_cmpx_eq_u16_e64 0x80, v192
; %bb.1446:                             ;   in Loop: Header=BB7_62 Depth=1
	s_xor_b32 s0, exec_lo, -1
; %bb.1447:                             ;   in Loop: Header=BB7_62 Depth=1
	s_wait_alu 0xfffe
	s_or_b32 exec_lo, exec_lo, s2
	s_delay_alu instid0(SALU_CYCLE_1)
	s_and_b32 s0, s0, exec_lo
	s_or_saveexec_b32 s1, s1
	v_mov_b32_e32 v193, 0x7f800001
	s_wait_alu 0xfffe
	s_xor_b32 exec_lo, exec_lo, s1
	s_cbranch_execz .LBB7_424
.LBB7_1448:                             ;   in Loop: Header=BB7_62 Depth=1
	v_cmp_ne_u16_e64 vcc_lo, 0, v192
	v_mov_b32_e32 v193, 0
	s_and_not1_b32 s0, s0, exec_lo
	s_and_b32 s2, vcc_lo, exec_lo
	s_wait_alu 0xfffe
	s_or_b32 s0, s0, s2
	s_or_b32 exec_lo, exec_lo, s1
	s_wait_alu 0xfffe
	s_and_saveexec_b32 s1, s0
	s_cbranch_execnz .LBB7_425
	s_branch .LBB7_426
.LBB7_1449:                             ;   in Loop: Header=BB7_62 Depth=1
	s_mov_b32 s0, -1
	s_mov_b32 s2, exec_lo
	v_cmpx_eq_u16_e64 0x80, v198
; %bb.1450:                             ;   in Loop: Header=BB7_62 Depth=1
	s_xor_b32 s0, exec_lo, -1
; %bb.1451:                             ;   in Loop: Header=BB7_62 Depth=1
	s_wait_alu 0xfffe
	s_or_b32 exec_lo, exec_lo, s2
	s_delay_alu instid0(SALU_CYCLE_1)
	s_and_b32 s0, s0, exec_lo
                                        ; implicit-def: $vgpr198
	s_or_saveexec_b32 s1, s1
	v_mov_b32_e32 v192, 0x7f800001
	s_wait_alu 0xfffe
	s_xor_b32 exec_lo, exec_lo, s1
	s_cbranch_execz .LBB7_428
.LBB7_1452:                             ;   in Loop: Header=BB7_62 Depth=1
	v_cmp_ne_u16_e64 vcc_lo, 0, v198
	v_mov_b32_e32 v192, 0
	s_and_not1_b32 s0, s0, exec_lo
	s_and_b32 s2, vcc_lo, exec_lo
	s_wait_alu 0xfffe
	s_or_b32 s0, s0, s2
	s_or_b32 exec_lo, exec_lo, s1
	s_wait_alu 0xfffe
	s_and_saveexec_b32 s1, s0
	s_cbranch_execnz .LBB7_429
	s_branch .LBB7_430
.LBB7_1453:                             ;   in Loop: Header=BB7_62 Depth=1
	s_mov_b32 s0, -1
	s_mov_b32 s2, exec_lo
	v_cmpx_eq_u16_e64 0x80, v198
; %bb.1454:                             ;   in Loop: Header=BB7_62 Depth=1
	s_xor_b32 s0, exec_lo, -1
; %bb.1455:                             ;   in Loop: Header=BB7_62 Depth=1
	s_wait_alu 0xfffe
	s_or_b32 exec_lo, exec_lo, s2
	s_delay_alu instid0(SALU_CYCLE_1)
	s_and_b32 s0, s0, exec_lo
                                        ; implicit-def: $vgpr198
	s_or_saveexec_b32 s1, s1
	v_mov_b32_e32 v99, 0x7f800001
	s_wait_alu 0xfffe
	s_xor_b32 exec_lo, exec_lo, s1
	s_cbranch_execz .LBB7_432
.LBB7_1456:                             ;   in Loop: Header=BB7_62 Depth=1
	v_cmp_ne_u16_e64 vcc_lo, 0, v198
	v_mov_b32_e32 v99, 0
	s_and_not1_b32 s0, s0, exec_lo
	s_and_b32 s2, vcc_lo, exec_lo
	s_wait_alu 0xfffe
	s_or_b32 s0, s0, s2
	s_or_b32 exec_lo, exec_lo, s1
	s_wait_alu 0xfffe
	s_and_saveexec_b32 s1, s0
	s_cbranch_execnz .LBB7_433
	s_branch .LBB7_434
.LBB7_1457:                             ;   in Loop: Header=BB7_62 Depth=1
	s_mov_b32 s0, -1
	s_mov_b32 s2, exec_lo
	v_cmpx_eq_u16_e64 0x80, v198
; %bb.1458:                             ;   in Loop: Header=BB7_62 Depth=1
	s_xor_b32 s0, exec_lo, -1
; %bb.1459:                             ;   in Loop: Header=BB7_62 Depth=1
	s_wait_alu 0xfffe
	s_or_b32 exec_lo, exec_lo, s2
	s_delay_alu instid0(SALU_CYCLE_1)
	s_and_b32 s0, s0, exec_lo
                                        ; implicit-def: $vgpr198
	s_or_saveexec_b32 s1, s1
	v_mov_b32_e32 v129, 0x7f800001
	s_wait_alu 0xfffe
	s_xor_b32 exec_lo, exec_lo, s1
	s_cbranch_execz .LBB7_436
.LBB7_1460:                             ;   in Loop: Header=BB7_62 Depth=1
	v_cmp_ne_u16_e64 vcc_lo, 0, v198
	v_mov_b32_e32 v129, 0
	s_and_not1_b32 s0, s0, exec_lo
	s_and_b32 s2, vcc_lo, exec_lo
	s_wait_alu 0xfffe
	s_or_b32 s0, s0, s2
	s_or_b32 exec_lo, exec_lo, s1
	s_wait_alu 0xfffe
	s_and_saveexec_b32 s1, s0
	s_cbranch_execnz .LBB7_437
	s_branch .LBB7_438
.LBB7_1461:                             ;   in Loop: Header=BB7_62 Depth=1
	s_mov_b32 s0, -1
	s_mov_b32 s2, exec_lo
	v_cmpx_eq_u16_e32 0x80, v118
; %bb.1462:                             ;   in Loop: Header=BB7_62 Depth=1
	s_xor_b32 s0, exec_lo, -1
; %bb.1463:                             ;   in Loop: Header=BB7_62 Depth=1
	s_wait_alu 0xfffe
	s_or_b32 exec_lo, exec_lo, s2
	s_delay_alu instid0(SALU_CYCLE_1)
	s_and_b32 s0, s0, exec_lo
	s_or_saveexec_b32 s1, s1
	v_mov_b32_e32 v119, 0x7f800001
	s_wait_alu 0xfffe
	s_xor_b32 exec_lo, exec_lo, s1
	s_cbranch_execz .LBB7_440
.LBB7_1464:                             ;   in Loop: Header=BB7_62 Depth=1
	v_cmp_ne_u16_e32 vcc_lo, 0, v118
	v_mov_b32_e32 v119, 0
	s_and_not1_b32 s0, s0, exec_lo
	s_and_b32 s2, vcc_lo, exec_lo
	s_wait_alu 0xfffe
	s_or_b32 s0, s0, s2
	s_or_b32 exec_lo, exec_lo, s1
	s_wait_alu 0xfffe
	s_and_saveexec_b32 s1, s0
	s_cbranch_execnz .LBB7_441
	s_branch .LBB7_442
.LBB7_1465:                             ;   in Loop: Header=BB7_62 Depth=1
	s_mov_b32 s0, -1
	s_mov_b32 s2, exec_lo
	v_cmpx_eq_u16_e32 0x80, v118
; %bb.1466:                             ;   in Loop: Header=BB7_62 Depth=1
	s_xor_b32 s0, exec_lo, -1
; %bb.1467:                             ;   in Loop: Header=BB7_62 Depth=1
	s_wait_alu 0xfffe
	s_or_b32 exec_lo, exec_lo, s2
	s_delay_alu instid0(SALU_CYCLE_1)
	s_and_b32 s0, s0, exec_lo
                                        ; implicit-def: $vgpr118
	s_or_saveexec_b32 s1, s1
	v_mov_b32_e32 v117, 0x7f800001
	s_wait_alu 0xfffe
	s_xor_b32 exec_lo, exec_lo, s1
	s_cbranch_execz .LBB7_444
.LBB7_1468:                             ;   in Loop: Header=BB7_62 Depth=1
	v_cmp_ne_u16_e32 vcc_lo, 0, v118
	v_mov_b32_e32 v117, 0
	s_and_not1_b32 s0, s0, exec_lo
	s_and_b32 s2, vcc_lo, exec_lo
	s_wait_alu 0xfffe
	s_or_b32 s0, s0, s2
	s_or_b32 exec_lo, exec_lo, s1
	s_wait_alu 0xfffe
	s_and_saveexec_b32 s1, s0
	s_cbranch_execnz .LBB7_445
	s_branch .LBB7_446
.LBB7_1469:                             ;   in Loop: Header=BB7_62 Depth=1
	s_mov_b32 s0, -1
	s_mov_b32 s2, exec_lo
	v_cmpx_eq_u16_e64 0x80, v198
; %bb.1470:                             ;   in Loop: Header=BB7_62 Depth=1
	s_xor_b32 s0, exec_lo, -1
; %bb.1471:                             ;   in Loop: Header=BB7_62 Depth=1
	s_wait_alu 0xfffe
	s_or_b32 exec_lo, exec_lo, s2
	s_delay_alu instid0(SALU_CYCLE_1)
	s_and_b32 s0, s0, exec_lo
                                        ; implicit-def: $vgpr198
	s_or_saveexec_b32 s1, s1
	v_mov_b32_e32 v96, 0x7f800001
	s_wait_alu 0xfffe
	s_xor_b32 exec_lo, exec_lo, s1
	s_cbranch_execz .LBB7_448
.LBB7_1472:                             ;   in Loop: Header=BB7_62 Depth=1
	v_cmp_ne_u16_e64 vcc_lo, 0, v198
	v_mov_b32_e32 v96, 0
	s_and_not1_b32 s0, s0, exec_lo
	s_and_b32 s2, vcc_lo, exec_lo
	s_wait_alu 0xfffe
	s_or_b32 s0, s0, s2
	s_or_b32 exec_lo, exec_lo, s1
	s_wait_alu 0xfffe
	s_and_saveexec_b32 s1, s0
	s_cbranch_execnz .LBB7_449
	s_branch .LBB7_450
.LBB7_1473:                             ;   in Loop: Header=BB7_62 Depth=1
	s_mov_b32 s0, -1
	s_mov_b32 s2, exec_lo
	v_cmpx_eq_u16_e64 0x80, v198
; %bb.1474:                             ;   in Loop: Header=BB7_62 Depth=1
	s_xor_b32 s0, exec_lo, -1
; %bb.1475:                             ;   in Loop: Header=BB7_62 Depth=1
	s_wait_alu 0xfffe
	s_or_b32 exec_lo, exec_lo, s2
	s_delay_alu instid0(SALU_CYCLE_1)
	s_and_b32 s0, s0, exec_lo
                                        ; implicit-def: $vgpr198
	s_or_saveexec_b32 s1, s1
	v_mov_b32_e32 v128, 0x7f800001
	s_wait_alu 0xfffe
	s_xor_b32 exec_lo, exec_lo, s1
	s_cbranch_execz .LBB7_452
.LBB7_1476:                             ;   in Loop: Header=BB7_62 Depth=1
	v_cmp_ne_u16_e64 vcc_lo, 0, v198
	v_mov_b32_e32 v128, 0
	s_and_not1_b32 s0, s0, exec_lo
	s_and_b32 s2, vcc_lo, exec_lo
	s_wait_alu 0xfffe
	s_or_b32 s0, s0, s2
	s_or_b32 exec_lo, exec_lo, s1
	s_wait_alu 0xfffe
	s_and_saveexec_b32 s1, s0
	s_cbranch_execnz .LBB7_453
	s_branch .LBB7_454
.LBB7_1477:                             ;   in Loop: Header=BB7_62 Depth=1
	s_mov_b32 s0, -1
	s_mov_b32 s2, exec_lo
	v_cmpx_eq_u16_e64 0x80, v131
; %bb.1478:                             ;   in Loop: Header=BB7_62 Depth=1
	s_xor_b32 s0, exec_lo, -1
; %bb.1479:                             ;   in Loop: Header=BB7_62 Depth=1
	s_wait_alu 0xfffe
	s_or_b32 exec_lo, exec_lo, s2
	s_delay_alu instid0(SALU_CYCLE_1)
	s_and_b32 s0, s0, exec_lo
	s_or_saveexec_b32 s1, s1
	v_mov_b32_e32 v130, 0x7f800001
	s_wait_alu 0xfffe
	s_xor_b32 exec_lo, exec_lo, s1
	s_cbranch_execz .LBB7_456
.LBB7_1480:                             ;   in Loop: Header=BB7_62 Depth=1
	v_cmp_ne_u16_e64 vcc_lo, 0, v131
	v_mov_b32_e32 v130, 0
	s_and_not1_b32 s0, s0, exec_lo
	s_and_b32 s2, vcc_lo, exec_lo
	s_wait_alu 0xfffe
	s_or_b32 s0, s0, s2
	s_or_b32 exec_lo, exec_lo, s1
	s_wait_alu 0xfffe
	s_and_saveexec_b32 s1, s0
	s_cbranch_execnz .LBB7_457
	s_branch .LBB7_458
.LBB7_1481:                             ;   in Loop: Header=BB7_62 Depth=1
	s_mov_b32 s0, -1
	s_mov_b32 s2, exec_lo
	v_cmpx_eq_u16_e64 0x80, v198
; %bb.1482:                             ;   in Loop: Header=BB7_62 Depth=1
	s_xor_b32 s0, exec_lo, -1
; %bb.1483:                             ;   in Loop: Header=BB7_62 Depth=1
	s_wait_alu 0xfffe
	s_or_b32 exec_lo, exec_lo, s2
	s_delay_alu instid0(SALU_CYCLE_1)
	s_and_b32 s0, s0, exec_lo
                                        ; implicit-def: $vgpr198
	s_or_saveexec_b32 s1, s1
	v_mov_b32_e32 v131, 0x7f800001
	s_wait_alu 0xfffe
	s_xor_b32 exec_lo, exec_lo, s1
	s_cbranch_execz .LBB7_460
.LBB7_1484:                             ;   in Loop: Header=BB7_62 Depth=1
	v_cmp_ne_u16_e64 vcc_lo, 0, v198
	v_mov_b32_e32 v131, 0
	s_and_not1_b32 s0, s0, exec_lo
	s_and_b32 s2, vcc_lo, exec_lo
	s_wait_alu 0xfffe
	s_or_b32 s0, s0, s2
	s_or_b32 exec_lo, exec_lo, s1
	s_wait_alu 0xfffe
	s_and_saveexec_b32 s1, s0
	s_cbranch_execnz .LBB7_461
	s_branch .LBB7_462
.LBB7_1485:                             ;   in Loop: Header=BB7_62 Depth=1
	s_mov_b32 s0, -1
	s_mov_b32 s2, exec_lo
	v_cmpx_eq_u16_e64 0x80, v198
; %bb.1486:                             ;   in Loop: Header=BB7_62 Depth=1
	s_xor_b32 s0, exec_lo, -1
; %bb.1487:                             ;   in Loop: Header=BB7_62 Depth=1
	s_wait_alu 0xfffe
	s_or_b32 exec_lo, exec_lo, s2
	s_delay_alu instid0(SALU_CYCLE_1)
	s_and_b32 s0, s0, exec_lo
                                        ; implicit-def: $vgpr198
	s_or_saveexec_b32 s1, s1
	v_mov_b32_e32 v97, 0x7f800001
	s_wait_alu 0xfffe
	s_xor_b32 exec_lo, exec_lo, s1
	s_cbranch_execz .LBB7_464
.LBB7_1488:                             ;   in Loop: Header=BB7_62 Depth=1
	v_cmp_ne_u16_e64 vcc_lo, 0, v198
	v_mov_b32_e32 v97, 0
	s_and_not1_b32 s0, s0, exec_lo
	s_and_b32 s2, vcc_lo, exec_lo
	s_wait_alu 0xfffe
	s_or_b32 s0, s0, s2
	s_or_b32 exec_lo, exec_lo, s1
	s_wait_alu 0xfffe
	s_and_saveexec_b32 s1, s0
	s_cbranch_execnz .LBB7_465
	s_branch .LBB7_466
.LBB7_1489:                             ;   in Loop: Header=BB7_62 Depth=1
	s_mov_b32 s0, -1
	s_mov_b32 s2, exec_lo
	v_cmpx_eq_u16_e64 0x80, v198
; %bb.1490:                             ;   in Loop: Header=BB7_62 Depth=1
	s_xor_b32 s0, exec_lo, -1
; %bb.1491:                             ;   in Loop: Header=BB7_62 Depth=1
	s_wait_alu 0xfffe
	s_or_b32 exec_lo, exec_lo, s2
	s_delay_alu instid0(SALU_CYCLE_1)
	s_and_b32 s0, s0, exec_lo
                                        ; implicit-def: $vgpr198
	s_or_saveexec_b32 s1, s1
	v_mov_b32_e32 v194, 0x7f800001
	s_wait_alu 0xfffe
	s_xor_b32 exec_lo, exec_lo, s1
	s_cbranch_execz .LBB7_468
.LBB7_1492:                             ;   in Loop: Header=BB7_62 Depth=1
	v_cmp_ne_u16_e64 vcc_lo, 0, v198
	v_mov_b32_e32 v194, 0
	s_and_not1_b32 s0, s0, exec_lo
	s_and_b32 s2, vcc_lo, exec_lo
	s_wait_alu 0xfffe
	s_or_b32 s0, s0, s2
	s_or_b32 exec_lo, exec_lo, s1
	s_wait_alu 0xfffe
	s_and_saveexec_b32 s1, s0
	s_cbranch_execnz .LBB7_469
	s_branch .LBB7_470
.LBB7_1493:                             ;   in Loop: Header=BB7_62 Depth=1
	s_mov_b32 s0, -1
	s_mov_b32 s2, exec_lo
	v_cmpx_eq_u16_e64 0x80, v197
; %bb.1494:                             ;   in Loop: Header=BB7_62 Depth=1
	s_xor_b32 s0, exec_lo, -1
; %bb.1495:                             ;   in Loop: Header=BB7_62 Depth=1
	s_wait_alu 0xfffe
	s_or_b32 exec_lo, exec_lo, s2
	s_delay_alu instid0(SALU_CYCLE_1)
	s_and_b32 s0, s0, exec_lo
	s_or_saveexec_b32 s1, s1
	v_mov_b32_e32 v196, 0x7f800001
	s_wait_alu 0xfffe
	s_xor_b32 exec_lo, exec_lo, s1
	s_cbranch_execz .LBB7_472
.LBB7_1496:                             ;   in Loop: Header=BB7_62 Depth=1
	v_cmp_ne_u16_e64 vcc_lo, 0, v197
	v_mov_b32_e32 v196, 0
	s_and_not1_b32 s0, s0, exec_lo
	s_and_b32 s2, vcc_lo, exec_lo
	s_wait_alu 0xfffe
	s_or_b32 s0, s0, s2
	s_or_b32 exec_lo, exec_lo, s1
	s_wait_alu 0xfffe
	s_and_saveexec_b32 s1, s0
	s_cbranch_execnz .LBB7_473
	s_branch .LBB7_474
.LBB7_1497:                             ;   in Loop: Header=BB7_62 Depth=1
	s_mov_b32 s0, -1
	s_mov_b32 s2, exec_lo
	v_cmpx_eq_u16_e64 0x80, v198
; %bb.1498:                             ;   in Loop: Header=BB7_62 Depth=1
	s_xor_b32 s0, exec_lo, -1
; %bb.1499:                             ;   in Loop: Header=BB7_62 Depth=1
	s_wait_alu 0xfffe
	s_or_b32 exec_lo, exec_lo, s2
	s_delay_alu instid0(SALU_CYCLE_1)
	s_and_b32 s0, s0, exec_lo
                                        ; implicit-def: $vgpr198
	s_or_saveexec_b32 s1, s1
	v_mov_b32_e32 v197, 0x7f800001
	s_wait_alu 0xfffe
	s_xor_b32 exec_lo, exec_lo, s1
	s_cbranch_execz .LBB7_476
.LBB7_1500:                             ;   in Loop: Header=BB7_62 Depth=1
	v_cmp_ne_u16_e64 vcc_lo, 0, v198
	v_mov_b32_e32 v197, 0
	s_and_not1_b32 s0, s0, exec_lo
	s_and_b32 s2, vcc_lo, exec_lo
	s_wait_alu 0xfffe
	s_or_b32 s0, s0, s2
	s_or_b32 exec_lo, exec_lo, s1
	s_wait_alu 0xfffe
	s_and_saveexec_b32 s1, s0
	s_cbranch_execnz .LBB7_477
	s_branch .LBB7_478
.LBB7_1501:                             ;   in Loop: Header=BB7_62 Depth=1
	s_mov_b32 s0, -1
	s_mov_b32 s2, exec_lo
	v_cmpx_eq_u16_e64 0x80, v198
; %bb.1502:                             ;   in Loop: Header=BB7_62 Depth=1
	s_xor_b32 s0, exec_lo, -1
; %bb.1503:                             ;   in Loop: Header=BB7_62 Depth=1
	s_wait_alu 0xfffe
	s_or_b32 exec_lo, exec_lo, s2
	s_delay_alu instid0(SALU_CYCLE_1)
	s_and_b32 s0, s0, exec_lo
                                        ; implicit-def: $vgpr198
	s_or_saveexec_b32 s1, s1
	v_mov_b32_e32 v98, 0x7f800001
	s_wait_alu 0xfffe
	s_xor_b32 exec_lo, exec_lo, s1
	s_cbranch_execz .LBB7_480
.LBB7_1504:                             ;   in Loop: Header=BB7_62 Depth=1
	v_cmp_ne_u16_e64 vcc_lo, 0, v198
	v_mov_b32_e32 v98, 0
	s_and_not1_b32 s0, s0, exec_lo
	s_and_b32 s2, vcc_lo, exec_lo
	s_wait_alu 0xfffe
	s_or_b32 s0, s0, s2
	s_or_b32 exec_lo, exec_lo, s1
	s_wait_alu 0xfffe
	s_and_saveexec_b32 s1, s0
	s_cbranch_execnz .LBB7_481
	s_branch .LBB7_482
.LBB7_1505:                             ;   in Loop: Header=BB7_62 Depth=1
	s_mov_b32 s0, -1
	s_mov_b32 s2, exec_lo
	v_cmpx_eq_u16_e64 0x80, v198
; %bb.1506:                             ;   in Loop: Header=BB7_62 Depth=1
	s_xor_b32 s0, exec_lo, -1
; %bb.1507:                             ;   in Loop: Header=BB7_62 Depth=1
	s_wait_alu 0xfffe
	s_or_b32 exec_lo, exec_lo, s2
	s_delay_alu instid0(SALU_CYCLE_1)
	s_and_b32 s0, s0, exec_lo
                                        ; implicit-def: $vgpr198
	s_or_saveexec_b32 s1, s1
	v_mov_b32_e32 v195, 0x7f800001
	s_wait_alu 0xfffe
	s_xor_b32 exec_lo, exec_lo, s1
	s_cbranch_execz .LBB7_484
.LBB7_1508:                             ;   in Loop: Header=BB7_62 Depth=1
	v_cmp_ne_u16_e64 vcc_lo, 0, v198
	v_mov_b32_e32 v195, 0
	s_and_not1_b32 s0, s0, exec_lo
	s_and_b32 s2, vcc_lo, exec_lo
	s_wait_alu 0xfffe
	s_or_b32 s0, s0, s2
	s_or_b32 exec_lo, exec_lo, s1
	s_wait_alu 0xfffe
	s_and_saveexec_b32 s1, s0
	s_cbranch_execnz .LBB7_485
	s_branch .LBB7_486
.LBB7_1509:                             ;   in Loop: Header=BB7_62 Depth=1
	s_mov_b32 s0, -1
	s_mov_b32 s2, exec_lo
	v_cmpx_eq_u16_e64 0x80, v192
; %bb.1510:                             ;   in Loop: Header=BB7_62 Depth=1
	s_xor_b32 s0, exec_lo, -1
; %bb.1511:                             ;   in Loop: Header=BB7_62 Depth=1
	s_wait_alu 0xfffe
	s_or_b32 exec_lo, exec_lo, s2
	s_delay_alu instid0(SALU_CYCLE_1)
	s_and_b32 s0, s0, exec_lo
	s_or_saveexec_b32 s1, s1
	v_mov_b32_e32 v193, 0x7f800001
	s_wait_alu 0xfffe
	s_xor_b32 exec_lo, exec_lo, s1
	s_cbranch_execz .LBB7_488
.LBB7_1512:                             ;   in Loop: Header=BB7_62 Depth=1
	v_cmp_ne_u16_e64 vcc_lo, 0, v192
	v_mov_b32_e32 v193, 0
	s_and_not1_b32 s0, s0, exec_lo
	s_and_b32 s2, vcc_lo, exec_lo
	s_wait_alu 0xfffe
	s_or_b32 s0, s0, s2
	s_or_b32 exec_lo, exec_lo, s1
	s_wait_alu 0xfffe
	s_and_saveexec_b32 s1, s0
	s_cbranch_execnz .LBB7_489
	s_branch .LBB7_490
.LBB7_1513:                             ;   in Loop: Header=BB7_62 Depth=1
	s_mov_b32 s0, -1
	s_mov_b32 s2, exec_lo
	v_cmpx_eq_u16_e64 0x80, v198
; %bb.1514:                             ;   in Loop: Header=BB7_62 Depth=1
	s_xor_b32 s0, exec_lo, -1
; %bb.1515:                             ;   in Loop: Header=BB7_62 Depth=1
	s_wait_alu 0xfffe
	s_or_b32 exec_lo, exec_lo, s2
	s_delay_alu instid0(SALU_CYCLE_1)
	s_and_b32 s0, s0, exec_lo
                                        ; implicit-def: $vgpr198
	s_or_saveexec_b32 s1, s1
	v_mov_b32_e32 v192, 0x7f800001
	s_wait_alu 0xfffe
	s_xor_b32 exec_lo, exec_lo, s1
	s_cbranch_execz .LBB7_492
.LBB7_1516:                             ;   in Loop: Header=BB7_62 Depth=1
	v_cmp_ne_u16_e64 vcc_lo, 0, v198
	v_mov_b32_e32 v192, 0
	s_and_not1_b32 s0, s0, exec_lo
	s_and_b32 s2, vcc_lo, exec_lo
	s_wait_alu 0xfffe
	s_or_b32 s0, s0, s2
	s_or_b32 exec_lo, exec_lo, s1
	s_wait_alu 0xfffe
	s_and_saveexec_b32 s1, s0
	s_cbranch_execnz .LBB7_493
	s_branch .LBB7_494
.LBB7_1517:                             ;   in Loop: Header=BB7_62 Depth=1
	s_mov_b32 s0, -1
	s_mov_b32 s2, exec_lo
	v_cmpx_eq_u16_e64 0x80, v198
; %bb.1518:                             ;   in Loop: Header=BB7_62 Depth=1
	s_xor_b32 s0, exec_lo, -1
; %bb.1519:                             ;   in Loop: Header=BB7_62 Depth=1
	s_wait_alu 0xfffe
	s_or_b32 exec_lo, exec_lo, s2
	s_delay_alu instid0(SALU_CYCLE_1)
	s_and_b32 s0, s0, exec_lo
                                        ; implicit-def: $vgpr198
	s_or_saveexec_b32 s1, s1
	v_mov_b32_e32 v99, 0x7f800001
	s_wait_alu 0xfffe
	s_xor_b32 exec_lo, exec_lo, s1
	s_cbranch_execz .LBB7_496
.LBB7_1520:                             ;   in Loop: Header=BB7_62 Depth=1
	v_cmp_ne_u16_e64 vcc_lo, 0, v198
	v_mov_b32_e32 v99, 0
	s_and_not1_b32 s0, s0, exec_lo
	s_and_b32 s2, vcc_lo, exec_lo
	s_wait_alu 0xfffe
	s_or_b32 s0, s0, s2
	s_or_b32 exec_lo, exec_lo, s1
	s_wait_alu 0xfffe
	s_and_saveexec_b32 s1, s0
	s_cbranch_execnz .LBB7_497
	s_branch .LBB7_498
.LBB7_1521:                             ;   in Loop: Header=BB7_62 Depth=1
	s_mov_b32 s0, -1
	s_mov_b32 s2, exec_lo
	v_cmpx_eq_u16_e64 0x80, v198
; %bb.1522:                             ;   in Loop: Header=BB7_62 Depth=1
	s_xor_b32 s0, exec_lo, -1
; %bb.1523:                             ;   in Loop: Header=BB7_62 Depth=1
	s_wait_alu 0xfffe
	s_or_b32 exec_lo, exec_lo, s2
	s_delay_alu instid0(SALU_CYCLE_1)
	s_and_b32 s0, s0, exec_lo
                                        ; implicit-def: $vgpr198
	s_or_saveexec_b32 s1, s1
	v_mov_b32_e32 v129, 0x7f800001
	s_wait_alu 0xfffe
	s_xor_b32 exec_lo, exec_lo, s1
	s_cbranch_execz .LBB7_500
.LBB7_1524:                             ;   in Loop: Header=BB7_62 Depth=1
	v_cmp_ne_u16_e64 vcc_lo, 0, v198
	v_mov_b32_e32 v129, 0
	s_and_not1_b32 s0, s0, exec_lo
	s_and_b32 s2, vcc_lo, exec_lo
	s_wait_alu 0xfffe
	s_or_b32 s0, s0, s2
	s_or_b32 exec_lo, exec_lo, s1
	s_wait_alu 0xfffe
	s_and_saveexec_b32 s1, s0
	s_cbranch_execnz .LBB7_501
	s_branch .LBB7_502
.LBB7_1525:                             ;   in Loop: Header=BB7_62 Depth=1
	s_mov_b32 s0, -1
	s_mov_b32 s2, exec_lo
	v_cmpx_eq_u16_e32 0x80, v118
; %bb.1526:                             ;   in Loop: Header=BB7_62 Depth=1
	s_xor_b32 s0, exec_lo, -1
; %bb.1527:                             ;   in Loop: Header=BB7_62 Depth=1
	s_wait_alu 0xfffe
	s_or_b32 exec_lo, exec_lo, s2
	s_delay_alu instid0(SALU_CYCLE_1)
	s_and_b32 s0, s0, exec_lo
	s_or_saveexec_b32 s1, s1
	v_mov_b32_e32 v119, 0x7f800001
	s_wait_alu 0xfffe
	s_xor_b32 exec_lo, exec_lo, s1
	s_cbranch_execz .LBB7_504
.LBB7_1528:                             ;   in Loop: Header=BB7_62 Depth=1
	v_cmp_ne_u16_e32 vcc_lo, 0, v118
	v_mov_b32_e32 v119, 0
	s_and_not1_b32 s0, s0, exec_lo
	s_and_b32 s2, vcc_lo, exec_lo
	s_wait_alu 0xfffe
	s_or_b32 s0, s0, s2
	s_or_b32 exec_lo, exec_lo, s1
	s_wait_alu 0xfffe
	s_and_saveexec_b32 s1, s0
	s_cbranch_execnz .LBB7_505
	s_branch .LBB7_506
.LBB7_1529:                             ;   in Loop: Header=BB7_62 Depth=1
	s_mov_b32 s0, -1
	s_mov_b32 s2, exec_lo
	v_cmpx_eq_u16_e32 0x80, v101
; %bb.1530:                             ;   in Loop: Header=BB7_62 Depth=1
	s_xor_b32 s0, exec_lo, -1
; %bb.1531:                             ;   in Loop: Header=BB7_62 Depth=1
	s_wait_alu 0xfffe
	s_or_b32 exec_lo, exec_lo, s2
	s_delay_alu instid0(SALU_CYCLE_1)
	s_and_b32 s0, s0, exec_lo
                                        ; implicit-def: $vgpr101
	s_or_saveexec_b32 s1, s1
	v_mov_b32_e32 v100, 0x7f800001
	s_wait_alu 0xfffe
	s_xor_b32 exec_lo, exec_lo, s1
	s_cbranch_execz .LBB7_508
.LBB7_1532:                             ;   in Loop: Header=BB7_62 Depth=1
	v_cmp_ne_u16_e32 vcc_lo, 0, v101
	v_mov_b32_e32 v100, 0
	s_and_not1_b32 s0, s0, exec_lo
	s_and_b32 s2, vcc_lo, exec_lo
	s_wait_alu 0xfffe
	s_or_b32 s0, s0, s2
	s_or_b32 exec_lo, exec_lo, s1
	s_wait_alu 0xfffe
	s_and_saveexec_b32 s1, s0
	s_cbranch_execnz .LBB7_509
	s_branch .LBB7_510
.LBB7_1533:                             ;   in Loop: Header=BB7_62 Depth=1
	s_mov_b32 s0, -1
	s_mov_b32 s2, exec_lo
	v_cmpx_eq_u16_e64 0x80, v195
; %bb.1534:                             ;   in Loop: Header=BB7_62 Depth=1
	s_xor_b32 s0, exec_lo, -1
; %bb.1535:                             ;   in Loop: Header=BB7_62 Depth=1
	s_wait_alu 0xfffe
	s_or_b32 exec_lo, exec_lo, s2
	s_delay_alu instid0(SALU_CYCLE_1)
	s_and_b32 s0, s0, exec_lo
                                        ; implicit-def: $vgpr195
	s_or_saveexec_b32 s1, s1
	v_mov_b32_e32 v96, 0x7f800001
	s_wait_alu 0xfffe
	s_xor_b32 exec_lo, exec_lo, s1
	s_cbranch_execz .LBB7_512
.LBB7_1536:                             ;   in Loop: Header=BB7_62 Depth=1
	v_cmp_ne_u16_e64 vcc_lo, 0, v195
	v_mov_b32_e32 v96, 0
	s_and_not1_b32 s0, s0, exec_lo
	s_and_b32 s2, vcc_lo, exec_lo
	s_wait_alu 0xfffe
	s_or_b32 s0, s0, s2
	s_or_b32 exec_lo, exec_lo, s1
	s_wait_alu 0xfffe
	s_and_saveexec_b32 s1, s0
	s_cbranch_execnz .LBB7_513
	s_branch .LBB7_514
.LBB7_1537:                             ;   in Loop: Header=BB7_62 Depth=1
	s_mov_b32 s0, -1
	s_mov_b32 s2, exec_lo
	v_cmpx_eq_u16_e64 0x80, v195
; %bb.1538:                             ;   in Loop: Header=BB7_62 Depth=1
	s_xor_b32 s0, exec_lo, -1
; %bb.1539:                             ;   in Loop: Header=BB7_62 Depth=1
	s_wait_alu 0xfffe
	s_or_b32 exec_lo, exec_lo, s2
	s_delay_alu instid0(SALU_CYCLE_1)
	s_and_b32 s0, s0, exec_lo
                                        ; implicit-def: $vgpr195
	s_or_saveexec_b32 s1, s1
	v_mov_b32_e32 v117, 0x7f800001
	s_wait_alu 0xfffe
	s_xor_b32 exec_lo, exec_lo, s1
	s_cbranch_execz .LBB7_516
.LBB7_1540:                             ;   in Loop: Header=BB7_62 Depth=1
	v_cmp_ne_u16_e64 vcc_lo, 0, v195
	v_mov_b32_e32 v117, 0
	s_and_not1_b32 s0, s0, exec_lo
	s_and_b32 s2, vcc_lo, exec_lo
	s_wait_alu 0xfffe
	s_or_b32 s0, s0, s2
	s_or_b32 exec_lo, exec_lo, s1
	s_wait_alu 0xfffe
	s_and_saveexec_b32 s1, s0
	s_cbranch_execnz .LBB7_517
	s_branch .LBB7_518
.LBB7_1541:                             ;   in Loop: Header=BB7_62 Depth=1
	s_mov_b32 s0, -1
	s_mov_b32 s2, exec_lo
	v_cmpx_eq_u16_e64 0x80, v128
; %bb.1542:                             ;   in Loop: Header=BB7_62 Depth=1
	s_xor_b32 s0, exec_lo, -1
; %bb.1543:                             ;   in Loop: Header=BB7_62 Depth=1
	s_wait_alu 0xfffe
	s_or_b32 exec_lo, exec_lo, s2
	s_delay_alu instid0(SALU_CYCLE_1)
	s_and_b32 s0, s0, exec_lo
	s_or_saveexec_b32 s1, s1
	v_mov_b32_e32 v119, 0x7f800001
	s_wait_alu 0xfffe
	s_xor_b32 exec_lo, exec_lo, s1
	s_cbranch_execz .LBB7_520
.LBB7_1544:                             ;   in Loop: Header=BB7_62 Depth=1
	v_cmp_ne_u16_e64 vcc_lo, 0, v128
	v_mov_b32_e32 v119, 0
	s_and_not1_b32 s0, s0, exec_lo
	s_and_b32 s2, vcc_lo, exec_lo
	s_wait_alu 0xfffe
	s_or_b32 s0, s0, s2
	s_or_b32 exec_lo, exec_lo, s1
	s_wait_alu 0xfffe
	s_and_saveexec_b32 s1, s0
	s_cbranch_execnz .LBB7_521
	s_branch .LBB7_522
.LBB7_1545:                             ;   in Loop: Header=BB7_62 Depth=1
	s_mov_b32 s0, -1
	s_mov_b32 s2, exec_lo
	v_cmpx_eq_u16_e64 0x80, v195
; %bb.1546:                             ;   in Loop: Header=BB7_62 Depth=1
	s_xor_b32 s0, exec_lo, -1
; %bb.1547:                             ;   in Loop: Header=BB7_62 Depth=1
	s_wait_alu 0xfffe
	s_or_b32 exec_lo, exec_lo, s2
	s_delay_alu instid0(SALU_CYCLE_1)
	s_and_b32 s0, s0, exec_lo
                                        ; implicit-def: $vgpr195
	s_or_saveexec_b32 s1, s1
	v_mov_b32_e32 v128, 0x7f800001
	s_wait_alu 0xfffe
	s_xor_b32 exec_lo, exec_lo, s1
	s_cbranch_execz .LBB7_524
.LBB7_1548:                             ;   in Loop: Header=BB7_62 Depth=1
	v_cmp_ne_u16_e64 vcc_lo, 0, v195
	v_mov_b32_e32 v128, 0
	s_and_not1_b32 s0, s0, exec_lo
	s_and_b32 s2, vcc_lo, exec_lo
	s_wait_alu 0xfffe
	s_or_b32 s0, s0, s2
	s_or_b32 exec_lo, exec_lo, s1
	s_wait_alu 0xfffe
	s_and_saveexec_b32 s1, s0
	s_cbranch_execnz .LBB7_525
	s_branch .LBB7_526
.LBB7_1549:                             ;   in Loop: Header=BB7_62 Depth=1
	s_mov_b32 s0, -1
	s_mov_b32 s2, exec_lo
	v_cmpx_eq_u16_e64 0x80, v195
; %bb.1550:                             ;   in Loop: Header=BB7_62 Depth=1
	s_xor_b32 s0, exec_lo, -1
; %bb.1551:                             ;   in Loop: Header=BB7_62 Depth=1
	s_wait_alu 0xfffe
	s_or_b32 exec_lo, exec_lo, s2
	s_delay_alu instid0(SALU_CYCLE_1)
	s_and_b32 s0, s0, exec_lo
                                        ; implicit-def: $vgpr195
	s_or_saveexec_b32 s1, s1
	v_mov_b32_e32 v97, 0x7f800001
	s_wait_alu 0xfffe
	s_xor_b32 exec_lo, exec_lo, s1
	s_cbranch_execz .LBB7_528
.LBB7_1552:                             ;   in Loop: Header=BB7_62 Depth=1
	v_cmp_ne_u16_e64 vcc_lo, 0, v195
	v_mov_b32_e32 v97, 0
	s_and_not1_b32 s0, s0, exec_lo
	s_and_b32 s2, vcc_lo, exec_lo
	s_wait_alu 0xfffe
	s_or_b32 s0, s0, s2
	s_or_b32 exec_lo, exec_lo, s1
	s_wait_alu 0xfffe
	s_and_saveexec_b32 s1, s0
	s_cbranch_execnz .LBB7_529
	s_branch .LBB7_530
.LBB7_1553:                             ;   in Loop: Header=BB7_62 Depth=1
	s_mov_b32 s0, -1
	s_mov_b32 s2, exec_lo
	v_cmpx_eq_u16_e64 0x80, v195
; %bb.1554:                             ;   in Loop: Header=BB7_62 Depth=1
	s_xor_b32 s0, exec_lo, -1
; %bb.1555:                             ;   in Loop: Header=BB7_62 Depth=1
	s_wait_alu 0xfffe
	s_or_b32 exec_lo, exec_lo, s2
	s_delay_alu instid0(SALU_CYCLE_1)
	s_and_b32 s0, s0, exec_lo
                                        ; implicit-def: $vgpr195
	s_or_saveexec_b32 s1, s1
	v_mov_b32_e32 v131, 0x7f800001
	s_wait_alu 0xfffe
	s_xor_b32 exec_lo, exec_lo, s1
	s_cbranch_execz .LBB7_532
.LBB7_1556:                             ;   in Loop: Header=BB7_62 Depth=1
	v_cmp_ne_u16_e64 vcc_lo, 0, v195
	v_mov_b32_e32 v131, 0
	s_and_not1_b32 s0, s0, exec_lo
	s_and_b32 s2, vcc_lo, exec_lo
	s_wait_alu 0xfffe
	s_or_b32 s0, s0, s2
	s_or_b32 exec_lo, exec_lo, s1
	s_wait_alu 0xfffe
	s_and_saveexec_b32 s1, s0
	s_cbranch_execnz .LBB7_533
	s_branch .LBB7_534
.LBB7_1557:                             ;   in Loop: Header=BB7_62 Depth=1
	s_mov_b32 s0, -1
	s_mov_b32 s2, exec_lo
	v_cmpx_eq_u16_e64 0x80, v194
; %bb.1558:                             ;   in Loop: Header=BB7_62 Depth=1
	s_xor_b32 s0, exec_lo, -1
; %bb.1559:                             ;   in Loop: Header=BB7_62 Depth=1
	s_wait_alu 0xfffe
	s_or_b32 exec_lo, exec_lo, s2
	s_delay_alu instid0(SALU_CYCLE_1)
	s_and_b32 s0, s0, exec_lo
	s_or_saveexec_b32 s1, s1
	v_mov_b32_e32 v193, 0x7f800001
	s_wait_alu 0xfffe
	s_xor_b32 exec_lo, exec_lo, s1
	s_cbranch_execz .LBB7_536
.LBB7_1560:                             ;   in Loop: Header=BB7_62 Depth=1
	v_cmp_ne_u16_e64 vcc_lo, 0, v194
	v_mov_b32_e32 v193, 0
	s_and_not1_b32 s0, s0, exec_lo
	s_and_b32 s2, vcc_lo, exec_lo
	s_wait_alu 0xfffe
	s_or_b32 s0, s0, s2
	s_or_b32 exec_lo, exec_lo, s1
	s_wait_alu 0xfffe
	s_and_saveexec_b32 s1, s0
	s_cbranch_execnz .LBB7_537
	s_branch .LBB7_538
.LBB7_1561:                             ;   in Loop: Header=BB7_62 Depth=1
	s_mov_b32 s0, -1
	s_mov_b32 s2, exec_lo
	v_cmpx_eq_u16_e64 0x80, v195
; %bb.1562:                             ;   in Loop: Header=BB7_62 Depth=1
	s_xor_b32 s0, exec_lo, -1
; %bb.1563:                             ;   in Loop: Header=BB7_62 Depth=1
	s_wait_alu 0xfffe
	s_or_b32 exec_lo, exec_lo, s2
	s_delay_alu instid0(SALU_CYCLE_1)
	s_and_b32 s0, s0, exec_lo
                                        ; implicit-def: $vgpr195
	s_or_saveexec_b32 s1, s1
	v_mov_b32_e32 v194, 0x7f800001
	s_wait_alu 0xfffe
	s_xor_b32 exec_lo, exec_lo, s1
	s_cbranch_execz .LBB7_540
.LBB7_1564:                             ;   in Loop: Header=BB7_62 Depth=1
	v_cmp_ne_u16_e64 vcc_lo, 0, v195
	v_mov_b32_e32 v194, 0
	s_and_not1_b32 s0, s0, exec_lo
	s_and_b32 s2, vcc_lo, exec_lo
	s_wait_alu 0xfffe
	s_or_b32 s0, s0, s2
	s_or_b32 exec_lo, exec_lo, s1
	s_wait_alu 0xfffe
	s_and_saveexec_b32 s1, s0
	s_cbranch_execnz .LBB7_541
	s_branch .LBB7_542
.LBB7_1565:                             ;   in Loop: Header=BB7_62 Depth=1
	s_mov_b32 s0, -1
	s_mov_b32 s2, exec_lo
	v_cmpx_eq_u16_e64 0x80, v195
; %bb.1566:                             ;   in Loop: Header=BB7_62 Depth=1
	s_xor_b32 s0, exec_lo, -1
; %bb.1567:                             ;   in Loop: Header=BB7_62 Depth=1
	s_wait_alu 0xfffe
	s_or_b32 exec_lo, exec_lo, s2
	s_delay_alu instid0(SALU_CYCLE_1)
	s_and_b32 s0, s0, exec_lo
                                        ; implicit-def: $vgpr195
	s_or_saveexec_b32 s1, s1
	v_mov_b32_e32 v98, 0x7f800001
	s_wait_alu 0xfffe
	s_xor_b32 exec_lo, exec_lo, s1
	s_cbranch_execz .LBB7_544
.LBB7_1568:                             ;   in Loop: Header=BB7_62 Depth=1
	v_cmp_ne_u16_e64 vcc_lo, 0, v195
	v_mov_b32_e32 v98, 0
	s_and_not1_b32 s0, s0, exec_lo
	s_and_b32 s2, vcc_lo, exec_lo
	s_wait_alu 0xfffe
	s_or_b32 s0, s0, s2
	s_or_b32 exec_lo, exec_lo, s1
	s_wait_alu 0xfffe
	s_and_saveexec_b32 s1, s0
	s_cbranch_execnz .LBB7_545
	s_branch .LBB7_546
.LBB7_1569:                             ;   in Loop: Header=BB7_62 Depth=1
	s_mov_b32 s0, -1
	s_mov_b32 s2, exec_lo
	v_cmpx_eq_u16_e64 0x80, v195
; %bb.1570:                             ;   in Loop: Header=BB7_62 Depth=1
	s_xor_b32 s0, exec_lo, -1
; %bb.1571:                             ;   in Loop: Header=BB7_62 Depth=1
	s_wait_alu 0xfffe
	s_or_b32 exec_lo, exec_lo, s2
	s_delay_alu instid0(SALU_CYCLE_1)
	s_and_b32 s0, s0, exec_lo
                                        ; implicit-def: $vgpr195
	s_or_saveexec_b32 s1, s1
	v_mov_b32_e32 v192, 0x7f800001
	s_wait_alu 0xfffe
	s_xor_b32 exec_lo, exec_lo, s1
	s_cbranch_execz .LBB7_548
.LBB7_1572:                             ;   in Loop: Header=BB7_62 Depth=1
	v_cmp_ne_u16_e64 vcc_lo, 0, v195
	v_mov_b32_e32 v192, 0
	s_and_not1_b32 s0, s0, exec_lo
	s_and_b32 s2, vcc_lo, exec_lo
	s_wait_alu 0xfffe
	s_or_b32 s0, s0, s2
	s_or_b32 exec_lo, exec_lo, s1
	s_wait_alu 0xfffe
	s_and_saveexec_b32 s1, s0
	s_cbranch_execnz .LBB7_549
	s_branch .LBB7_550
.LBB7_1573:                             ;   in Loop: Header=BB7_62 Depth=1
	s_mov_b32 s0, -1
	s_mov_b32 s2, exec_lo
	v_cmpx_eq_u16_e64 0x80, v129
; %bb.1574:                             ;   in Loop: Header=BB7_62 Depth=1
	s_xor_b32 s0, exec_lo, -1
; %bb.1575:                             ;   in Loop: Header=BB7_62 Depth=1
	s_wait_alu 0xfffe
	s_or_b32 exec_lo, exec_lo, s2
	s_delay_alu instid0(SALU_CYCLE_1)
	s_and_b32 s0, s0, exec_lo
	s_or_saveexec_b32 s1, s1
	v_mov_b32_e32 v130, 0x7f800001
	s_wait_alu 0xfffe
	s_xor_b32 exec_lo, exec_lo, s1
	s_cbranch_execz .LBB7_552
.LBB7_1576:                             ;   in Loop: Header=BB7_62 Depth=1
	v_cmp_ne_u16_e64 vcc_lo, 0, v129
	v_mov_b32_e32 v130, 0
	s_and_not1_b32 s0, s0, exec_lo
	s_and_b32 s2, vcc_lo, exec_lo
	s_wait_alu 0xfffe
	s_or_b32 s0, s0, s2
	s_or_b32 exec_lo, exec_lo, s1
	s_wait_alu 0xfffe
	s_and_saveexec_b32 s1, s0
	s_cbranch_execnz .LBB7_553
	s_branch .LBB7_554
.LBB7_1577:                             ;   in Loop: Header=BB7_62 Depth=1
	s_mov_b32 s0, -1
	s_mov_b32 s2, exec_lo
	v_cmpx_eq_u16_e64 0x80, v195
; %bb.1578:                             ;   in Loop: Header=BB7_62 Depth=1
	s_xor_b32 s0, exec_lo, -1
; %bb.1579:                             ;   in Loop: Header=BB7_62 Depth=1
	s_wait_alu 0xfffe
	s_or_b32 exec_lo, exec_lo, s2
	s_delay_alu instid0(SALU_CYCLE_1)
	s_and_b32 s0, s0, exec_lo
                                        ; implicit-def: $vgpr195
	s_or_saveexec_b32 s1, s1
	v_mov_b32_e32 v129, 0x7f800001
	s_wait_alu 0xfffe
	s_xor_b32 exec_lo, exec_lo, s1
	s_cbranch_execz .LBB7_556
.LBB7_1580:                             ;   in Loop: Header=BB7_62 Depth=1
	v_cmp_ne_u16_e64 vcc_lo, 0, v195
	v_mov_b32_e32 v129, 0
	s_and_not1_b32 s0, s0, exec_lo
	s_and_b32 s2, vcc_lo, exec_lo
	s_wait_alu 0xfffe
	s_or_b32 s0, s0, s2
	s_or_b32 exec_lo, exec_lo, s1
	s_wait_alu 0xfffe
	s_and_saveexec_b32 s1, s0
	s_cbranch_execnz .LBB7_557
	s_branch .LBB7_558
.LBB7_1581:                             ;   in Loop: Header=BB7_62 Depth=1
	s_mov_b32 s0, -1
	s_mov_b32 s2, exec_lo
	v_cmpx_eq_u16_e64 0x80, v195
; %bb.1582:                             ;   in Loop: Header=BB7_62 Depth=1
	s_xor_b32 s0, exec_lo, -1
; %bb.1583:                             ;   in Loop: Header=BB7_62 Depth=1
	s_wait_alu 0xfffe
	s_or_b32 exec_lo, exec_lo, s2
	s_delay_alu instid0(SALU_CYCLE_1)
	s_and_b32 s0, s0, exec_lo
                                        ; implicit-def: $vgpr195
	s_or_saveexec_b32 s1, s1
	v_mov_b32_e32 v99, 0x7f800001
	s_wait_alu 0xfffe
	s_xor_b32 exec_lo, exec_lo, s1
	s_cbranch_execz .LBB7_560
.LBB7_1584:                             ;   in Loop: Header=BB7_62 Depth=1
	v_cmp_ne_u16_e64 vcc_lo, 0, v195
	v_mov_b32_e32 v99, 0
	s_and_not1_b32 s0, s0, exec_lo
	s_and_b32 s2, vcc_lo, exec_lo
	s_wait_alu 0xfffe
	s_or_b32 s0, s0, s2
	s_or_b32 exec_lo, exec_lo, s1
	s_wait_alu 0xfffe
	s_and_saveexec_b32 s1, s0
	s_cbranch_execnz .LBB7_561
	s_branch .LBB7_562
.LBB7_1585:                             ;   in Loop: Header=BB7_62 Depth=1
	s_mov_b32 s0, -1
	s_mov_b32 s2, exec_lo
	v_cmpx_eq_u16_e64 0x80, v195
; %bb.1586:                             ;   in Loop: Header=BB7_62 Depth=1
	s_xor_b32 s0, exec_lo, -1
; %bb.1587:                             ;   in Loop: Header=BB7_62 Depth=1
	s_wait_alu 0xfffe
	s_or_b32 exec_lo, exec_lo, s2
	s_delay_alu instid0(SALU_CYCLE_1)
	s_and_b32 s0, s0, exec_lo
                                        ; implicit-def: $vgpr195
	s_or_saveexec_b32 s1, s1
	v_mov_b32_e32 v118, 0x7f800001
	s_wait_alu 0xfffe
	s_xor_b32 exec_lo, exec_lo, s1
	s_cbranch_execz .LBB7_564
.LBB7_1588:                             ;   in Loop: Header=BB7_62 Depth=1
	v_cmp_ne_u16_e64 vcc_lo, 0, v195
	v_mov_b32_e32 v118, 0
	s_and_not1_b32 s0, s0, exec_lo
	s_and_b32 s2, vcc_lo, exec_lo
	s_wait_alu 0xfffe
	s_or_b32 s0, s0, s2
	s_or_b32 exec_lo, exec_lo, s1
	s_wait_alu 0xfffe
	s_and_saveexec_b32 s1, s0
	s_cbranch_execnz .LBB7_565
	s_branch .LBB7_566
.LBB7_1589:                             ;   in Loop: Header=BB7_62 Depth=1
	s_mov_b32 s0, -1
	s_mov_b32 s2, exec_lo
	v_cmpx_eq_u16_e32 0x80, v101
; %bb.1590:                             ;   in Loop: Header=BB7_62 Depth=1
	s_xor_b32 s0, exec_lo, -1
; %bb.1591:                             ;   in Loop: Header=BB7_62 Depth=1
	s_wait_alu 0xfffe
	s_or_b32 exec_lo, exec_lo, s2
	s_delay_alu instid0(SALU_CYCLE_1)
	s_and_b32 s0, s0, exec_lo
	s_or_saveexec_b32 s1, s1
	v_mov_b32_e32 v116, 0x7f800001
	s_wait_alu 0xfffe
	s_xor_b32 exec_lo, exec_lo, s1
	s_cbranch_execz .LBB7_568
.LBB7_1592:                             ;   in Loop: Header=BB7_62 Depth=1
	v_cmp_ne_u16_e32 vcc_lo, 0, v101
	v_mov_b32_e32 v116, 0
	s_and_not1_b32 s0, s0, exec_lo
	s_and_b32 s2, vcc_lo, exec_lo
	s_wait_alu 0xfffe
	s_or_b32 s0, s0, s2
	s_or_b32 exec_lo, exec_lo, s1
	s_wait_alu 0xfffe
	s_and_saveexec_b32 s1, s0
	s_cbranch_execnz .LBB7_569
	s_branch .LBB7_570
.LBB7_1593:                             ;   in Loop: Header=BB7_62 Depth=1
	s_mov_b32 s0, -1
	s_mov_b32 s2, exec_lo
	v_cmpx_eq_u16_e32 0x80, v101
; %bb.1594:                             ;   in Loop: Header=BB7_62 Depth=1
	s_xor_b32 s0, exec_lo, -1
; %bb.1595:                             ;   in Loop: Header=BB7_62 Depth=1
	s_wait_alu 0xfffe
	s_or_b32 exec_lo, exec_lo, s2
	s_delay_alu instid0(SALU_CYCLE_1)
	s_and_b32 s0, s0, exec_lo
                                        ; implicit-def: $vgpr101
	s_or_saveexec_b32 s1, s1
	v_mov_b32_e32 v100, 0x7f800001
	s_wait_alu 0xfffe
	s_xor_b32 exec_lo, exec_lo, s1
	s_cbranch_execz .LBB7_572
.LBB7_1596:                             ;   in Loop: Header=BB7_62 Depth=1
	v_cmp_ne_u16_e32 vcc_lo, 0, v101
	v_mov_b32_e32 v100, 0
	s_and_not1_b32 s0, s0, exec_lo
	s_and_b32 s2, vcc_lo, exec_lo
	s_wait_alu 0xfffe
	s_or_b32 s0, s0, s2
	s_or_b32 exec_lo, exec_lo, s1
	s_wait_alu 0xfffe
	s_and_saveexec_b32 s1, s0
	s_cbranch_execnz .LBB7_573
	s_branch .LBB7_574
.LBB7_1597:                             ;   in Loop: Header=BB7_62 Depth=1
	s_mov_b32 s0, -1
	s_mov_b32 s2, exec_lo
	v_cmpx_eq_u16_e64 0x80, v129
; %bb.1598:                             ;   in Loop: Header=BB7_62 Depth=1
	s_xor_b32 s0, exec_lo, -1
; %bb.1599:                             ;   in Loop: Header=BB7_62 Depth=1
	s_wait_alu 0xfffe
	s_or_b32 exec_lo, exec_lo, s2
	s_delay_alu instid0(SALU_CYCLE_1)
	s_and_b32 s0, s0, exec_lo
                                        ; implicit-def: $vgpr129
	s_or_saveexec_b32 s1, s1
	v_mov_b32_e32 v96, 0x7f800001
	s_wait_alu 0xfffe
	s_xor_b32 exec_lo, exec_lo, s1
	s_cbranch_execz .LBB7_576
.LBB7_1600:                             ;   in Loop: Header=BB7_62 Depth=1
	v_cmp_ne_u16_e64 vcc_lo, 0, v129
	v_mov_b32_e32 v96, 0
	s_and_not1_b32 s0, s0, exec_lo
	s_and_b32 s2, vcc_lo, exec_lo
	s_wait_alu 0xfffe
	s_or_b32 s0, s0, s2
	s_or_b32 exec_lo, exec_lo, s1
	s_wait_alu 0xfffe
	s_and_saveexec_b32 s1, s0
	s_cbranch_execnz .LBB7_577
	s_branch .LBB7_578
.LBB7_1601:                             ;   in Loop: Header=BB7_62 Depth=1
	s_mov_b32 s0, -1
	s_mov_b32 s2, exec_lo
	v_cmpx_eq_u16_e64 0x80, v129
; %bb.1602:                             ;   in Loop: Header=BB7_62 Depth=1
	s_xor_b32 s0, exec_lo, -1
; %bb.1603:                             ;   in Loop: Header=BB7_62 Depth=1
	s_wait_alu 0xfffe
	s_or_b32 exec_lo, exec_lo, s2
	s_delay_alu instid0(SALU_CYCLE_1)
	s_and_b32 s0, s0, exec_lo
                                        ; implicit-def: $vgpr129
	s_or_saveexec_b32 s1, s1
	v_mov_b32_e32 v103, 0x7f800001
	s_wait_alu 0xfffe
	s_xor_b32 exec_lo, exec_lo, s1
	s_cbranch_execz .LBB7_580
.LBB7_1604:                             ;   in Loop: Header=BB7_62 Depth=1
	v_cmp_ne_u16_e64 vcc_lo, 0, v129
	v_mov_b32_e32 v103, 0
	s_and_not1_b32 s0, s0, exec_lo
	s_and_b32 s2, vcc_lo, exec_lo
	s_wait_alu 0xfffe
	s_or_b32 s0, s0, s2
	s_or_b32 exec_lo, exec_lo, s1
	s_wait_alu 0xfffe
	s_and_saveexec_b32 s1, s0
	s_cbranch_execnz .LBB7_581
	s_branch .LBB7_582
.LBB7_1605:                             ;   in Loop: Header=BB7_62 Depth=1
	s_mov_b32 s0, -1
	s_mov_b32 s2, exec_lo
	v_cmpx_eq_u16_e32 0x80, v114
; %bb.1606:                             ;   in Loop: Header=BB7_62 Depth=1
	s_xor_b32 s0, exec_lo, -1
; %bb.1607:                             ;   in Loop: Header=BB7_62 Depth=1
	s_wait_alu 0xfffe
	s_or_b32 exec_lo, exec_lo, s2
	s_delay_alu instid0(SALU_CYCLE_1)
	s_and_b32 s0, s0, exec_lo
	s_or_saveexec_b32 s1, s1
	v_mov_b32_e32 v113, 0x7f800001
	s_wait_alu 0xfffe
	s_xor_b32 exec_lo, exec_lo, s1
	s_cbranch_execz .LBB7_584
.LBB7_1608:                             ;   in Loop: Header=BB7_62 Depth=1
	v_cmp_ne_u16_e32 vcc_lo, 0, v114
	v_mov_b32_e32 v113, 0
	s_and_not1_b32 s0, s0, exec_lo
	s_and_b32 s2, vcc_lo, exec_lo
	s_wait_alu 0xfffe
	s_or_b32 s0, s0, s2
	s_or_b32 exec_lo, exec_lo, s1
	s_wait_alu 0xfffe
	s_and_saveexec_b32 s1, s0
	s_cbranch_execnz .LBB7_585
	s_branch .LBB7_586
.LBB7_1609:                             ;   in Loop: Header=BB7_62 Depth=1
	s_mov_b32 s0, -1
	s_mov_b32 s2, exec_lo
	v_cmpx_eq_u16_e64 0x80, v129
; %bb.1610:                             ;   in Loop: Header=BB7_62 Depth=1
	s_xor_b32 s0, exec_lo, -1
; %bb.1611:                             ;   in Loop: Header=BB7_62 Depth=1
	s_wait_alu 0xfffe
	s_or_b32 exec_lo, exec_lo, s2
	s_delay_alu instid0(SALU_CYCLE_1)
	s_and_b32 s0, s0, exec_lo
                                        ; implicit-def: $vgpr129
	s_or_saveexec_b32 s1, s1
	v_mov_b32_e32 v114, 0x7f800001
	s_wait_alu 0xfffe
	s_xor_b32 exec_lo, exec_lo, s1
	s_cbranch_execz .LBB7_588
.LBB7_1612:                             ;   in Loop: Header=BB7_62 Depth=1
	v_cmp_ne_u16_e64 vcc_lo, 0, v129
	v_mov_b32_e32 v114, 0
	s_and_not1_b32 s0, s0, exec_lo
	s_and_b32 s2, vcc_lo, exec_lo
	s_wait_alu 0xfffe
	s_or_b32 s0, s0, s2
	s_or_b32 exec_lo, exec_lo, s1
	s_wait_alu 0xfffe
	s_and_saveexec_b32 s1, s0
	s_cbranch_execnz .LBB7_589
	s_branch .LBB7_590
.LBB7_1613:                             ;   in Loop: Header=BB7_62 Depth=1
	s_mov_b32 s0, -1
	s_mov_b32 s2, exec_lo
	v_cmpx_eq_u16_e64 0x80, v129
; %bb.1614:                             ;   in Loop: Header=BB7_62 Depth=1
	s_xor_b32 s0, exec_lo, -1
; %bb.1615:                             ;   in Loop: Header=BB7_62 Depth=1
	s_wait_alu 0xfffe
	s_or_b32 exec_lo, exec_lo, s2
	s_delay_alu instid0(SALU_CYCLE_1)
	s_and_b32 s0, s0, exec_lo
                                        ; implicit-def: $vgpr129
	s_or_saveexec_b32 s1, s1
	v_mov_b32_e32 v97, 0x7f800001
	s_wait_alu 0xfffe
	s_xor_b32 exec_lo, exec_lo, s1
	s_cbranch_execz .LBB7_592
.LBB7_1616:                             ;   in Loop: Header=BB7_62 Depth=1
	v_cmp_ne_u16_e64 vcc_lo, 0, v129
	v_mov_b32_e32 v97, 0
	s_and_not1_b32 s0, s0, exec_lo
	s_and_b32 s2, vcc_lo, exec_lo
	s_wait_alu 0xfffe
	s_or_b32 s0, s0, s2
	s_or_b32 exec_lo, exec_lo, s1
	s_wait_alu 0xfffe
	s_and_saveexec_b32 s1, s0
	s_cbranch_execnz .LBB7_593
	s_branch .LBB7_594
.LBB7_1617:                             ;   in Loop: Header=BB7_62 Depth=1
	s_mov_b32 s0, -1
	s_mov_b32 s2, exec_lo
	v_cmpx_eq_u16_e64 0x80, v129
; %bb.1618:                             ;   in Loop: Header=BB7_62 Depth=1
	s_xor_b32 s0, exec_lo, -1
; %bb.1619:                             ;   in Loop: Header=BB7_62 Depth=1
	s_wait_alu 0xfffe
	s_or_b32 exec_lo, exec_lo, s2
	s_delay_alu instid0(SALU_CYCLE_1)
	s_and_b32 s0, s0, exec_lo
                                        ; implicit-def: $vgpr129
	s_or_saveexec_b32 s1, s1
	v_mov_b32_e32 v117, 0x7f800001
	s_wait_alu 0xfffe
	s_xor_b32 exec_lo, exec_lo, s1
	s_cbranch_execz .LBB7_596
.LBB7_1620:                             ;   in Loop: Header=BB7_62 Depth=1
	v_cmp_ne_u16_e64 vcc_lo, 0, v129
	v_mov_b32_e32 v117, 0
	s_and_not1_b32 s0, s0, exec_lo
	s_and_b32 s2, vcc_lo, exec_lo
	s_wait_alu 0xfffe
	s_or_b32 s0, s0, s2
	s_or_b32 exec_lo, exec_lo, s1
	s_wait_alu 0xfffe
	s_and_saveexec_b32 s1, s0
	s_cbranch_execnz .LBB7_597
	s_branch .LBB7_598
.LBB7_1621:                             ;   in Loop: Header=BB7_62 Depth=1
	s_mov_b32 s0, -1
	s_mov_b32 s2, exec_lo
	v_cmpx_eq_u16_e64 0x80, v128
; %bb.1622:                             ;   in Loop: Header=BB7_62 Depth=1
	s_xor_b32 s0, exec_lo, -1
; %bb.1623:                             ;   in Loop: Header=BB7_62 Depth=1
	s_wait_alu 0xfffe
	s_or_b32 exec_lo, exec_lo, s2
	s_delay_alu instid0(SALU_CYCLE_1)
	s_and_b32 s0, s0, exec_lo
	s_or_saveexec_b32 s1, s1
	v_mov_b32_e32 v119, 0x7f800001
	s_wait_alu 0xfffe
	s_xor_b32 exec_lo, exec_lo, s1
	s_cbranch_execz .LBB7_600
.LBB7_1624:                             ;   in Loop: Header=BB7_62 Depth=1
	v_cmp_ne_u16_e64 vcc_lo, 0, v128
	v_mov_b32_e32 v119, 0
	s_and_not1_b32 s0, s0, exec_lo
	s_and_b32 s2, vcc_lo, exec_lo
	s_wait_alu 0xfffe
	s_or_b32 s0, s0, s2
	s_or_b32 exec_lo, exec_lo, s1
	s_wait_alu 0xfffe
	s_and_saveexec_b32 s1, s0
	s_cbranch_execnz .LBB7_601
	s_branch .LBB7_602
.LBB7_1625:                             ;   in Loop: Header=BB7_62 Depth=1
	s_mov_b32 s0, -1
	s_mov_b32 s2, exec_lo
	v_cmpx_eq_u16_e64 0x80, v129
; %bb.1626:                             ;   in Loop: Header=BB7_62 Depth=1
	s_xor_b32 s0, exec_lo, -1
; %bb.1627:                             ;   in Loop: Header=BB7_62 Depth=1
	s_wait_alu 0xfffe
	s_or_b32 exec_lo, exec_lo, s2
	s_delay_alu instid0(SALU_CYCLE_1)
	s_and_b32 s0, s0, exec_lo
                                        ; implicit-def: $vgpr129
	s_or_saveexec_b32 s1, s1
	v_mov_b32_e32 v128, 0x7f800001
	s_wait_alu 0xfffe
	s_xor_b32 exec_lo, exec_lo, s1
	s_cbranch_execz .LBB7_604
.LBB7_1628:                             ;   in Loop: Header=BB7_62 Depth=1
	v_cmp_ne_u16_e64 vcc_lo, 0, v129
	v_mov_b32_e32 v128, 0
	s_and_not1_b32 s0, s0, exec_lo
	s_and_b32 s2, vcc_lo, exec_lo
	s_wait_alu 0xfffe
	s_or_b32 s0, s0, s2
	s_or_b32 exec_lo, exec_lo, s1
	s_wait_alu 0xfffe
	s_and_saveexec_b32 s1, s0
	s_cbranch_execnz .LBB7_605
	s_branch .LBB7_606
.LBB7_1629:                             ;   in Loop: Header=BB7_62 Depth=1
	s_mov_b32 s0, -1
	s_mov_b32 s2, exec_lo
	v_cmpx_eq_u16_e64 0x80, v129
; %bb.1630:                             ;   in Loop: Header=BB7_62 Depth=1
	s_xor_b32 s0, exec_lo, -1
; %bb.1631:                             ;   in Loop: Header=BB7_62 Depth=1
	s_wait_alu 0xfffe
	s_or_b32 exec_lo, exec_lo, s2
	s_delay_alu instid0(SALU_CYCLE_1)
	s_and_b32 s0, s0, exec_lo
                                        ; implicit-def: $vgpr129
	s_or_saveexec_b32 s1, s1
	v_mov_b32_e32 v98, 0x7f800001
	s_wait_alu 0xfffe
	s_xor_b32 exec_lo, exec_lo, s1
	s_cbranch_execz .LBB7_608
.LBB7_1632:                             ;   in Loop: Header=BB7_62 Depth=1
	v_cmp_ne_u16_e64 vcc_lo, 0, v129
	v_mov_b32_e32 v98, 0
	s_and_not1_b32 s0, s0, exec_lo
	s_and_b32 s2, vcc_lo, exec_lo
	s_wait_alu 0xfffe
	s_or_b32 s0, s0, s2
	s_or_b32 exec_lo, exec_lo, s1
	s_wait_alu 0xfffe
	s_and_saveexec_b32 s1, s0
	s_cbranch_execnz .LBB7_609
	s_branch .LBB7_610
.LBB7_1633:                             ;   in Loop: Header=BB7_62 Depth=1
	s_mov_b32 s0, -1
	s_mov_b32 s2, exec_lo
	v_cmpx_eq_u16_e64 0x80, v129
; %bb.1634:                             ;   in Loop: Header=BB7_62 Depth=1
	s_xor_b32 s0, exec_lo, -1
; %bb.1635:                             ;   in Loop: Header=BB7_62 Depth=1
	s_wait_alu 0xfffe
	s_or_b32 exec_lo, exec_lo, s2
	s_delay_alu instid0(SALU_CYCLE_1)
	s_and_b32 s0, s0, exec_lo
                                        ; implicit-def: $vgpr129
	s_or_saveexec_b32 s1, s1
	v_mov_b32_e32 v118, 0x7f800001
	s_wait_alu 0xfffe
	s_xor_b32 exec_lo, exec_lo, s1
	s_cbranch_execz .LBB7_612
.LBB7_1636:                             ;   in Loop: Header=BB7_62 Depth=1
	v_cmp_ne_u16_e64 vcc_lo, 0, v129
	v_mov_b32_e32 v118, 0
	s_and_not1_b32 s0, s0, exec_lo
	s_and_b32 s2, vcc_lo, exec_lo
	s_wait_alu 0xfffe
	s_or_b32 s0, s0, s2
	s_or_b32 exec_lo, exec_lo, s1
	s_wait_alu 0xfffe
	s_and_saveexec_b32 s1, s0
	s_cbranch_execnz .LBB7_613
	s_branch .LBB7_614
.LBB7_1637:                             ;   in Loop: Header=BB7_62 Depth=1
	s_mov_b32 s0, -1
	s_mov_b32 s2, exec_lo
	v_cmpx_eq_u16_e32 0x80, v115
; %bb.1638:                             ;   in Loop: Header=BB7_62 Depth=1
	s_xor_b32 s0, exec_lo, -1
; %bb.1639:                             ;   in Loop: Header=BB7_62 Depth=1
	s_wait_alu 0xfffe
	s_or_b32 exec_lo, exec_lo, s2
	s_delay_alu instid0(SALU_CYCLE_1)
	s_and_b32 s0, s0, exec_lo
	s_or_saveexec_b32 s1, s1
	v_mov_b32_e32 v116, 0x7f800001
	s_wait_alu 0xfffe
	s_xor_b32 exec_lo, exec_lo, s1
	s_cbranch_execz .LBB7_616
.LBB7_1640:                             ;   in Loop: Header=BB7_62 Depth=1
	v_cmp_ne_u16_e32 vcc_lo, 0, v115
	v_mov_b32_e32 v116, 0
	s_and_not1_b32 s0, s0, exec_lo
	s_and_b32 s2, vcc_lo, exec_lo
	s_wait_alu 0xfffe
	s_or_b32 s0, s0, s2
	s_or_b32 exec_lo, exec_lo, s1
	s_wait_alu 0xfffe
	s_and_saveexec_b32 s1, s0
	s_cbranch_execnz .LBB7_617
	s_branch .LBB7_618
.LBB7_1641:                             ;   in Loop: Header=BB7_62 Depth=1
	s_mov_b32 s0, -1
	s_mov_b32 s2, exec_lo
	v_cmpx_eq_u16_e64 0x80, v129
; %bb.1642:                             ;   in Loop: Header=BB7_62 Depth=1
	s_xor_b32 s0, exec_lo, -1
; %bb.1643:                             ;   in Loop: Header=BB7_62 Depth=1
	s_wait_alu 0xfffe
	s_or_b32 exec_lo, exec_lo, s2
	s_delay_alu instid0(SALU_CYCLE_1)
	s_and_b32 s0, s0, exec_lo
                                        ; implicit-def: $vgpr129
	s_or_saveexec_b32 s1, s1
	v_mov_b32_e32 v115, 0x7f800001
	s_wait_alu 0xfffe
	s_xor_b32 exec_lo, exec_lo, s1
	s_cbranch_execz .LBB7_620
.LBB7_1644:                             ;   in Loop: Header=BB7_62 Depth=1
	v_cmp_ne_u16_e64 vcc_lo, 0, v129
	v_mov_b32_e32 v115, 0
	s_and_not1_b32 s0, s0, exec_lo
	s_and_b32 s2, vcc_lo, exec_lo
	s_wait_alu 0xfffe
	s_or_b32 s0, s0, s2
	s_or_b32 exec_lo, exec_lo, s1
	s_wait_alu 0xfffe
	s_and_saveexec_b32 s1, s0
	s_cbranch_execnz .LBB7_621
	s_branch .LBB7_622
.LBB7_1645:                             ;   in Loop: Header=BB7_62 Depth=1
	s_mov_b32 s0, -1
	s_mov_b32 s2, exec_lo
	v_cmpx_eq_u16_e64 0x80, v129
; %bb.1646:                             ;   in Loop: Header=BB7_62 Depth=1
	s_xor_b32 s0, exec_lo, -1
; %bb.1647:                             ;   in Loop: Header=BB7_62 Depth=1
	s_wait_alu 0xfffe
	s_or_b32 exec_lo, exec_lo, s2
	s_delay_alu instid0(SALU_CYCLE_1)
	s_and_b32 s0, s0, exec_lo
                                        ; implicit-def: $vgpr129
	s_or_saveexec_b32 s1, s1
	v_mov_b32_e32 v99, 0x7f800001
	s_wait_alu 0xfffe
	s_xor_b32 exec_lo, exec_lo, s1
	s_cbranch_execz .LBB7_624
.LBB7_1648:                             ;   in Loop: Header=BB7_62 Depth=1
	v_cmp_ne_u16_e64 vcc_lo, 0, v129
	v_mov_b32_e32 v99, 0
	s_and_not1_b32 s0, s0, exec_lo
	s_and_b32 s2, vcc_lo, exec_lo
	s_wait_alu 0xfffe
	s_or_b32 s0, s0, s2
	s_or_b32 exec_lo, exec_lo, s1
	s_wait_alu 0xfffe
	s_and_saveexec_b32 s1, s0
	s_cbranch_execnz .LBB7_625
	s_branch .LBB7_626
.LBB7_1649:                             ;   in Loop: Header=BB7_62 Depth=1
	s_mov_b32 s0, -1
	s_mov_b32 s2, exec_lo
	v_cmpx_eq_u16_e64 0x80, v129
; %bb.1650:                             ;   in Loop: Header=BB7_62 Depth=1
	s_xor_b32 s0, exec_lo, -1
; %bb.1651:                             ;   in Loop: Header=BB7_62 Depth=1
	s_wait_alu 0xfffe
	s_or_b32 exec_lo, exec_lo, s2
	s_delay_alu instid0(SALU_CYCLE_1)
	s_and_b32 s0, s0, exec_lo
                                        ; implicit-def: $vgpr129
	s_or_saveexec_b32 s1, s1
	v_mov_b32_e32 v112, 0x7f800001
	s_wait_alu 0xfffe
	s_xor_b32 exec_lo, exec_lo, s1
	s_cbranch_execz .LBB7_628
.LBB7_1652:                             ;   in Loop: Header=BB7_62 Depth=1
	v_cmp_ne_u16_e64 vcc_lo, 0, v129
	v_mov_b32_e32 v112, 0
	s_and_not1_b32 s0, s0, exec_lo
	s_and_b32 s2, vcc_lo, exec_lo
	s_wait_alu 0xfffe
	s_or_b32 s0, s0, s2
	s_or_b32 exec_lo, exec_lo, s1
	s_wait_alu 0xfffe
	s_and_saveexec_b32 s1, s0
	s_cbranch_execnz .LBB7_629
	s_branch .LBB7_630
.LBB7_1653:                             ;   in Loop: Header=BB7_62 Depth=1
	s_mov_b32 s0, -1
	s_mov_b32 s2, exec_lo
	v_cmpx_eq_u16_e32 0x80, v101
; %bb.1654:                             ;   in Loop: Header=BB7_62 Depth=1
	s_xor_b32 s0, exec_lo, -1
; %bb.1655:                             ;   in Loop: Header=BB7_62 Depth=1
	s_wait_alu 0xfffe
	s_or_b32 exec_lo, exec_lo, s2
	s_delay_alu instid0(SALU_CYCLE_1)
	s_and_b32 s0, s0, exec_lo
	s_or_saveexec_b32 s1, s1
	v_mov_b32_e32 v102, 0x7f800001
	s_wait_alu 0xfffe
	s_xor_b32 exec_lo, exec_lo, s1
	s_cbranch_execz .LBB7_632
.LBB7_1656:                             ;   in Loop: Header=BB7_62 Depth=1
	v_cmp_ne_u16_e32 vcc_lo, 0, v101
	v_mov_b32_e32 v102, 0
	s_and_not1_b32 s0, s0, exec_lo
	s_and_b32 s2, vcc_lo, exec_lo
	s_wait_alu 0xfffe
	s_or_b32 s0, s0, s2
	s_or_b32 exec_lo, exec_lo, s1
	s_wait_alu 0xfffe
	s_and_saveexec_b32 s1, s0
	s_cbranch_execnz .LBB7_633
	s_branch .LBB7_634
.LBB7_1657:                             ;   in Loop: Header=BB7_62 Depth=1
	s_mov_b32 s0, -1
	s_mov_b32 s2, exec_lo
	v_cmpx_eq_u16_e32 0x80, v78
; %bb.1658:                             ;   in Loop: Header=BB7_62 Depth=1
	s_xor_b32 s0, exec_lo, -1
; %bb.1659:                             ;   in Loop: Header=BB7_62 Depth=1
	s_wait_alu 0xfffe
	s_or_b32 exec_lo, exec_lo, s2
	s_delay_alu instid0(SALU_CYCLE_1)
	s_and_b32 s0, s0, exec_lo
                                        ; implicit-def: $vgpr78
	s_or_saveexec_b32 s1, s1
	v_mov_b32_e32 v77, 0x7f800001
	s_wait_alu 0xfffe
	s_xor_b32 exec_lo, exec_lo, s1
	s_cbranch_execz .LBB7_636
.LBB7_1660:                             ;   in Loop: Header=BB7_62 Depth=1
	v_cmp_ne_u16_e32 vcc_lo, 0, v78
	v_mov_b32_e32 v77, 0
	s_and_not1_b32 s0, s0, exec_lo
	s_and_b32 s2, vcc_lo, exec_lo
	s_wait_alu 0xfffe
	s_or_b32 s0, s0, s2
	s_or_b32 exec_lo, exec_lo, s1
	s_wait_alu 0xfffe
	s_and_saveexec_b32 s1, s0
	s_cbranch_execnz .LBB7_637
	s_branch .LBB7_638
.LBB7_1661:                             ;   in Loop: Header=BB7_62 Depth=1
	s_mov_b32 s0, -1
	s_mov_b32 s2, exec_lo
	v_cmpx_eq_u16_e32 0x80, v109
; %bb.1662:                             ;   in Loop: Header=BB7_62 Depth=1
	s_xor_b32 s0, exec_lo, -1
; %bb.1663:                             ;   in Loop: Header=BB7_62 Depth=1
	s_wait_alu 0xfffe
	s_or_b32 exec_lo, exec_lo, s2
	s_delay_alu instid0(SALU_CYCLE_1)
	s_and_b32 s0, s0, exec_lo
                                        ; implicit-def: $vgpr109
	s_or_saveexec_b32 s1, s1
	v_mov_b32_e32 v60, 0x7f800001
	s_wait_alu 0xfffe
	s_xor_b32 exec_lo, exec_lo, s1
	s_cbranch_execz .LBB7_640
.LBB7_1664:                             ;   in Loop: Header=BB7_62 Depth=1
	v_cmp_ne_u16_e32 vcc_lo, 0, v109
	v_mov_b32_e32 v60, 0
	s_and_not1_b32 s0, s0, exec_lo
	s_and_b32 s2, vcc_lo, exec_lo
	s_wait_alu 0xfffe
	s_or_b32 s0, s0, s2
	s_or_b32 exec_lo, exec_lo, s1
	s_wait_alu 0xfffe
	s_and_saveexec_b32 s1, s0
	s_cbranch_execnz .LBB7_641
	s_branch .LBB7_642
.LBB7_1665:                             ;   in Loop: Header=BB7_62 Depth=1
	s_mov_b32 s0, -1
	s_mov_b32 s2, exec_lo
	v_cmpx_eq_u16_e32 0x80, v109
; %bb.1666:                             ;   in Loop: Header=BB7_62 Depth=1
	s_xor_b32 s0, exec_lo, -1
; %bb.1667:                             ;   in Loop: Header=BB7_62 Depth=1
	s_wait_alu 0xfffe
	s_or_b32 exec_lo, exec_lo, s2
	s_delay_alu instid0(SALU_CYCLE_1)
	s_and_b32 s0, s0, exec_lo
                                        ; implicit-def: $vgpr109
	s_or_saveexec_b32 s1, s1
	v_mov_b32_e32 v89, 0x7f800001
	s_wait_alu 0xfffe
	s_xor_b32 exec_lo, exec_lo, s1
	s_cbranch_execz .LBB7_644
.LBB7_1668:                             ;   in Loop: Header=BB7_62 Depth=1
	v_cmp_ne_u16_e32 vcc_lo, 0, v109
	v_mov_b32_e32 v89, 0
	s_and_not1_b32 s0, s0, exec_lo
	s_and_b32 s2, vcc_lo, exec_lo
	s_wait_alu 0xfffe
	s_or_b32 s0, s0, s2
	s_or_b32 exec_lo, exec_lo, s1
	s_wait_alu 0xfffe
	s_and_saveexec_b32 s1, s0
	s_cbranch_execnz .LBB7_645
	s_branch .LBB7_646
.LBB7_1669:                             ;   in Loop: Header=BB7_62 Depth=1
	s_mov_b32 s0, -1
	s_mov_b32 s2, exec_lo
	v_cmpx_eq_u16_e32 0x80, v94
; %bb.1670:                             ;   in Loop: Header=BB7_62 Depth=1
	s_xor_b32 s0, exec_lo, -1
; %bb.1671:                             ;   in Loop: Header=BB7_62 Depth=1
	s_wait_alu 0xfffe
	s_or_b32 exec_lo, exec_lo, s2
	s_delay_alu instid0(SALU_CYCLE_1)
	s_and_b32 s0, s0, exec_lo
	s_or_saveexec_b32 s1, s1
	v_mov_b32_e32 v92, 0x7f800001
	s_wait_alu 0xfffe
	s_xor_b32 exec_lo, exec_lo, s1
	s_cbranch_execz .LBB7_648
.LBB7_1672:                             ;   in Loop: Header=BB7_62 Depth=1
	v_cmp_ne_u16_e32 vcc_lo, 0, v94
	v_mov_b32_e32 v92, 0
	s_and_not1_b32 s0, s0, exec_lo
	s_and_b32 s2, vcc_lo, exec_lo
	s_wait_alu 0xfffe
	s_or_b32 s0, s0, s2
	s_or_b32 exec_lo, exec_lo, s1
	s_wait_alu 0xfffe
	s_and_saveexec_b32 s1, s0
	s_cbranch_execnz .LBB7_649
	s_branch .LBB7_650
.LBB7_1673:                             ;   in Loop: Header=BB7_62 Depth=1
	s_mov_b32 s0, -1
	s_mov_b32 s2, exec_lo
	v_cmpx_eq_u16_e32 0x80, v109
; %bb.1674:                             ;   in Loop: Header=BB7_62 Depth=1
	s_xor_b32 s0, exec_lo, -1
; %bb.1675:                             ;   in Loop: Header=BB7_62 Depth=1
	s_wait_alu 0xfffe
	s_or_b32 exec_lo, exec_lo, s2
	s_delay_alu instid0(SALU_CYCLE_1)
	s_and_b32 s0, s0, exec_lo
                                        ; implicit-def: $vgpr109
	s_or_saveexec_b32 s1, s1
	v_mov_b32_e32 v94, 0x7f800001
	s_wait_alu 0xfffe
	s_xor_b32 exec_lo, exec_lo, s1
	s_cbranch_execz .LBB7_652
.LBB7_1676:                             ;   in Loop: Header=BB7_62 Depth=1
	v_cmp_ne_u16_e32 vcc_lo, 0, v109
	v_mov_b32_e32 v94, 0
	s_and_not1_b32 s0, s0, exec_lo
	s_and_b32 s2, vcc_lo, exec_lo
	s_wait_alu 0xfffe
	s_or_b32 s0, s0, s2
	s_or_b32 exec_lo, exec_lo, s1
	s_wait_alu 0xfffe
	s_and_saveexec_b32 s1, s0
	s_cbranch_execnz .LBB7_653
	s_branch .LBB7_654
.LBB7_1677:                             ;   in Loop: Header=BB7_62 Depth=1
	s_mov_b32 s0, -1
	s_mov_b32 s2, exec_lo
	v_cmpx_eq_u16_e32 0x80, v109
; %bb.1678:                             ;   in Loop: Header=BB7_62 Depth=1
	s_xor_b32 s0, exec_lo, -1
; %bb.1679:                             ;   in Loop: Header=BB7_62 Depth=1
	s_wait_alu 0xfffe
	s_or_b32 exec_lo, exec_lo, s2
	s_delay_alu instid0(SALU_CYCLE_1)
	s_and_b32 s0, s0, exec_lo
                                        ; implicit-def: $vgpr109
	s_or_saveexec_b32 s1, s1
	v_mov_b32_e32 v61, 0x7f800001
	s_wait_alu 0xfffe
	s_xor_b32 exec_lo, exec_lo, s1
	s_cbranch_execz .LBB7_656
.LBB7_1680:                             ;   in Loop: Header=BB7_62 Depth=1
	v_cmp_ne_u16_e32 vcc_lo, 0, v109
	v_mov_b32_e32 v61, 0
	s_and_not1_b32 s0, s0, exec_lo
	s_and_b32 s2, vcc_lo, exec_lo
	s_wait_alu 0xfffe
	s_or_b32 s0, s0, s2
	s_or_b32 exec_lo, exec_lo, s1
	s_wait_alu 0xfffe
	s_and_saveexec_b32 s1, s0
	s_cbranch_execnz .LBB7_657
	s_branch .LBB7_658
.LBB7_1681:                             ;   in Loop: Header=BB7_62 Depth=1
	s_mov_b32 s0, -1
	s_mov_b32 s2, exec_lo
	v_cmpx_eq_u16_e32 0x80, v109
; %bb.1682:                             ;   in Loop: Header=BB7_62 Depth=1
	s_xor_b32 s0, exec_lo, -1
; %bb.1683:                             ;   in Loop: Header=BB7_62 Depth=1
	s_wait_alu 0xfffe
	s_or_b32 exec_lo, exec_lo, s2
	s_delay_alu instid0(SALU_CYCLE_1)
	s_and_b32 s0, s0, exec_lo
                                        ; implicit-def: $vgpr109
	s_or_saveexec_b32 s1, s1
	v_mov_b32_e32 v105, 0x7f800001
	s_wait_alu 0xfffe
	s_xor_b32 exec_lo, exec_lo, s1
	s_cbranch_execz .LBB7_660
.LBB7_1684:                             ;   in Loop: Header=BB7_62 Depth=1
	v_cmp_ne_u16_e32 vcc_lo, 0, v109
	v_mov_b32_e32 v105, 0
	s_and_not1_b32 s0, s0, exec_lo
	s_and_b32 s2, vcc_lo, exec_lo
	s_wait_alu 0xfffe
	s_or_b32 s0, s0, s2
	s_or_b32 exec_lo, exec_lo, s1
	s_wait_alu 0xfffe
	s_and_saveexec_b32 s1, s0
	s_cbranch_execnz .LBB7_661
	s_branch .LBB7_662
.LBB7_1685:                             ;   in Loop: Header=BB7_62 Depth=1
	s_mov_b32 s0, -1
	s_mov_b32 s2, exec_lo
	v_cmpx_eq_u16_e32 0x80, v108
; %bb.1686:                             ;   in Loop: Header=BB7_62 Depth=1
	s_xor_b32 s0, exec_lo, -1
; %bb.1687:                             ;   in Loop: Header=BB7_62 Depth=1
	s_wait_alu 0xfffe
	s_or_b32 exec_lo, exec_lo, s2
	s_delay_alu instid0(SALU_CYCLE_1)
	s_and_b32 s0, s0, exec_lo
	s_or_saveexec_b32 s1, s1
	v_mov_b32_e32 v107, 0x7f800001
	s_wait_alu 0xfffe
	s_xor_b32 exec_lo, exec_lo, s1
	s_cbranch_execz .LBB7_664
.LBB7_1688:                             ;   in Loop: Header=BB7_62 Depth=1
	v_cmp_ne_u16_e32 vcc_lo, 0, v108
	v_mov_b32_e32 v107, 0
	s_and_not1_b32 s0, s0, exec_lo
	s_and_b32 s2, vcc_lo, exec_lo
	s_wait_alu 0xfffe
	s_or_b32 s0, s0, s2
	s_or_b32 exec_lo, exec_lo, s1
	s_wait_alu 0xfffe
	s_and_saveexec_b32 s1, s0
	s_cbranch_execnz .LBB7_665
	s_branch .LBB7_666
.LBB7_1689:                             ;   in Loop: Header=BB7_62 Depth=1
	s_mov_b32 s0, -1
	s_mov_b32 s2, exec_lo
	v_cmpx_eq_u16_e32 0x80, v109
; %bb.1690:                             ;   in Loop: Header=BB7_62 Depth=1
	s_xor_b32 s0, exec_lo, -1
; %bb.1691:                             ;   in Loop: Header=BB7_62 Depth=1
	s_wait_alu 0xfffe
	s_or_b32 exec_lo, exec_lo, s2
	s_delay_alu instid0(SALU_CYCLE_1)
	s_and_b32 s0, s0, exec_lo
                                        ; implicit-def: $vgpr109
	s_or_saveexec_b32 s1, s1
	v_mov_b32_e32 v108, 0x7f800001
	s_wait_alu 0xfffe
	s_xor_b32 exec_lo, exec_lo, s1
	s_cbranch_execz .LBB7_668
.LBB7_1692:                             ;   in Loop: Header=BB7_62 Depth=1
	v_cmp_ne_u16_e32 vcc_lo, 0, v109
	v_mov_b32_e32 v108, 0
	s_and_not1_b32 s0, s0, exec_lo
	s_and_b32 s2, vcc_lo, exec_lo
	s_wait_alu 0xfffe
	s_or_b32 s0, s0, s2
	s_or_b32 exec_lo, exec_lo, s1
	s_wait_alu 0xfffe
	s_and_saveexec_b32 s1, s0
	s_cbranch_execnz .LBB7_669
	s_branch .LBB7_670
.LBB7_1693:                             ;   in Loop: Header=BB7_62 Depth=1
	s_mov_b32 s0, -1
	s_mov_b32 s2, exec_lo
	v_cmpx_eq_u16_e32 0x80, v109
; %bb.1694:                             ;   in Loop: Header=BB7_62 Depth=1
	s_xor_b32 s0, exec_lo, -1
; %bb.1695:                             ;   in Loop: Header=BB7_62 Depth=1
	s_wait_alu 0xfffe
	s_or_b32 exec_lo, exec_lo, s2
	s_delay_alu instid0(SALU_CYCLE_1)
	s_and_b32 s0, s0, exec_lo
                                        ; implicit-def: $vgpr109
	s_or_saveexec_b32 s1, s1
	v_mov_b32_e32 v62, 0x7f800001
	s_wait_alu 0xfffe
	s_xor_b32 exec_lo, exec_lo, s1
	s_cbranch_execz .LBB7_672
.LBB7_1696:                             ;   in Loop: Header=BB7_62 Depth=1
	v_cmp_ne_u16_e32 vcc_lo, 0, v109
	v_mov_b32_e32 v62, 0
	s_and_not1_b32 s0, s0, exec_lo
	s_and_b32 s2, vcc_lo, exec_lo
	s_wait_alu 0xfffe
	s_or_b32 s0, s0, s2
	s_or_b32 exec_lo, exec_lo, s1
	s_wait_alu 0xfffe
	s_and_saveexec_b32 s1, s0
	s_cbranch_execnz .LBB7_673
	s_branch .LBB7_674
.LBB7_1697:                             ;   in Loop: Header=BB7_62 Depth=1
	s_mov_b32 s0, -1
	s_mov_b32 s2, exec_lo
	v_cmpx_eq_u16_e32 0x80, v109
; %bb.1698:                             ;   in Loop: Header=BB7_62 Depth=1
	s_xor_b32 s0, exec_lo, -1
; %bb.1699:                             ;   in Loop: Header=BB7_62 Depth=1
	s_wait_alu 0xfffe
	s_or_b32 exec_lo, exec_lo, s2
	s_delay_alu instid0(SALU_CYCLE_1)
	s_and_b32 s0, s0, exec_lo
                                        ; implicit-def: $vgpr109
	s_or_saveexec_b32 s1, s1
	v_mov_b32_e32 v106, 0x7f800001
	s_wait_alu 0xfffe
	s_xor_b32 exec_lo, exec_lo, s1
	s_cbranch_execz .LBB7_676
.LBB7_1700:                             ;   in Loop: Header=BB7_62 Depth=1
	v_cmp_ne_u16_e32 vcc_lo, 0, v109
	v_mov_b32_e32 v106, 0
	s_and_not1_b32 s0, s0, exec_lo
	s_and_b32 s2, vcc_lo, exec_lo
	s_wait_alu 0xfffe
	s_or_b32 s0, s0, s2
	s_or_b32 exec_lo, exec_lo, s1
	s_wait_alu 0xfffe
	s_and_saveexec_b32 s1, s0
	s_cbranch_execnz .LBB7_677
	s_branch .LBB7_678
.LBB7_1701:                             ;   in Loop: Header=BB7_62 Depth=1
	s_mov_b32 s0, -1
	s_mov_b32 s2, exec_lo
	v_cmpx_eq_u16_e32 0x80, v95
; %bb.1702:                             ;   in Loop: Header=BB7_62 Depth=1
	s_xor_b32 s0, exec_lo, -1
; %bb.1703:                             ;   in Loop: Header=BB7_62 Depth=1
	s_wait_alu 0xfffe
	s_or_b32 exec_lo, exec_lo, s2
	s_delay_alu instid0(SALU_CYCLE_1)
	s_and_b32 s0, s0, exec_lo
	s_or_saveexec_b32 s1, s1
	v_mov_b32_e32 v104, 0x7f800001
	s_wait_alu 0xfffe
	s_xor_b32 exec_lo, exec_lo, s1
	s_cbranch_execz .LBB7_680
.LBB7_1704:                             ;   in Loop: Header=BB7_62 Depth=1
	v_cmp_ne_u16_e32 vcc_lo, 0, v95
	v_mov_b32_e32 v104, 0
	s_and_not1_b32 s0, s0, exec_lo
	s_and_b32 s2, vcc_lo, exec_lo
	s_wait_alu 0xfffe
	s_or_b32 s0, s0, s2
	s_or_b32 exec_lo, exec_lo, s1
	s_wait_alu 0xfffe
	s_and_saveexec_b32 s1, s0
	s_cbranch_execnz .LBB7_681
	s_branch .LBB7_682
.LBB7_1705:                             ;   in Loop: Header=BB7_62 Depth=1
	s_mov_b32 s0, -1
	s_mov_b32 s2, exec_lo
	v_cmpx_eq_u16_e32 0x80, v109
; %bb.1706:                             ;   in Loop: Header=BB7_62 Depth=1
	s_xor_b32 s0, exec_lo, -1
; %bb.1707:                             ;   in Loop: Header=BB7_62 Depth=1
	s_wait_alu 0xfffe
	s_or_b32 exec_lo, exec_lo, s2
	s_delay_alu instid0(SALU_CYCLE_1)
	s_and_b32 s0, s0, exec_lo
                                        ; implicit-def: $vgpr109
	s_or_saveexec_b32 s1, s1
	v_mov_b32_e32 v95, 0x7f800001
	s_wait_alu 0xfffe
	s_xor_b32 exec_lo, exec_lo, s1
	s_cbranch_execz .LBB7_684
.LBB7_1708:                             ;   in Loop: Header=BB7_62 Depth=1
	v_cmp_ne_u16_e32 vcc_lo, 0, v109
	v_mov_b32_e32 v95, 0
	s_and_not1_b32 s0, s0, exec_lo
	s_and_b32 s2, vcc_lo, exec_lo
	s_wait_alu 0xfffe
	s_or_b32 s0, s0, s2
	s_or_b32 exec_lo, exec_lo, s1
	s_wait_alu 0xfffe
	s_and_saveexec_b32 s1, s0
	s_cbranch_execnz .LBB7_685
	s_branch .LBB7_686
.LBB7_1709:                             ;   in Loop: Header=BB7_62 Depth=1
	s_mov_b32 s0, -1
	s_mov_b32 s2, exec_lo
	v_cmpx_eq_u16_e32 0x80, v109
; %bb.1710:                             ;   in Loop: Header=BB7_62 Depth=1
	s_xor_b32 s0, exec_lo, -1
; %bb.1711:                             ;   in Loop: Header=BB7_62 Depth=1
	s_wait_alu 0xfffe
	s_or_b32 exec_lo, exec_lo, s2
	s_delay_alu instid0(SALU_CYCLE_1)
	s_and_b32 s0, s0, exec_lo
                                        ; implicit-def: $vgpr109
	s_or_saveexec_b32 s1, s1
	v_mov_b32_e32 v63, 0x7f800001
	s_wait_alu 0xfffe
	s_xor_b32 exec_lo, exec_lo, s1
	s_cbranch_execz .LBB7_688
.LBB7_1712:                             ;   in Loop: Header=BB7_62 Depth=1
	v_cmp_ne_u16_e32 vcc_lo, 0, v109
	v_mov_b32_e32 v63, 0
	s_and_not1_b32 s0, s0, exec_lo
	s_and_b32 s2, vcc_lo, exec_lo
	s_wait_alu 0xfffe
	s_or_b32 s0, s0, s2
	s_or_b32 exec_lo, exec_lo, s1
	s_wait_alu 0xfffe
	s_and_saveexec_b32 s1, s0
	s_cbranch_execnz .LBB7_689
	s_branch .LBB7_690
.LBB7_1713:                             ;   in Loop: Header=BB7_62 Depth=1
	s_mov_b32 s0, -1
	s_mov_b32 s2, exec_lo
	v_cmpx_eq_u16_e32 0x80, v109
; %bb.1714:                             ;   in Loop: Header=BB7_62 Depth=1
	s_xor_b32 s0, exec_lo, -1
; %bb.1715:                             ;   in Loop: Header=BB7_62 Depth=1
	s_wait_alu 0xfffe
	s_or_b32 exec_lo, exec_lo, s2
	s_delay_alu instid0(SALU_CYCLE_1)
	s_and_b32 s0, s0, exec_lo
                                        ; implicit-def: $vgpr109
	s_or_saveexec_b32 s1, s1
	v_mov_b32_e32 v91, 0x7f800001
	s_wait_alu 0xfffe
	s_xor_b32 exec_lo, exec_lo, s1
	s_cbranch_execz .LBB7_692
.LBB7_1716:                             ;   in Loop: Header=BB7_62 Depth=1
	v_cmp_ne_u16_e32 vcc_lo, 0, v109
	v_mov_b32_e32 v91, 0
	s_and_not1_b32 s0, s0, exec_lo
	s_and_b32 s2, vcc_lo, exec_lo
	s_wait_alu 0xfffe
	s_or_b32 s0, s0, s2
	s_or_b32 exec_lo, exec_lo, s1
	s_wait_alu 0xfffe
	s_and_saveexec_b32 s1, s0
	s_cbranch_execnz .LBB7_693
	s_branch .LBB7_694
.LBB7_1717:                             ;   in Loop: Header=BB7_62 Depth=1
	s_mov_b32 s0, -1
	s_mov_b32 s2, exec_lo
	v_cmpx_eq_u16_e32 0x80, v78
; %bb.1718:                             ;   in Loop: Header=BB7_62 Depth=1
	s_xor_b32 s0, exec_lo, -1
; %bb.1719:                             ;   in Loop: Header=BB7_62 Depth=1
	s_wait_alu 0xfffe
	s_or_b32 exec_lo, exec_lo, s2
	s_delay_alu instid0(SALU_CYCLE_1)
	s_and_b32 s0, s0, exec_lo
	s_or_saveexec_b32 s1, s1
	v_mov_b32_e32 v88, 0x7f800001
	s_wait_alu 0xfffe
	s_xor_b32 exec_lo, exec_lo, s1
	s_cbranch_execz .LBB7_696
.LBB7_1720:                             ;   in Loop: Header=BB7_62 Depth=1
	v_cmp_ne_u16_e32 vcc_lo, 0, v78
	v_mov_b32_e32 v88, 0
	s_and_not1_b32 s0, s0, exec_lo
	s_and_b32 s2, vcc_lo, exec_lo
	s_wait_alu 0xfffe
	s_or_b32 s0, s0, s2
	s_or_b32 exec_lo, exec_lo, s1
	s_wait_alu 0xfffe
	s_and_saveexec_b32 s1, s0
	s_cbranch_execnz .LBB7_697
	s_branch .LBB7_698
.LBB7_1721:                             ;   in Loop: Header=BB7_62 Depth=1
	s_mov_b32 s0, -1
	s_mov_b32 s2, exec_lo
	v_cmpx_eq_u16_e32 0x80, v95
; %bb.1722:                             ;   in Loop: Header=BB7_62 Depth=1
	s_xor_b32 s0, exec_lo, -1
; %bb.1723:                             ;   in Loop: Header=BB7_62 Depth=1
	s_wait_alu 0xfffe
	s_or_b32 exec_lo, exec_lo, s2
	s_delay_alu instid0(SALU_CYCLE_1)
	s_and_b32 s0, s0, exec_lo
                                        ; implicit-def: $vgpr95
	s_or_saveexec_b32 s1, s1
	v_mov_b32_e32 v94, 0x7f800001
	s_wait_alu 0xfffe
	s_xor_b32 exec_lo, exec_lo, s1
	s_cbranch_execz .LBB7_700
.LBB7_1724:                             ;   in Loop: Header=BB7_62 Depth=1
	v_cmp_ne_u16_e32 vcc_lo, 0, v95
	v_mov_b32_e32 v94, 0
	s_and_not1_b32 s0, s0, exec_lo
	s_and_b32 s2, vcc_lo, exec_lo
	s_wait_alu 0xfffe
	s_or_b32 s0, s0, s2
	s_or_b32 exec_lo, exec_lo, s1
	s_wait_alu 0xfffe
	s_and_saveexec_b32 s1, s0
	s_cbranch_execnz .LBB7_701
	s_branch .LBB7_702
.LBB7_1725:                             ;   in Loop: Header=BB7_62 Depth=1
	s_mov_b32 s0, -1
	s_mov_b32 s2, exec_lo
	v_cmpx_eq_u16_e32 0x80, v123
; %bb.1726:                             ;   in Loop: Header=BB7_62 Depth=1
	s_xor_b32 s0, exec_lo, -1
; %bb.1727:                             ;   in Loop: Header=BB7_62 Depth=1
	s_wait_alu 0xfffe
	s_or_b32 exec_lo, exec_lo, s2
	s_delay_alu instid0(SALU_CYCLE_1)
	s_and_b32 s0, s0, exec_lo
                                        ; implicit-def: $vgpr123
	s_or_saveexec_b32 s1, s1
	v_mov_b32_e32 v60, 0x7f800001
	s_wait_alu 0xfffe
	s_xor_b32 exec_lo, exec_lo, s1
	s_cbranch_execz .LBB7_704
.LBB7_1728:                             ;   in Loop: Header=BB7_62 Depth=1
	v_cmp_ne_u16_e32 vcc_lo, 0, v123
	v_mov_b32_e32 v60, 0
	s_and_not1_b32 s0, s0, exec_lo
	s_and_b32 s2, vcc_lo, exec_lo
	s_wait_alu 0xfffe
	s_or_b32 s0, s0, s2
	s_or_b32 exec_lo, exec_lo, s1
	s_wait_alu 0xfffe
	s_and_saveexec_b32 s1, s0
	s_cbranch_execnz .LBB7_705
	s_branch .LBB7_706
.LBB7_1729:                             ;   in Loop: Header=BB7_62 Depth=1
	s_mov_b32 s0, -1
	s_mov_b32 s2, exec_lo
	v_cmpx_eq_u16_e32 0x80, v123
; %bb.1730:                             ;   in Loop: Header=BB7_62 Depth=1
	s_xor_b32 s0, exec_lo, -1
; %bb.1731:                             ;   in Loop: Header=BB7_62 Depth=1
	s_wait_alu 0xfffe
	s_or_b32 exec_lo, exec_lo, s2
	s_delay_alu instid0(SALU_CYCLE_1)
	s_and_b32 s0, s0, exec_lo
                                        ; implicit-def: $vgpr123
	s_or_saveexec_b32 s1, s1
	v_mov_b32_e32 v105, 0x7f800001
	s_wait_alu 0xfffe
	s_xor_b32 exec_lo, exec_lo, s1
	s_cbranch_execz .LBB7_708
.LBB7_1732:                             ;   in Loop: Header=BB7_62 Depth=1
	v_cmp_ne_u16_e32 vcc_lo, 0, v123
	v_mov_b32_e32 v105, 0
	s_and_not1_b32 s0, s0, exec_lo
	s_and_b32 s2, vcc_lo, exec_lo
	s_wait_alu 0xfffe
	s_or_b32 s0, s0, s2
	s_or_b32 exec_lo, exec_lo, s1
	s_wait_alu 0xfffe
	s_and_saveexec_b32 s1, s0
	s_cbranch_execnz .LBB7_709
	s_branch .LBB7_710
.LBB7_1733:                             ;   in Loop: Header=BB7_62 Depth=1
	s_mov_b32 s0, -1
	s_mov_b32 s2, exec_lo
	v_cmpx_eq_u16_e32 0x80, v108
; %bb.1734:                             ;   in Loop: Header=BB7_62 Depth=1
	s_xor_b32 s0, exec_lo, -1
; %bb.1735:                             ;   in Loop: Header=BB7_62 Depth=1
	s_wait_alu 0xfffe
	s_or_b32 exec_lo, exec_lo, s2
	s_delay_alu instid0(SALU_CYCLE_1)
	s_and_b32 s0, s0, exec_lo
	s_or_saveexec_b32 s1, s1
	v_mov_b32_e32 v107, 0x7f800001
	s_wait_alu 0xfffe
	s_xor_b32 exec_lo, exec_lo, s1
	s_cbranch_execz .LBB7_712
.LBB7_1736:                             ;   in Loop: Header=BB7_62 Depth=1
	v_cmp_ne_u16_e32 vcc_lo, 0, v108
	v_mov_b32_e32 v107, 0
	s_and_not1_b32 s0, s0, exec_lo
	s_and_b32 s2, vcc_lo, exec_lo
	s_wait_alu 0xfffe
	s_or_b32 s0, s0, s2
	s_or_b32 exec_lo, exec_lo, s1
	s_wait_alu 0xfffe
	s_and_saveexec_b32 s1, s0
	s_cbranch_execnz .LBB7_713
	s_branch .LBB7_714
.LBB7_1737:                             ;   in Loop: Header=BB7_62 Depth=1
	s_mov_b32 s0, -1
	s_mov_b32 s2, exec_lo
	v_cmpx_eq_u16_e32 0x80, v123
; %bb.1738:                             ;   in Loop: Header=BB7_62 Depth=1
	s_xor_b32 s0, exec_lo, -1
; %bb.1739:                             ;   in Loop: Header=BB7_62 Depth=1
	s_wait_alu 0xfffe
	s_or_b32 exec_lo, exec_lo, s2
	s_delay_alu instid0(SALU_CYCLE_1)
	s_and_b32 s0, s0, exec_lo
                                        ; implicit-def: $vgpr123
	s_or_saveexec_b32 s1, s1
	v_mov_b32_e32 v108, 0x7f800001
	s_wait_alu 0xfffe
	s_xor_b32 exec_lo, exec_lo, s1
	s_cbranch_execz .LBB7_716
.LBB7_1740:                             ;   in Loop: Header=BB7_62 Depth=1
	v_cmp_ne_u16_e32 vcc_lo, 0, v123
	v_mov_b32_e32 v108, 0
	s_and_not1_b32 s0, s0, exec_lo
	s_and_b32 s2, vcc_lo, exec_lo
	s_wait_alu 0xfffe
	s_or_b32 s0, s0, s2
	s_or_b32 exec_lo, exec_lo, s1
	s_wait_alu 0xfffe
	s_and_saveexec_b32 s1, s0
	s_cbranch_execnz .LBB7_717
	s_branch .LBB7_718
.LBB7_1741:                             ;   in Loop: Header=BB7_62 Depth=1
	s_mov_b32 s0, -1
	s_mov_b32 s2, exec_lo
	v_cmpx_eq_u16_e32 0x80, v123
; %bb.1742:                             ;   in Loop: Header=BB7_62 Depth=1
	s_xor_b32 s0, exec_lo, -1
; %bb.1743:                             ;   in Loop: Header=BB7_62 Depth=1
	s_wait_alu 0xfffe
	s_or_b32 exec_lo, exec_lo, s2
	s_delay_alu instid0(SALU_CYCLE_1)
	s_and_b32 s0, s0, exec_lo
                                        ; implicit-def: $vgpr123
	s_or_saveexec_b32 s1, s1
	v_mov_b32_e32 v61, 0x7f800001
	s_wait_alu 0xfffe
	s_xor_b32 exec_lo, exec_lo, s1
	s_cbranch_execz .LBB7_720
.LBB7_1744:                             ;   in Loop: Header=BB7_62 Depth=1
	v_cmp_ne_u16_e32 vcc_lo, 0, v123
	v_mov_b32_e32 v61, 0
	s_and_not1_b32 s0, s0, exec_lo
	s_and_b32 s2, vcc_lo, exec_lo
	s_wait_alu 0xfffe
	s_or_b32 s0, s0, s2
	s_or_b32 exec_lo, exec_lo, s1
	s_wait_alu 0xfffe
	s_and_saveexec_b32 s1, s0
	s_cbranch_execnz .LBB7_721
	s_branch .LBB7_722
.LBB7_1745:                             ;   in Loop: Header=BB7_62 Depth=1
	s_mov_b32 s0, -1
	s_mov_b32 s2, exec_lo
	v_cmpx_eq_u16_e32 0x80, v123
; %bb.1746:                             ;   in Loop: Header=BB7_62 Depth=1
	s_xor_b32 s0, exec_lo, -1
; %bb.1747:                             ;   in Loop: Header=BB7_62 Depth=1
	s_wait_alu 0xfffe
	s_or_b32 exec_lo, exec_lo, s2
	s_delay_alu instid0(SALU_CYCLE_1)
	s_and_b32 s0, s0, exec_lo
                                        ; implicit-def: $vgpr123
	s_or_saveexec_b32 s1, s1
	v_mov_b32_e32 v111, 0x7f800001
	s_wait_alu 0xfffe
	s_xor_b32 exec_lo, exec_lo, s1
	s_cbranch_execz .LBB7_724
.LBB7_1748:                             ;   in Loop: Header=BB7_62 Depth=1
	v_cmp_ne_u16_e32 vcc_lo, 0, v123
	v_mov_b32_e32 v111, 0
	s_and_not1_b32 s0, s0, exec_lo
	s_and_b32 s2, vcc_lo, exec_lo
	s_wait_alu 0xfffe
	s_or_b32 s0, s0, s2
	s_or_b32 exec_lo, exec_lo, s1
	s_wait_alu 0xfffe
	s_and_saveexec_b32 s1, s0
	s_cbranch_execnz .LBB7_725
	s_branch .LBB7_726
.LBB7_1749:                             ;   in Loop: Header=BB7_62 Depth=1
	s_mov_b32 s0, -1
	s_mov_b32 s2, exec_lo
	v_cmpx_eq_u16_e32 0x80, v122
; %bb.1750:                             ;   in Loop: Header=BB7_62 Depth=1
	s_xor_b32 s0, exec_lo, -1
; %bb.1751:                             ;   in Loop: Header=BB7_62 Depth=1
	s_wait_alu 0xfffe
	s_or_b32 exec_lo, exec_lo, s2
	s_delay_alu instid0(SALU_CYCLE_1)
	s_and_b32 s0, s0, exec_lo
	s_or_saveexec_b32 s1, s1
	v_mov_b32_e32 v121, 0x7f800001
	s_wait_alu 0xfffe
	s_xor_b32 exec_lo, exec_lo, s1
	s_cbranch_execz .LBB7_728
.LBB7_1752:                             ;   in Loop: Header=BB7_62 Depth=1
	v_cmp_ne_u16_e32 vcc_lo, 0, v122
	v_mov_b32_e32 v121, 0
	s_and_not1_b32 s0, s0, exec_lo
	s_and_b32 s2, vcc_lo, exec_lo
	s_wait_alu 0xfffe
	s_or_b32 s0, s0, s2
	s_or_b32 exec_lo, exec_lo, s1
	s_wait_alu 0xfffe
	s_and_saveexec_b32 s1, s0
	s_cbranch_execnz .LBB7_729
	s_branch .LBB7_730
.LBB7_1753:                             ;   in Loop: Header=BB7_62 Depth=1
	s_mov_b32 s0, -1
	s_mov_b32 s2, exec_lo
	v_cmpx_eq_u16_e32 0x80, v123
; %bb.1754:                             ;   in Loop: Header=BB7_62 Depth=1
	s_xor_b32 s0, exec_lo, -1
; %bb.1755:                             ;   in Loop: Header=BB7_62 Depth=1
	s_wait_alu 0xfffe
	s_or_b32 exec_lo, exec_lo, s2
	s_delay_alu instid0(SALU_CYCLE_1)
	s_and_b32 s0, s0, exec_lo
                                        ; implicit-def: $vgpr123
	s_or_saveexec_b32 s1, s1
	v_mov_b32_e32 v122, 0x7f800001
	s_wait_alu 0xfffe
	s_xor_b32 exec_lo, exec_lo, s1
	s_cbranch_execz .LBB7_732
.LBB7_1756:                             ;   in Loop: Header=BB7_62 Depth=1
	v_cmp_ne_u16_e32 vcc_lo, 0, v123
	v_mov_b32_e32 v122, 0
	s_and_not1_b32 s0, s0, exec_lo
	s_and_b32 s2, vcc_lo, exec_lo
	s_wait_alu 0xfffe
	s_or_b32 s0, s0, s2
	s_or_b32 exec_lo, exec_lo, s1
	s_wait_alu 0xfffe
	s_and_saveexec_b32 s1, s0
	s_cbranch_execnz .LBB7_733
	s_branch .LBB7_734
.LBB7_1757:                             ;   in Loop: Header=BB7_62 Depth=1
	s_mov_b32 s0, -1
	s_mov_b32 s2, exec_lo
	v_cmpx_eq_u16_e32 0x80, v123
; %bb.1758:                             ;   in Loop: Header=BB7_62 Depth=1
	s_xor_b32 s0, exec_lo, -1
; %bb.1759:                             ;   in Loop: Header=BB7_62 Depth=1
	s_wait_alu 0xfffe
	s_or_b32 exec_lo, exec_lo, s2
	s_delay_alu instid0(SALU_CYCLE_1)
	s_and_b32 s0, s0, exec_lo
                                        ; implicit-def: $vgpr123
	s_or_saveexec_b32 s1, s1
	v_mov_b32_e32 v62, 0x7f800001
	s_wait_alu 0xfffe
	s_xor_b32 exec_lo, exec_lo, s1
	s_cbranch_execz .LBB7_736
.LBB7_1760:                             ;   in Loop: Header=BB7_62 Depth=1
	v_cmp_ne_u16_e32 vcc_lo, 0, v123
	v_mov_b32_e32 v62, 0
	s_and_not1_b32 s0, s0, exec_lo
	s_and_b32 s2, vcc_lo, exec_lo
	s_wait_alu 0xfffe
	s_or_b32 s0, s0, s2
	s_or_b32 exec_lo, exec_lo, s1
	s_wait_alu 0xfffe
	s_and_saveexec_b32 s1, s0
	s_cbranch_execnz .LBB7_737
	s_branch .LBB7_738
.LBB7_1761:                             ;   in Loop: Header=BB7_62 Depth=1
	s_mov_b32 s0, -1
	s_mov_b32 s2, exec_lo
	v_cmpx_eq_u16_e32 0x80, v123
; %bb.1762:                             ;   in Loop: Header=BB7_62 Depth=1
	s_xor_b32 s0, exec_lo, -1
; %bb.1763:                             ;   in Loop: Header=BB7_62 Depth=1
	s_wait_alu 0xfffe
	s_or_b32 exec_lo, exec_lo, s2
	s_delay_alu instid0(SALU_CYCLE_1)
	s_and_b32 s0, s0, exec_lo
                                        ; implicit-def: $vgpr123
	s_or_saveexec_b32 s1, s1
	v_mov_b32_e32 v120, 0x7f800001
	s_wait_alu 0xfffe
	s_xor_b32 exec_lo, exec_lo, s1
	s_cbranch_execz .LBB7_740
.LBB7_1764:                             ;   in Loop: Header=BB7_62 Depth=1
	v_cmp_ne_u16_e32 vcc_lo, 0, v123
	v_mov_b32_e32 v120, 0
	s_and_not1_b32 s0, s0, exec_lo
	s_and_b32 s2, vcc_lo, exec_lo
	s_wait_alu 0xfffe
	s_or_b32 s0, s0, s2
	s_or_b32 exec_lo, exec_lo, s1
	s_wait_alu 0xfffe
	s_and_saveexec_b32 s1, s0
	s_cbranch_execnz .LBB7_741
	s_branch .LBB7_742
.LBB7_1765:                             ;   in Loop: Header=BB7_62 Depth=1
	s_mov_b32 s0, -1
	s_mov_b32 s2, exec_lo
	v_cmpx_eq_u16_e32 0x80, v109
; %bb.1766:                             ;   in Loop: Header=BB7_62 Depth=1
	s_xor_b32 s0, exec_lo, -1
; %bb.1767:                             ;   in Loop: Header=BB7_62 Depth=1
	s_wait_alu 0xfffe
	s_or_b32 exec_lo, exec_lo, s2
	s_delay_alu instid0(SALU_CYCLE_1)
	s_and_b32 s0, s0, exec_lo
	s_or_saveexec_b32 s1, s1
	v_mov_b32_e32 v110, 0x7f800001
	s_wait_alu 0xfffe
	s_xor_b32 exec_lo, exec_lo, s1
	s_cbranch_execz .LBB7_744
.LBB7_1768:                             ;   in Loop: Header=BB7_62 Depth=1
	v_cmp_ne_u16_e32 vcc_lo, 0, v109
	v_mov_b32_e32 v110, 0
	s_and_not1_b32 s0, s0, exec_lo
	s_and_b32 s2, vcc_lo, exec_lo
	s_wait_alu 0xfffe
	s_or_b32 s0, s0, s2
	s_or_b32 exec_lo, exec_lo, s1
	s_wait_alu 0xfffe
	s_and_saveexec_b32 s1, s0
	s_cbranch_execnz .LBB7_745
	s_branch .LBB7_746
.LBB7_1769:                             ;   in Loop: Header=BB7_62 Depth=1
	s_mov_b32 s0, -1
	s_mov_b32 s2, exec_lo
	v_cmpx_eq_u16_e32 0x80, v123
; %bb.1770:                             ;   in Loop: Header=BB7_62 Depth=1
	s_xor_b32 s0, exec_lo, -1
; %bb.1771:                             ;   in Loop: Header=BB7_62 Depth=1
	s_wait_alu 0xfffe
	s_or_b32 exec_lo, exec_lo, s2
	s_delay_alu instid0(SALU_CYCLE_1)
	s_and_b32 s0, s0, exec_lo
                                        ; implicit-def: $vgpr123
	s_or_saveexec_b32 s1, s1
	v_mov_b32_e32 v109, 0x7f800001
	s_wait_alu 0xfffe
	s_xor_b32 exec_lo, exec_lo, s1
	s_cbranch_execz .LBB7_748
.LBB7_1772:                             ;   in Loop: Header=BB7_62 Depth=1
	v_cmp_ne_u16_e32 vcc_lo, 0, v123
	v_mov_b32_e32 v109, 0
	s_and_not1_b32 s0, s0, exec_lo
	s_and_b32 s2, vcc_lo, exec_lo
	s_wait_alu 0xfffe
	s_or_b32 s0, s0, s2
	s_or_b32 exec_lo, exec_lo, s1
	s_wait_alu 0xfffe
	s_and_saveexec_b32 s1, s0
	s_cbranch_execnz .LBB7_749
	s_branch .LBB7_750
.LBB7_1773:                             ;   in Loop: Header=BB7_62 Depth=1
	s_mov_b32 s0, -1
	s_mov_b32 s2, exec_lo
	v_cmpx_eq_u16_e32 0x80, v123
; %bb.1774:                             ;   in Loop: Header=BB7_62 Depth=1
	s_xor_b32 s0, exec_lo, -1
; %bb.1775:                             ;   in Loop: Header=BB7_62 Depth=1
	s_wait_alu 0xfffe
	s_or_b32 exec_lo, exec_lo, s2
	s_delay_alu instid0(SALU_CYCLE_1)
	s_and_b32 s0, s0, exec_lo
                                        ; implicit-def: $vgpr123
	s_or_saveexec_b32 s1, s1
	v_mov_b32_e32 v63, 0x7f800001
	s_wait_alu 0xfffe
	s_xor_b32 exec_lo, exec_lo, s1
	s_cbranch_execz .LBB7_752
.LBB7_1776:                             ;   in Loop: Header=BB7_62 Depth=1
	v_cmp_ne_u16_e32 vcc_lo, 0, v123
	v_mov_b32_e32 v63, 0
	s_and_not1_b32 s0, s0, exec_lo
	s_and_b32 s2, vcc_lo, exec_lo
	s_wait_alu 0xfffe
	s_or_b32 s0, s0, s2
	s_or_b32 exec_lo, exec_lo, s1
	s_wait_alu 0xfffe
	s_and_saveexec_b32 s1, s0
	s_cbranch_execnz .LBB7_753
	s_branch .LBB7_754
.LBB7_1777:                             ;   in Loop: Header=BB7_62 Depth=1
	s_mov_b32 s0, -1
	s_mov_b32 s2, exec_lo
	v_cmpx_eq_u16_e32 0x80, v123
; %bb.1778:                             ;   in Loop: Header=BB7_62 Depth=1
	s_xor_b32 s0, exec_lo, -1
; %bb.1779:                             ;   in Loop: Header=BB7_62 Depth=1
	s_wait_alu 0xfffe
	s_or_b32 exec_lo, exec_lo, s2
	s_delay_alu instid0(SALU_CYCLE_1)
	s_and_b32 s0, s0, exec_lo
                                        ; implicit-def: $vgpr123
	s_or_saveexec_b32 s1, s1
	v_mov_b32_e32 v106, 0x7f800001
	s_wait_alu 0xfffe
	s_xor_b32 exec_lo, exec_lo, s1
	s_cbranch_execz .LBB7_756
.LBB7_1780:                             ;   in Loop: Header=BB7_62 Depth=1
	v_cmp_ne_u16_e32 vcc_lo, 0, v123
	v_mov_b32_e32 v106, 0
	s_and_not1_b32 s0, s0, exec_lo
	s_and_b32 s2, vcc_lo, exec_lo
	s_wait_alu 0xfffe
	s_or_b32 s0, s0, s2
	s_or_b32 exec_lo, exec_lo, s1
	s_wait_alu 0xfffe
	s_and_saveexec_b32 s1, s0
	s_cbranch_execnz .LBB7_757
	s_branch .LBB7_758
.LBB7_1781:                             ;   in Loop: Header=BB7_62 Depth=1
	s_mov_b32 s0, -1
	s_mov_b32 s2, exec_lo
	v_cmpx_eq_u16_e32 0x80, v95
; %bb.1782:                             ;   in Loop: Header=BB7_62 Depth=1
	s_xor_b32 s0, exec_lo, -1
; %bb.1783:                             ;   in Loop: Header=BB7_62 Depth=1
	s_wait_alu 0xfffe
	s_or_b32 exec_lo, exec_lo, s2
	s_delay_alu instid0(SALU_CYCLE_1)
	s_and_b32 s0, s0, exec_lo
	s_or_saveexec_b32 s1, s1
	v_mov_b32_e32 v104, 0x7f800001
	s_wait_alu 0xfffe
	s_xor_b32 exec_lo, exec_lo, s1
	s_cbranch_execz .LBB7_760
.LBB7_1784:                             ;   in Loop: Header=BB7_62 Depth=1
	v_cmp_ne_u16_e32 vcc_lo, 0, v95
	v_mov_b32_e32 v104, 0
	s_and_not1_b32 s0, s0, exec_lo
	s_and_b32 s2, vcc_lo, exec_lo
	s_wait_alu 0xfffe
	s_or_b32 s0, s0, s2
	s_or_b32 exec_lo, exec_lo, s1
	s_wait_alu 0xfffe
	s_and_saveexec_b32 s1, s0
	s_cbranch_execnz .LBB7_761
	s_branch .LBB7_762
.LBB7_1785:                             ;   in Loop: Header=BB7_62 Depth=1
	s_mov_b32 s0, -1
	s_mov_b32 s2, exec_lo
	v_cmpx_eq_u16_e32 0x80, v95
; %bb.1786:                             ;   in Loop: Header=BB7_62 Depth=1
	s_xor_b32 s0, exec_lo, -1
; %bb.1787:                             ;   in Loop: Header=BB7_62 Depth=1
	s_wait_alu 0xfffe
	s_or_b32 exec_lo, exec_lo, s2
	s_delay_alu instid0(SALU_CYCLE_1)
	s_and_b32 s0, s0, exec_lo
                                        ; implicit-def: $vgpr95
	s_or_saveexec_b32 s1, s1
	v_mov_b32_e32 v94, 0x7f800001
	s_wait_alu 0xfffe
	s_xor_b32 exec_lo, exec_lo, s1
	s_cbranch_execz .LBB7_764
.LBB7_1788:                             ;   in Loop: Header=BB7_62 Depth=1
	v_cmp_ne_u16_e32 vcc_lo, 0, v95
	v_mov_b32_e32 v94, 0
	s_and_not1_b32 s0, s0, exec_lo
	s_and_b32 s2, vcc_lo, exec_lo
	s_wait_alu 0xfffe
	s_or_b32 s0, s0, s2
	s_or_b32 exec_lo, exec_lo, s1
	s_wait_alu 0xfffe
	s_and_saveexec_b32 s1, s0
	s_cbranch_execnz .LBB7_765
	s_branch .LBB7_766
.LBB7_1789:                             ;   in Loop: Header=BB7_62 Depth=1
	s_mov_b32 s0, -1
	s_mov_b32 s2, exec_lo
	v_cmpx_eq_u16_e32 0x80, v123
; %bb.1790:                             ;   in Loop: Header=BB7_62 Depth=1
	s_xor_b32 s0, exec_lo, -1
; %bb.1791:                             ;   in Loop: Header=BB7_62 Depth=1
	s_wait_alu 0xfffe
	s_or_b32 exec_lo, exec_lo, s2
	s_delay_alu instid0(SALU_CYCLE_1)
	s_and_b32 s0, s0, exec_lo
                                        ; implicit-def: $vgpr123
	s_or_saveexec_b32 s1, s1
	v_mov_b32_e32 v60, 0x7f800001
	s_wait_alu 0xfffe
	s_xor_b32 exec_lo, exec_lo, s1
	s_cbranch_execz .LBB7_768
.LBB7_1792:                             ;   in Loop: Header=BB7_62 Depth=1
	v_cmp_ne_u16_e32 vcc_lo, 0, v123
	v_mov_b32_e32 v60, 0
	s_and_not1_b32 s0, s0, exec_lo
	s_and_b32 s2, vcc_lo, exec_lo
	s_wait_alu 0xfffe
	s_or_b32 s0, s0, s2
	s_or_b32 exec_lo, exec_lo, s1
	s_wait_alu 0xfffe
	s_and_saveexec_b32 s1, s0
	s_cbranch_execnz .LBB7_769
	s_branch .LBB7_770
.LBB7_1793:                             ;   in Loop: Header=BB7_62 Depth=1
	s_mov_b32 s0, -1
	s_mov_b32 s2, exec_lo
	v_cmpx_eq_u16_e32 0x80, v123
; %bb.1794:                             ;   in Loop: Header=BB7_62 Depth=1
	s_xor_b32 s0, exec_lo, -1
; %bb.1795:                             ;   in Loop: Header=BB7_62 Depth=1
	s_wait_alu 0xfffe
	s_or_b32 exec_lo, exec_lo, s2
	s_delay_alu instid0(SALU_CYCLE_1)
	s_and_b32 s0, s0, exec_lo
                                        ; implicit-def: $vgpr123
	s_or_saveexec_b32 s1, s1
	v_mov_b32_e32 v105, 0x7f800001
	s_wait_alu 0xfffe
	s_xor_b32 exec_lo, exec_lo, s1
	s_cbranch_execz .LBB7_772
.LBB7_1796:                             ;   in Loop: Header=BB7_62 Depth=1
	v_cmp_ne_u16_e32 vcc_lo, 0, v123
	v_mov_b32_e32 v105, 0
	s_and_not1_b32 s0, s0, exec_lo
	s_and_b32 s2, vcc_lo, exec_lo
	s_wait_alu 0xfffe
	s_or_b32 s0, s0, s2
	s_or_b32 exec_lo, exec_lo, s1
	s_wait_alu 0xfffe
	s_and_saveexec_b32 s1, s0
	s_cbranch_execnz .LBB7_773
	s_branch .LBB7_774
.LBB7_1797:                             ;   in Loop: Header=BB7_62 Depth=1
	s_mov_b32 s0, -1
	s_mov_b32 s2, exec_lo
	v_cmpx_eq_u16_e32 0x80, v108
; %bb.1798:                             ;   in Loop: Header=BB7_62 Depth=1
	s_xor_b32 s0, exec_lo, -1
; %bb.1799:                             ;   in Loop: Header=BB7_62 Depth=1
	s_wait_alu 0xfffe
	s_or_b32 exec_lo, exec_lo, s2
	s_delay_alu instid0(SALU_CYCLE_1)
	s_and_b32 s0, s0, exec_lo
	s_or_saveexec_b32 s1, s1
	v_mov_b32_e32 v107, 0x7f800001
	s_wait_alu 0xfffe
	s_xor_b32 exec_lo, exec_lo, s1
	s_cbranch_execz .LBB7_776
.LBB7_1800:                             ;   in Loop: Header=BB7_62 Depth=1
	v_cmp_ne_u16_e32 vcc_lo, 0, v108
	v_mov_b32_e32 v107, 0
	s_and_not1_b32 s0, s0, exec_lo
	s_and_b32 s2, vcc_lo, exec_lo
	s_wait_alu 0xfffe
	s_or_b32 s0, s0, s2
	s_or_b32 exec_lo, exec_lo, s1
	s_wait_alu 0xfffe
	s_and_saveexec_b32 s1, s0
	s_cbranch_execnz .LBB7_777
	s_branch .LBB7_778
.LBB7_1801:                             ;   in Loop: Header=BB7_62 Depth=1
	s_mov_b32 s0, -1
	s_mov_b32 s2, exec_lo
	v_cmpx_eq_u16_e32 0x80, v123
; %bb.1802:                             ;   in Loop: Header=BB7_62 Depth=1
	s_xor_b32 s0, exec_lo, -1
; %bb.1803:                             ;   in Loop: Header=BB7_62 Depth=1
	s_wait_alu 0xfffe
	s_or_b32 exec_lo, exec_lo, s2
	s_delay_alu instid0(SALU_CYCLE_1)
	s_and_b32 s0, s0, exec_lo
                                        ; implicit-def: $vgpr123
	s_or_saveexec_b32 s1, s1
	v_mov_b32_e32 v108, 0x7f800001
	s_wait_alu 0xfffe
	s_xor_b32 exec_lo, exec_lo, s1
	s_cbranch_execz .LBB7_780
.LBB7_1804:                             ;   in Loop: Header=BB7_62 Depth=1
	v_cmp_ne_u16_e32 vcc_lo, 0, v123
	v_mov_b32_e32 v108, 0
	s_and_not1_b32 s0, s0, exec_lo
	s_and_b32 s2, vcc_lo, exec_lo
	s_wait_alu 0xfffe
	s_or_b32 s0, s0, s2
	s_or_b32 exec_lo, exec_lo, s1
	s_wait_alu 0xfffe
	s_and_saveexec_b32 s1, s0
	s_cbranch_execnz .LBB7_781
	s_branch .LBB7_782
.LBB7_1805:                             ;   in Loop: Header=BB7_62 Depth=1
	s_mov_b32 s0, -1
	s_mov_b32 s2, exec_lo
	v_cmpx_eq_u16_e32 0x80, v123
; %bb.1806:                             ;   in Loop: Header=BB7_62 Depth=1
	s_xor_b32 s0, exec_lo, -1
; %bb.1807:                             ;   in Loop: Header=BB7_62 Depth=1
	s_wait_alu 0xfffe
	s_or_b32 exec_lo, exec_lo, s2
	s_delay_alu instid0(SALU_CYCLE_1)
	s_and_b32 s0, s0, exec_lo
                                        ; implicit-def: $vgpr123
	s_or_saveexec_b32 s1, s1
	v_mov_b32_e32 v61, 0x7f800001
	s_wait_alu 0xfffe
	s_xor_b32 exec_lo, exec_lo, s1
	s_cbranch_execz .LBB7_784
.LBB7_1808:                             ;   in Loop: Header=BB7_62 Depth=1
	v_cmp_ne_u16_e32 vcc_lo, 0, v123
	v_mov_b32_e32 v61, 0
	s_and_not1_b32 s0, s0, exec_lo
	s_and_b32 s2, vcc_lo, exec_lo
	s_wait_alu 0xfffe
	s_or_b32 s0, s0, s2
	s_or_b32 exec_lo, exec_lo, s1
	s_wait_alu 0xfffe
	s_and_saveexec_b32 s1, s0
	s_cbranch_execnz .LBB7_785
	s_branch .LBB7_786
.LBB7_1809:                             ;   in Loop: Header=BB7_62 Depth=1
	s_mov_b32 s0, -1
	s_mov_b32 s2, exec_lo
	v_cmpx_eq_u16_e32 0x80, v123
; %bb.1810:                             ;   in Loop: Header=BB7_62 Depth=1
	s_xor_b32 s0, exec_lo, -1
; %bb.1811:                             ;   in Loop: Header=BB7_62 Depth=1
	s_wait_alu 0xfffe
	s_or_b32 exec_lo, exec_lo, s2
	s_delay_alu instid0(SALU_CYCLE_1)
	s_and_b32 s0, s0, exec_lo
                                        ; implicit-def: $vgpr123
	s_or_saveexec_b32 s1, s1
	v_mov_b32_e32 v111, 0x7f800001
	s_wait_alu 0xfffe
	s_xor_b32 exec_lo, exec_lo, s1
	s_cbranch_execz .LBB7_788
.LBB7_1812:                             ;   in Loop: Header=BB7_62 Depth=1
	v_cmp_ne_u16_e32 vcc_lo, 0, v123
	v_mov_b32_e32 v111, 0
	s_and_not1_b32 s0, s0, exec_lo
	s_and_b32 s2, vcc_lo, exec_lo
	s_wait_alu 0xfffe
	s_or_b32 s0, s0, s2
	s_or_b32 exec_lo, exec_lo, s1
	s_wait_alu 0xfffe
	s_and_saveexec_b32 s1, s0
	s_cbranch_execnz .LBB7_789
	s_branch .LBB7_790
.LBB7_1813:                             ;   in Loop: Header=BB7_62 Depth=1
	s_mov_b32 s0, -1
	s_mov_b32 s2, exec_lo
	v_cmpx_eq_u16_e32 0x80, v122
; %bb.1814:                             ;   in Loop: Header=BB7_62 Depth=1
	s_xor_b32 s0, exec_lo, -1
; %bb.1815:                             ;   in Loop: Header=BB7_62 Depth=1
	s_wait_alu 0xfffe
	s_or_b32 exec_lo, exec_lo, s2
	s_delay_alu instid0(SALU_CYCLE_1)
	s_and_b32 s0, s0, exec_lo
	s_or_saveexec_b32 s1, s1
	v_mov_b32_e32 v121, 0x7f800001
	s_wait_alu 0xfffe
	s_xor_b32 exec_lo, exec_lo, s1
	s_cbranch_execz .LBB7_792
.LBB7_1816:                             ;   in Loop: Header=BB7_62 Depth=1
	v_cmp_ne_u16_e32 vcc_lo, 0, v122
	v_mov_b32_e32 v121, 0
	s_and_not1_b32 s0, s0, exec_lo
	s_and_b32 s2, vcc_lo, exec_lo
	s_wait_alu 0xfffe
	s_or_b32 s0, s0, s2
	s_or_b32 exec_lo, exec_lo, s1
	s_wait_alu 0xfffe
	s_and_saveexec_b32 s1, s0
	s_cbranch_execnz .LBB7_793
	s_branch .LBB7_794
.LBB7_1817:                             ;   in Loop: Header=BB7_62 Depth=1
	s_mov_b32 s0, -1
	s_mov_b32 s2, exec_lo
	v_cmpx_eq_u16_e32 0x80, v123
; %bb.1818:                             ;   in Loop: Header=BB7_62 Depth=1
	s_xor_b32 s0, exec_lo, -1
; %bb.1819:                             ;   in Loop: Header=BB7_62 Depth=1
	s_wait_alu 0xfffe
	s_or_b32 exec_lo, exec_lo, s2
	s_delay_alu instid0(SALU_CYCLE_1)
	s_and_b32 s0, s0, exec_lo
                                        ; implicit-def: $vgpr123
	s_or_saveexec_b32 s1, s1
	v_mov_b32_e32 v122, 0x7f800001
	s_wait_alu 0xfffe
	s_xor_b32 exec_lo, exec_lo, s1
	s_cbranch_execz .LBB7_796
.LBB7_1820:                             ;   in Loop: Header=BB7_62 Depth=1
	v_cmp_ne_u16_e32 vcc_lo, 0, v123
	v_mov_b32_e32 v122, 0
	s_and_not1_b32 s0, s0, exec_lo
	s_and_b32 s2, vcc_lo, exec_lo
	s_wait_alu 0xfffe
	s_or_b32 s0, s0, s2
	s_or_b32 exec_lo, exec_lo, s1
	s_wait_alu 0xfffe
	s_and_saveexec_b32 s1, s0
	s_cbranch_execnz .LBB7_797
	s_branch .LBB7_798
.LBB7_1821:                             ;   in Loop: Header=BB7_62 Depth=1
	s_mov_b32 s0, -1
	s_mov_b32 s2, exec_lo
	v_cmpx_eq_u16_e32 0x80, v123
; %bb.1822:                             ;   in Loop: Header=BB7_62 Depth=1
	s_xor_b32 s0, exec_lo, -1
; %bb.1823:                             ;   in Loop: Header=BB7_62 Depth=1
	s_wait_alu 0xfffe
	s_or_b32 exec_lo, exec_lo, s2
	s_delay_alu instid0(SALU_CYCLE_1)
	s_and_b32 s0, s0, exec_lo
                                        ; implicit-def: $vgpr123
	s_or_saveexec_b32 s1, s1
	v_mov_b32_e32 v62, 0x7f800001
	s_wait_alu 0xfffe
	s_xor_b32 exec_lo, exec_lo, s1
	s_cbranch_execz .LBB7_800
.LBB7_1824:                             ;   in Loop: Header=BB7_62 Depth=1
	v_cmp_ne_u16_e32 vcc_lo, 0, v123
	v_mov_b32_e32 v62, 0
	s_and_not1_b32 s0, s0, exec_lo
	s_and_b32 s2, vcc_lo, exec_lo
	s_wait_alu 0xfffe
	s_or_b32 s0, s0, s2
	s_or_b32 exec_lo, exec_lo, s1
	s_wait_alu 0xfffe
	s_and_saveexec_b32 s1, s0
	s_cbranch_execnz .LBB7_801
	s_branch .LBB7_802
.LBB7_1825:                             ;   in Loop: Header=BB7_62 Depth=1
	s_mov_b32 s0, -1
	s_mov_b32 s2, exec_lo
	v_cmpx_eq_u16_e32 0x80, v123
; %bb.1826:                             ;   in Loop: Header=BB7_62 Depth=1
	s_xor_b32 s0, exec_lo, -1
; %bb.1827:                             ;   in Loop: Header=BB7_62 Depth=1
	s_wait_alu 0xfffe
	s_or_b32 exec_lo, exec_lo, s2
	s_delay_alu instid0(SALU_CYCLE_1)
	s_and_b32 s0, s0, exec_lo
                                        ; implicit-def: $vgpr123
	s_or_saveexec_b32 s1, s1
	v_mov_b32_e32 v120, 0x7f800001
	s_wait_alu 0xfffe
	s_xor_b32 exec_lo, exec_lo, s1
	s_cbranch_execz .LBB7_804
.LBB7_1828:                             ;   in Loop: Header=BB7_62 Depth=1
	v_cmp_ne_u16_e32 vcc_lo, 0, v123
	v_mov_b32_e32 v120, 0
	s_and_not1_b32 s0, s0, exec_lo
	s_and_b32 s2, vcc_lo, exec_lo
	s_wait_alu 0xfffe
	s_or_b32 s0, s0, s2
	s_or_b32 exec_lo, exec_lo, s1
	s_wait_alu 0xfffe
	s_and_saveexec_b32 s1, s0
	s_cbranch_execnz .LBB7_805
	s_branch .LBB7_806
.LBB7_1829:                             ;   in Loop: Header=BB7_62 Depth=1
	s_mov_b32 s0, -1
	s_mov_b32 s2, exec_lo
	v_cmpx_eq_u16_e32 0x80, v109
; %bb.1830:                             ;   in Loop: Header=BB7_62 Depth=1
	s_xor_b32 s0, exec_lo, -1
; %bb.1831:                             ;   in Loop: Header=BB7_62 Depth=1
	s_wait_alu 0xfffe
	s_or_b32 exec_lo, exec_lo, s2
	s_delay_alu instid0(SALU_CYCLE_1)
	s_and_b32 s0, s0, exec_lo
	s_or_saveexec_b32 s1, s1
	v_mov_b32_e32 v110, 0x7f800001
	s_wait_alu 0xfffe
	s_xor_b32 exec_lo, exec_lo, s1
	s_cbranch_execz .LBB7_808
.LBB7_1832:                             ;   in Loop: Header=BB7_62 Depth=1
	v_cmp_ne_u16_e32 vcc_lo, 0, v109
	v_mov_b32_e32 v110, 0
	s_and_not1_b32 s0, s0, exec_lo
	s_and_b32 s2, vcc_lo, exec_lo
	s_wait_alu 0xfffe
	s_or_b32 s0, s0, s2
	s_or_b32 exec_lo, exec_lo, s1
	s_wait_alu 0xfffe
	s_and_saveexec_b32 s1, s0
	s_cbranch_execnz .LBB7_809
	s_branch .LBB7_810
.LBB7_1833:                             ;   in Loop: Header=BB7_62 Depth=1
	s_mov_b32 s0, -1
	s_mov_b32 s2, exec_lo
	v_cmpx_eq_u16_e32 0x80, v123
; %bb.1834:                             ;   in Loop: Header=BB7_62 Depth=1
	s_xor_b32 s0, exec_lo, -1
; %bb.1835:                             ;   in Loop: Header=BB7_62 Depth=1
	s_wait_alu 0xfffe
	s_or_b32 exec_lo, exec_lo, s2
	s_delay_alu instid0(SALU_CYCLE_1)
	s_and_b32 s0, s0, exec_lo
                                        ; implicit-def: $vgpr123
	s_or_saveexec_b32 s1, s1
	v_mov_b32_e32 v109, 0x7f800001
	s_wait_alu 0xfffe
	s_xor_b32 exec_lo, exec_lo, s1
	s_cbranch_execz .LBB7_812
.LBB7_1836:                             ;   in Loop: Header=BB7_62 Depth=1
	v_cmp_ne_u16_e32 vcc_lo, 0, v123
	v_mov_b32_e32 v109, 0
	s_and_not1_b32 s0, s0, exec_lo
	s_and_b32 s2, vcc_lo, exec_lo
	s_wait_alu 0xfffe
	s_or_b32 s0, s0, s2
	s_or_b32 exec_lo, exec_lo, s1
	s_wait_alu 0xfffe
	s_and_saveexec_b32 s1, s0
	s_cbranch_execnz .LBB7_813
	s_branch .LBB7_814
.LBB7_1837:                             ;   in Loop: Header=BB7_62 Depth=1
	s_mov_b32 s0, -1
	s_mov_b32 s2, exec_lo
	v_cmpx_eq_u16_e32 0x80, v123
; %bb.1838:                             ;   in Loop: Header=BB7_62 Depth=1
	s_xor_b32 s0, exec_lo, -1
; %bb.1839:                             ;   in Loop: Header=BB7_62 Depth=1
	s_wait_alu 0xfffe
	s_or_b32 exec_lo, exec_lo, s2
	s_delay_alu instid0(SALU_CYCLE_1)
	s_and_b32 s0, s0, exec_lo
                                        ; implicit-def: $vgpr123
	s_or_saveexec_b32 s1, s1
	v_mov_b32_e32 v63, 0x7f800001
	s_wait_alu 0xfffe
	s_xor_b32 exec_lo, exec_lo, s1
	s_cbranch_execz .LBB7_816
.LBB7_1840:                             ;   in Loop: Header=BB7_62 Depth=1
	v_cmp_ne_u16_e32 vcc_lo, 0, v123
	v_mov_b32_e32 v63, 0
	s_and_not1_b32 s0, s0, exec_lo
	s_and_b32 s2, vcc_lo, exec_lo
	s_wait_alu 0xfffe
	s_or_b32 s0, s0, s2
	s_or_b32 exec_lo, exec_lo, s1
	s_wait_alu 0xfffe
	s_and_saveexec_b32 s1, s0
	s_cbranch_execnz .LBB7_817
	s_branch .LBB7_818
.LBB7_1841:                             ;   in Loop: Header=BB7_62 Depth=1
	s_mov_b32 s0, -1
	s_mov_b32 s2, exec_lo
	v_cmpx_eq_u16_e32 0x80, v123
; %bb.1842:                             ;   in Loop: Header=BB7_62 Depth=1
	s_xor_b32 s0, exec_lo, -1
; %bb.1843:                             ;   in Loop: Header=BB7_62 Depth=1
	s_wait_alu 0xfffe
	s_or_b32 exec_lo, exec_lo, s2
	s_delay_alu instid0(SALU_CYCLE_1)
	s_and_b32 s0, s0, exec_lo
                                        ; implicit-def: $vgpr123
	s_or_saveexec_b32 s1, s1
	v_mov_b32_e32 v106, 0x7f800001
	s_wait_alu 0xfffe
	s_xor_b32 exec_lo, exec_lo, s1
	s_cbranch_execz .LBB7_820
.LBB7_1844:                             ;   in Loop: Header=BB7_62 Depth=1
	v_cmp_ne_u16_e32 vcc_lo, 0, v123
	v_mov_b32_e32 v106, 0
	s_and_not1_b32 s0, s0, exec_lo
	s_and_b32 s2, vcc_lo, exec_lo
	s_wait_alu 0xfffe
	s_or_b32 s0, s0, s2
	s_or_b32 exec_lo, exec_lo, s1
	s_wait_alu 0xfffe
	s_and_saveexec_b32 s1, s0
	s_cbranch_execnz .LBB7_821
	s_branch .LBB7_822
.LBB7_1845:                             ;   in Loop: Header=BB7_62 Depth=1
	s_mov_b32 s0, -1
	s_mov_b32 s2, exec_lo
	v_cmpx_eq_u16_e32 0x80, v95
; %bb.1846:                             ;   in Loop: Header=BB7_62 Depth=1
	s_xor_b32 s0, exec_lo, -1
; %bb.1847:                             ;   in Loop: Header=BB7_62 Depth=1
	s_wait_alu 0xfffe
	s_or_b32 exec_lo, exec_lo, s2
	s_delay_alu instid0(SALU_CYCLE_1)
	s_and_b32 s0, s0, exec_lo
	s_or_saveexec_b32 s1, s1
	v_mov_b32_e32 v104, 0x7f800001
	s_wait_alu 0xfffe
	s_xor_b32 exec_lo, exec_lo, s1
	s_cbranch_execz .LBB7_824
.LBB7_1848:                             ;   in Loop: Header=BB7_62 Depth=1
	v_cmp_ne_u16_e32 vcc_lo, 0, v95
	v_mov_b32_e32 v104, 0
	s_and_not1_b32 s0, s0, exec_lo
	s_and_b32 s2, vcc_lo, exec_lo
	s_wait_alu 0xfffe
	s_or_b32 s0, s0, s2
	s_or_b32 exec_lo, exec_lo, s1
	s_wait_alu 0xfffe
	s_and_saveexec_b32 s1, s0
	s_cbranch_execnz .LBB7_825
	s_branch .LBB7_826
.LBB7_1849:                             ;   in Loop: Header=BB7_62 Depth=1
	s_mov_b32 s0, -1
	s_mov_b32 s2, exec_lo
	v_cmpx_eq_u16_e32 0x80, v95
; %bb.1850:                             ;   in Loop: Header=BB7_62 Depth=1
	s_xor_b32 s0, exec_lo, -1
; %bb.1851:                             ;   in Loop: Header=BB7_62 Depth=1
	s_wait_alu 0xfffe
	s_or_b32 exec_lo, exec_lo, s2
	s_delay_alu instid0(SALU_CYCLE_1)
	s_and_b32 s0, s0, exec_lo
                                        ; implicit-def: $vgpr95
	s_or_saveexec_b32 s1, s1
	v_mov_b32_e32 v94, 0x7f800001
	s_wait_alu 0xfffe
	s_xor_b32 exec_lo, exec_lo, s1
	s_cbranch_execz .LBB7_828
.LBB7_1852:                             ;   in Loop: Header=BB7_62 Depth=1
	v_cmp_ne_u16_e32 vcc_lo, 0, v95
	v_mov_b32_e32 v94, 0
	s_and_not1_b32 s0, s0, exec_lo
	s_and_b32 s2, vcc_lo, exec_lo
	s_wait_alu 0xfffe
	s_or_b32 s0, s0, s2
	s_or_b32 exec_lo, exec_lo, s1
	s_wait_alu 0xfffe
	s_and_saveexec_b32 s1, s0
	s_cbranch_execnz .LBB7_829
	s_branch .LBB7_830
.LBB7_1853:                             ;   in Loop: Header=BB7_62 Depth=1
	s_mov_b32 s0, -1
	s_mov_b32 s2, exec_lo
	v_cmpx_eq_u16_e32 0x80, v123
; %bb.1854:                             ;   in Loop: Header=BB7_62 Depth=1
	s_xor_b32 s0, exec_lo, -1
; %bb.1855:                             ;   in Loop: Header=BB7_62 Depth=1
	s_wait_alu 0xfffe
	s_or_b32 exec_lo, exec_lo, s2
	s_delay_alu instid0(SALU_CYCLE_1)
	s_and_b32 s0, s0, exec_lo
                                        ; implicit-def: $vgpr123
	s_or_saveexec_b32 s1, s1
	v_mov_b32_e32 v60, 0x7f800001
	s_wait_alu 0xfffe
	s_xor_b32 exec_lo, exec_lo, s1
	s_cbranch_execz .LBB7_832
.LBB7_1856:                             ;   in Loop: Header=BB7_62 Depth=1
	v_cmp_ne_u16_e32 vcc_lo, 0, v123
	v_mov_b32_e32 v60, 0
	s_and_not1_b32 s0, s0, exec_lo
	s_and_b32 s2, vcc_lo, exec_lo
	s_wait_alu 0xfffe
	s_or_b32 s0, s0, s2
	s_or_b32 exec_lo, exec_lo, s1
	s_wait_alu 0xfffe
	s_and_saveexec_b32 s1, s0
	s_cbranch_execnz .LBB7_833
	s_branch .LBB7_834
.LBB7_1857:                             ;   in Loop: Header=BB7_62 Depth=1
	s_mov_b32 s0, -1
	s_mov_b32 s2, exec_lo
	v_cmpx_eq_u16_e32 0x80, v123
; %bb.1858:                             ;   in Loop: Header=BB7_62 Depth=1
	s_xor_b32 s0, exec_lo, -1
; %bb.1859:                             ;   in Loop: Header=BB7_62 Depth=1
	s_wait_alu 0xfffe
	s_or_b32 exec_lo, exec_lo, s2
	s_delay_alu instid0(SALU_CYCLE_1)
	s_and_b32 s0, s0, exec_lo
                                        ; implicit-def: $vgpr123
	s_or_saveexec_b32 s1, s1
	v_mov_b32_e32 v105, 0x7f800001
	s_wait_alu 0xfffe
	s_xor_b32 exec_lo, exec_lo, s1
	s_cbranch_execz .LBB7_836
.LBB7_1860:                             ;   in Loop: Header=BB7_62 Depth=1
	v_cmp_ne_u16_e32 vcc_lo, 0, v123
	v_mov_b32_e32 v105, 0
	s_and_not1_b32 s0, s0, exec_lo
	s_and_b32 s2, vcc_lo, exec_lo
	s_wait_alu 0xfffe
	s_or_b32 s0, s0, s2
	s_or_b32 exec_lo, exec_lo, s1
	s_wait_alu 0xfffe
	s_and_saveexec_b32 s1, s0
	s_cbranch_execnz .LBB7_837
	s_branch .LBB7_838
.LBB7_1861:                             ;   in Loop: Header=BB7_62 Depth=1
	s_mov_b32 s0, -1
	s_mov_b32 s2, exec_lo
	v_cmpx_eq_u16_e32 0x80, v108
; %bb.1862:                             ;   in Loop: Header=BB7_62 Depth=1
	s_xor_b32 s0, exec_lo, -1
; %bb.1863:                             ;   in Loop: Header=BB7_62 Depth=1
	s_wait_alu 0xfffe
	s_or_b32 exec_lo, exec_lo, s2
	s_delay_alu instid0(SALU_CYCLE_1)
	s_and_b32 s0, s0, exec_lo
	s_or_saveexec_b32 s1, s1
	v_mov_b32_e32 v107, 0x7f800001
	s_wait_alu 0xfffe
	s_xor_b32 exec_lo, exec_lo, s1
	s_cbranch_execz .LBB7_840
.LBB7_1864:                             ;   in Loop: Header=BB7_62 Depth=1
	v_cmp_ne_u16_e32 vcc_lo, 0, v108
	v_mov_b32_e32 v107, 0
	s_and_not1_b32 s0, s0, exec_lo
	s_and_b32 s2, vcc_lo, exec_lo
	s_wait_alu 0xfffe
	s_or_b32 s0, s0, s2
	s_or_b32 exec_lo, exec_lo, s1
	s_wait_alu 0xfffe
	s_and_saveexec_b32 s1, s0
	s_cbranch_execnz .LBB7_841
	s_branch .LBB7_842
.LBB7_1865:                             ;   in Loop: Header=BB7_62 Depth=1
	s_mov_b32 s0, -1
	s_mov_b32 s2, exec_lo
	v_cmpx_eq_u16_e32 0x80, v123
; %bb.1866:                             ;   in Loop: Header=BB7_62 Depth=1
	s_xor_b32 s0, exec_lo, -1
; %bb.1867:                             ;   in Loop: Header=BB7_62 Depth=1
	s_wait_alu 0xfffe
	s_or_b32 exec_lo, exec_lo, s2
	s_delay_alu instid0(SALU_CYCLE_1)
	s_and_b32 s0, s0, exec_lo
                                        ; implicit-def: $vgpr123
	s_or_saveexec_b32 s1, s1
	v_mov_b32_e32 v108, 0x7f800001
	s_wait_alu 0xfffe
	s_xor_b32 exec_lo, exec_lo, s1
	s_cbranch_execz .LBB7_844
.LBB7_1868:                             ;   in Loop: Header=BB7_62 Depth=1
	v_cmp_ne_u16_e32 vcc_lo, 0, v123
	v_mov_b32_e32 v108, 0
	s_and_not1_b32 s0, s0, exec_lo
	s_and_b32 s2, vcc_lo, exec_lo
	s_wait_alu 0xfffe
	s_or_b32 s0, s0, s2
	s_or_b32 exec_lo, exec_lo, s1
	s_wait_alu 0xfffe
	s_and_saveexec_b32 s1, s0
	s_cbranch_execnz .LBB7_845
	s_branch .LBB7_846
.LBB7_1869:                             ;   in Loop: Header=BB7_62 Depth=1
	s_mov_b32 s0, -1
	s_mov_b32 s2, exec_lo
	v_cmpx_eq_u16_e32 0x80, v123
; %bb.1870:                             ;   in Loop: Header=BB7_62 Depth=1
	s_xor_b32 s0, exec_lo, -1
; %bb.1871:                             ;   in Loop: Header=BB7_62 Depth=1
	s_wait_alu 0xfffe
	s_or_b32 exec_lo, exec_lo, s2
	s_delay_alu instid0(SALU_CYCLE_1)
	s_and_b32 s0, s0, exec_lo
                                        ; implicit-def: $vgpr123
	s_or_saveexec_b32 s1, s1
	v_mov_b32_e32 v61, 0x7f800001
	s_wait_alu 0xfffe
	s_xor_b32 exec_lo, exec_lo, s1
	s_cbranch_execz .LBB7_848
.LBB7_1872:                             ;   in Loop: Header=BB7_62 Depth=1
	v_cmp_ne_u16_e32 vcc_lo, 0, v123
	v_mov_b32_e32 v61, 0
	s_and_not1_b32 s0, s0, exec_lo
	s_and_b32 s2, vcc_lo, exec_lo
	s_wait_alu 0xfffe
	s_or_b32 s0, s0, s2
	s_or_b32 exec_lo, exec_lo, s1
	s_wait_alu 0xfffe
	s_and_saveexec_b32 s1, s0
	s_cbranch_execnz .LBB7_849
	s_branch .LBB7_850
.LBB7_1873:                             ;   in Loop: Header=BB7_62 Depth=1
	s_mov_b32 s0, -1
	s_mov_b32 s2, exec_lo
	v_cmpx_eq_u16_e32 0x80, v123
; %bb.1874:                             ;   in Loop: Header=BB7_62 Depth=1
	s_xor_b32 s0, exec_lo, -1
; %bb.1875:                             ;   in Loop: Header=BB7_62 Depth=1
	s_wait_alu 0xfffe
	s_or_b32 exec_lo, exec_lo, s2
	s_delay_alu instid0(SALU_CYCLE_1)
	s_and_b32 s0, s0, exec_lo
                                        ; implicit-def: $vgpr123
	s_or_saveexec_b32 s1, s1
	v_mov_b32_e32 v111, 0x7f800001
	s_wait_alu 0xfffe
	s_xor_b32 exec_lo, exec_lo, s1
	s_cbranch_execz .LBB7_852
.LBB7_1876:                             ;   in Loop: Header=BB7_62 Depth=1
	v_cmp_ne_u16_e32 vcc_lo, 0, v123
	v_mov_b32_e32 v111, 0
	s_and_not1_b32 s0, s0, exec_lo
	s_and_b32 s2, vcc_lo, exec_lo
	s_wait_alu 0xfffe
	s_or_b32 s0, s0, s2
	s_or_b32 exec_lo, exec_lo, s1
	s_wait_alu 0xfffe
	s_and_saveexec_b32 s1, s0
	s_cbranch_execnz .LBB7_853
	s_branch .LBB7_854
.LBB7_1877:                             ;   in Loop: Header=BB7_62 Depth=1
	s_mov_b32 s0, -1
	s_mov_b32 s2, exec_lo
	v_cmpx_eq_u16_e32 0x80, v122
; %bb.1878:                             ;   in Loop: Header=BB7_62 Depth=1
	s_xor_b32 s0, exec_lo, -1
; %bb.1879:                             ;   in Loop: Header=BB7_62 Depth=1
	s_wait_alu 0xfffe
	s_or_b32 exec_lo, exec_lo, s2
	s_delay_alu instid0(SALU_CYCLE_1)
	s_and_b32 s0, s0, exec_lo
	s_or_saveexec_b32 s1, s1
	v_mov_b32_e32 v121, 0x7f800001
	s_wait_alu 0xfffe
	s_xor_b32 exec_lo, exec_lo, s1
	s_cbranch_execz .LBB7_856
.LBB7_1880:                             ;   in Loop: Header=BB7_62 Depth=1
	v_cmp_ne_u16_e32 vcc_lo, 0, v122
	v_mov_b32_e32 v121, 0
	s_and_not1_b32 s0, s0, exec_lo
	s_and_b32 s2, vcc_lo, exec_lo
	s_wait_alu 0xfffe
	s_or_b32 s0, s0, s2
	s_or_b32 exec_lo, exec_lo, s1
	s_wait_alu 0xfffe
	s_and_saveexec_b32 s1, s0
	s_cbranch_execnz .LBB7_857
	s_branch .LBB7_858
.LBB7_1881:                             ;   in Loop: Header=BB7_62 Depth=1
	s_mov_b32 s0, -1
	s_mov_b32 s2, exec_lo
	v_cmpx_eq_u16_e32 0x80, v123
; %bb.1882:                             ;   in Loop: Header=BB7_62 Depth=1
	s_xor_b32 s0, exec_lo, -1
; %bb.1883:                             ;   in Loop: Header=BB7_62 Depth=1
	s_wait_alu 0xfffe
	s_or_b32 exec_lo, exec_lo, s2
	s_delay_alu instid0(SALU_CYCLE_1)
	s_and_b32 s0, s0, exec_lo
                                        ; implicit-def: $vgpr123
	s_or_saveexec_b32 s1, s1
	v_mov_b32_e32 v122, 0x7f800001
	s_wait_alu 0xfffe
	s_xor_b32 exec_lo, exec_lo, s1
	s_cbranch_execz .LBB7_860
.LBB7_1884:                             ;   in Loop: Header=BB7_62 Depth=1
	v_cmp_ne_u16_e32 vcc_lo, 0, v123
	v_mov_b32_e32 v122, 0
	s_and_not1_b32 s0, s0, exec_lo
	s_and_b32 s2, vcc_lo, exec_lo
	s_wait_alu 0xfffe
	s_or_b32 s0, s0, s2
	s_or_b32 exec_lo, exec_lo, s1
	s_wait_alu 0xfffe
	s_and_saveexec_b32 s1, s0
	s_cbranch_execnz .LBB7_861
	s_branch .LBB7_862
.LBB7_1885:                             ;   in Loop: Header=BB7_62 Depth=1
	s_mov_b32 s0, -1
	s_mov_b32 s2, exec_lo
	v_cmpx_eq_u16_e32 0x80, v123
; %bb.1886:                             ;   in Loop: Header=BB7_62 Depth=1
	s_xor_b32 s0, exec_lo, -1
; %bb.1887:                             ;   in Loop: Header=BB7_62 Depth=1
	s_wait_alu 0xfffe
	s_or_b32 exec_lo, exec_lo, s2
	s_delay_alu instid0(SALU_CYCLE_1)
	s_and_b32 s0, s0, exec_lo
                                        ; implicit-def: $vgpr123
	s_or_saveexec_b32 s1, s1
	v_mov_b32_e32 v62, 0x7f800001
	s_wait_alu 0xfffe
	s_xor_b32 exec_lo, exec_lo, s1
	s_cbranch_execz .LBB7_864
.LBB7_1888:                             ;   in Loop: Header=BB7_62 Depth=1
	v_cmp_ne_u16_e32 vcc_lo, 0, v123
	v_mov_b32_e32 v62, 0
	s_and_not1_b32 s0, s0, exec_lo
	s_and_b32 s2, vcc_lo, exec_lo
	s_wait_alu 0xfffe
	s_or_b32 s0, s0, s2
	s_or_b32 exec_lo, exec_lo, s1
	s_wait_alu 0xfffe
	s_and_saveexec_b32 s1, s0
	s_cbranch_execnz .LBB7_865
	s_branch .LBB7_866
.LBB7_1889:                             ;   in Loop: Header=BB7_62 Depth=1
	s_mov_b32 s0, -1
	s_mov_b32 s2, exec_lo
	v_cmpx_eq_u16_e32 0x80, v123
; %bb.1890:                             ;   in Loop: Header=BB7_62 Depth=1
	s_xor_b32 s0, exec_lo, -1
; %bb.1891:                             ;   in Loop: Header=BB7_62 Depth=1
	s_wait_alu 0xfffe
	s_or_b32 exec_lo, exec_lo, s2
	s_delay_alu instid0(SALU_CYCLE_1)
	s_and_b32 s0, s0, exec_lo
                                        ; implicit-def: $vgpr123
	s_or_saveexec_b32 s1, s1
	v_mov_b32_e32 v120, 0x7f800001
	s_wait_alu 0xfffe
	s_xor_b32 exec_lo, exec_lo, s1
	s_cbranch_execz .LBB7_868
.LBB7_1892:                             ;   in Loop: Header=BB7_62 Depth=1
	v_cmp_ne_u16_e32 vcc_lo, 0, v123
	v_mov_b32_e32 v120, 0
	s_and_not1_b32 s0, s0, exec_lo
	s_and_b32 s2, vcc_lo, exec_lo
	s_wait_alu 0xfffe
	s_or_b32 s0, s0, s2
	s_or_b32 exec_lo, exec_lo, s1
	s_wait_alu 0xfffe
	s_and_saveexec_b32 s1, s0
	s_cbranch_execnz .LBB7_869
	s_branch .LBB7_870
.LBB7_1893:                             ;   in Loop: Header=BB7_62 Depth=1
	s_mov_b32 s0, -1
	s_mov_b32 s2, exec_lo
	v_cmpx_eq_u16_e32 0x80, v109
; %bb.1894:                             ;   in Loop: Header=BB7_62 Depth=1
	s_xor_b32 s0, exec_lo, -1
; %bb.1895:                             ;   in Loop: Header=BB7_62 Depth=1
	s_wait_alu 0xfffe
	s_or_b32 exec_lo, exec_lo, s2
	s_delay_alu instid0(SALU_CYCLE_1)
	s_and_b32 s0, s0, exec_lo
	s_or_saveexec_b32 s1, s1
	v_mov_b32_e32 v110, 0x7f800001
	s_wait_alu 0xfffe
	s_xor_b32 exec_lo, exec_lo, s1
	s_cbranch_execz .LBB7_872
.LBB7_1896:                             ;   in Loop: Header=BB7_62 Depth=1
	v_cmp_ne_u16_e32 vcc_lo, 0, v109
	v_mov_b32_e32 v110, 0
	s_and_not1_b32 s0, s0, exec_lo
	s_and_b32 s2, vcc_lo, exec_lo
	s_wait_alu 0xfffe
	s_or_b32 s0, s0, s2
	s_or_b32 exec_lo, exec_lo, s1
	s_wait_alu 0xfffe
	s_and_saveexec_b32 s1, s0
	s_cbranch_execnz .LBB7_873
	s_branch .LBB7_874
.LBB7_1897:                             ;   in Loop: Header=BB7_62 Depth=1
	s_mov_b32 s0, -1
	s_mov_b32 s2, exec_lo
	v_cmpx_eq_u16_e32 0x80, v123
; %bb.1898:                             ;   in Loop: Header=BB7_62 Depth=1
	s_xor_b32 s0, exec_lo, -1
; %bb.1899:                             ;   in Loop: Header=BB7_62 Depth=1
	s_wait_alu 0xfffe
	s_or_b32 exec_lo, exec_lo, s2
	s_delay_alu instid0(SALU_CYCLE_1)
	s_and_b32 s0, s0, exec_lo
                                        ; implicit-def: $vgpr123
	s_or_saveexec_b32 s1, s1
	v_mov_b32_e32 v109, 0x7f800001
	s_wait_alu 0xfffe
	s_xor_b32 exec_lo, exec_lo, s1
	s_cbranch_execz .LBB7_876
.LBB7_1900:                             ;   in Loop: Header=BB7_62 Depth=1
	v_cmp_ne_u16_e32 vcc_lo, 0, v123
	v_mov_b32_e32 v109, 0
	s_and_not1_b32 s0, s0, exec_lo
	s_and_b32 s2, vcc_lo, exec_lo
	s_wait_alu 0xfffe
	s_or_b32 s0, s0, s2
	s_or_b32 exec_lo, exec_lo, s1
	s_wait_alu 0xfffe
	s_and_saveexec_b32 s1, s0
	s_cbranch_execnz .LBB7_877
	s_branch .LBB7_878
.LBB7_1901:                             ;   in Loop: Header=BB7_62 Depth=1
	s_mov_b32 s0, -1
	s_mov_b32 s2, exec_lo
	v_cmpx_eq_u16_e32 0x80, v123
; %bb.1902:                             ;   in Loop: Header=BB7_62 Depth=1
	s_xor_b32 s0, exec_lo, -1
; %bb.1903:                             ;   in Loop: Header=BB7_62 Depth=1
	s_wait_alu 0xfffe
	s_or_b32 exec_lo, exec_lo, s2
	s_delay_alu instid0(SALU_CYCLE_1)
	s_and_b32 s0, s0, exec_lo
                                        ; implicit-def: $vgpr123
	s_or_saveexec_b32 s1, s1
	v_mov_b32_e32 v63, 0x7f800001
	s_wait_alu 0xfffe
	s_xor_b32 exec_lo, exec_lo, s1
	s_cbranch_execz .LBB7_880
.LBB7_1904:                             ;   in Loop: Header=BB7_62 Depth=1
	v_cmp_ne_u16_e32 vcc_lo, 0, v123
	v_mov_b32_e32 v63, 0
	s_and_not1_b32 s0, s0, exec_lo
	s_and_b32 s2, vcc_lo, exec_lo
	s_wait_alu 0xfffe
	s_or_b32 s0, s0, s2
	s_or_b32 exec_lo, exec_lo, s1
	s_wait_alu 0xfffe
	s_and_saveexec_b32 s1, s0
	s_cbranch_execnz .LBB7_881
	s_branch .LBB7_882
.LBB7_1905:                             ;   in Loop: Header=BB7_62 Depth=1
	s_mov_b32 s0, -1
	s_mov_b32 s2, exec_lo
	v_cmpx_eq_u16_e32 0x80, v123
; %bb.1906:                             ;   in Loop: Header=BB7_62 Depth=1
	s_xor_b32 s0, exec_lo, -1
; %bb.1907:                             ;   in Loop: Header=BB7_62 Depth=1
	s_wait_alu 0xfffe
	s_or_b32 exec_lo, exec_lo, s2
	s_delay_alu instid0(SALU_CYCLE_1)
	s_and_b32 s0, s0, exec_lo
                                        ; implicit-def: $vgpr123
	s_or_saveexec_b32 s1, s1
	v_mov_b32_e32 v106, 0x7f800001
	s_wait_alu 0xfffe
	s_xor_b32 exec_lo, exec_lo, s1
	s_cbranch_execz .LBB7_884
.LBB7_1908:                             ;   in Loop: Header=BB7_62 Depth=1
	v_cmp_ne_u16_e32 vcc_lo, 0, v123
	v_mov_b32_e32 v106, 0
	s_and_not1_b32 s0, s0, exec_lo
	s_and_b32 s2, vcc_lo, exec_lo
	s_wait_alu 0xfffe
	s_or_b32 s0, s0, s2
	s_or_b32 exec_lo, exec_lo, s1
	s_wait_alu 0xfffe
	s_and_saveexec_b32 s1, s0
	s_cbranch_execnz .LBB7_885
	s_branch .LBB7_886
.LBB7_1909:                             ;   in Loop: Header=BB7_62 Depth=1
	s_mov_b32 s0, -1
	s_mov_b32 s2, exec_lo
	v_cmpx_eq_u16_e32 0x80, v95
; %bb.1910:                             ;   in Loop: Header=BB7_62 Depth=1
	s_xor_b32 s0, exec_lo, -1
; %bb.1911:                             ;   in Loop: Header=BB7_62 Depth=1
	s_wait_alu 0xfffe
	s_or_b32 exec_lo, exec_lo, s2
	s_delay_alu instid0(SALU_CYCLE_1)
	s_and_b32 s0, s0, exec_lo
	s_or_saveexec_b32 s1, s1
	v_mov_b32_e32 v104, 0x7f800001
	s_wait_alu 0xfffe
	s_xor_b32 exec_lo, exec_lo, s1
	s_cbranch_execz .LBB7_888
.LBB7_1912:                             ;   in Loop: Header=BB7_62 Depth=1
	v_cmp_ne_u16_e32 vcc_lo, 0, v95
	v_mov_b32_e32 v104, 0
	s_and_not1_b32 s0, s0, exec_lo
	s_and_b32 s2, vcc_lo, exec_lo
	s_wait_alu 0xfffe
	s_or_b32 s0, s0, s2
	s_or_b32 exec_lo, exec_lo, s1
	s_wait_alu 0xfffe
	s_and_saveexec_b32 s1, s0
	s_cbranch_execnz .LBB7_889
	s_branch .LBB7_890
.LBB7_1913:                             ;   in Loop: Header=BB7_62 Depth=1
	s_mov_b32 s0, -1
	s_mov_b32 s2, exec_lo
	v_cmpx_eq_u16_e32 0x80, v95
; %bb.1914:                             ;   in Loop: Header=BB7_62 Depth=1
	s_xor_b32 s0, exec_lo, -1
; %bb.1915:                             ;   in Loop: Header=BB7_62 Depth=1
	s_wait_alu 0xfffe
	s_or_b32 exec_lo, exec_lo, s2
	s_delay_alu instid0(SALU_CYCLE_1)
	s_and_b32 s0, s0, exec_lo
                                        ; implicit-def: $vgpr95
	s_or_saveexec_b32 s1, s1
	v_mov_b32_e32 v94, 0x7f800001
	s_wait_alu 0xfffe
	s_xor_b32 exec_lo, exec_lo, s1
	s_cbranch_execz .LBB7_892
.LBB7_1916:                             ;   in Loop: Header=BB7_62 Depth=1
	v_cmp_ne_u16_e32 vcc_lo, 0, v95
	v_mov_b32_e32 v94, 0
	s_and_not1_b32 s0, s0, exec_lo
	s_and_b32 s2, vcc_lo, exec_lo
	s_wait_alu 0xfffe
	s_or_b32 s0, s0, s2
	s_or_b32 exec_lo, exec_lo, s1
	s_wait_alu 0xfffe
	s_and_saveexec_b32 s1, s0
	s_cbranch_execnz .LBB7_893
	s_branch .LBB7_894
.LBB7_1917:                             ;   in Loop: Header=BB7_62 Depth=1
	s_mov_b32 s0, -1
	s_mov_b32 s2, exec_lo
	v_cmpx_eq_u16_e32 0x80, v123
; %bb.1918:                             ;   in Loop: Header=BB7_62 Depth=1
	s_xor_b32 s0, exec_lo, -1
; %bb.1919:                             ;   in Loop: Header=BB7_62 Depth=1
	s_wait_alu 0xfffe
	s_or_b32 exec_lo, exec_lo, s2
	s_delay_alu instid0(SALU_CYCLE_1)
	s_and_b32 s0, s0, exec_lo
                                        ; implicit-def: $vgpr123
	s_or_saveexec_b32 s1, s1
	v_mov_b32_e32 v60, 0x7f800001
	s_wait_alu 0xfffe
	s_xor_b32 exec_lo, exec_lo, s1
	s_cbranch_execz .LBB7_896
.LBB7_1920:                             ;   in Loop: Header=BB7_62 Depth=1
	v_cmp_ne_u16_e32 vcc_lo, 0, v123
	v_mov_b32_e32 v60, 0
	s_and_not1_b32 s0, s0, exec_lo
	s_and_b32 s2, vcc_lo, exec_lo
	s_wait_alu 0xfffe
	s_or_b32 s0, s0, s2
	s_or_b32 exec_lo, exec_lo, s1
	s_wait_alu 0xfffe
	s_and_saveexec_b32 s1, s0
	s_cbranch_execnz .LBB7_897
	s_branch .LBB7_898
.LBB7_1921:                             ;   in Loop: Header=BB7_62 Depth=1
	s_mov_b32 s0, -1
	s_mov_b32 s2, exec_lo
	v_cmpx_eq_u16_e32 0x80, v123
; %bb.1922:                             ;   in Loop: Header=BB7_62 Depth=1
	s_xor_b32 s0, exec_lo, -1
; %bb.1923:                             ;   in Loop: Header=BB7_62 Depth=1
	s_wait_alu 0xfffe
	s_or_b32 exec_lo, exec_lo, s2
	s_delay_alu instid0(SALU_CYCLE_1)
	s_and_b32 s0, s0, exec_lo
                                        ; implicit-def: $vgpr123
	s_or_saveexec_b32 s1, s1
	v_mov_b32_e32 v105, 0x7f800001
	s_wait_alu 0xfffe
	s_xor_b32 exec_lo, exec_lo, s1
	s_cbranch_execz .LBB7_900
.LBB7_1924:                             ;   in Loop: Header=BB7_62 Depth=1
	v_cmp_ne_u16_e32 vcc_lo, 0, v123
	v_mov_b32_e32 v105, 0
	s_and_not1_b32 s0, s0, exec_lo
	s_and_b32 s2, vcc_lo, exec_lo
	s_wait_alu 0xfffe
	s_or_b32 s0, s0, s2
	s_or_b32 exec_lo, exec_lo, s1
	s_wait_alu 0xfffe
	s_and_saveexec_b32 s1, s0
	s_cbranch_execnz .LBB7_901
	s_branch .LBB7_902
.LBB7_1925:                             ;   in Loop: Header=BB7_62 Depth=1
	s_mov_b32 s0, -1
	s_mov_b32 s2, exec_lo
	v_cmpx_eq_u16_e32 0x80, v108
; %bb.1926:                             ;   in Loop: Header=BB7_62 Depth=1
	s_xor_b32 s0, exec_lo, -1
; %bb.1927:                             ;   in Loop: Header=BB7_62 Depth=1
	s_wait_alu 0xfffe
	s_or_b32 exec_lo, exec_lo, s2
	s_delay_alu instid0(SALU_CYCLE_1)
	s_and_b32 s0, s0, exec_lo
	s_or_saveexec_b32 s1, s1
	v_mov_b32_e32 v107, 0x7f800001
	s_wait_alu 0xfffe
	s_xor_b32 exec_lo, exec_lo, s1
	s_cbranch_execz .LBB7_904
.LBB7_1928:                             ;   in Loop: Header=BB7_62 Depth=1
	v_cmp_ne_u16_e32 vcc_lo, 0, v108
	v_mov_b32_e32 v107, 0
	s_and_not1_b32 s0, s0, exec_lo
	s_and_b32 s2, vcc_lo, exec_lo
	s_wait_alu 0xfffe
	s_or_b32 s0, s0, s2
	s_or_b32 exec_lo, exec_lo, s1
	s_wait_alu 0xfffe
	s_and_saveexec_b32 s1, s0
	s_cbranch_execnz .LBB7_905
	s_branch .LBB7_906
.LBB7_1929:                             ;   in Loop: Header=BB7_62 Depth=1
	s_mov_b32 s0, -1
	s_mov_b32 s2, exec_lo
	v_cmpx_eq_u16_e32 0x80, v123
; %bb.1930:                             ;   in Loop: Header=BB7_62 Depth=1
	s_xor_b32 s0, exec_lo, -1
; %bb.1931:                             ;   in Loop: Header=BB7_62 Depth=1
	s_wait_alu 0xfffe
	s_or_b32 exec_lo, exec_lo, s2
	s_delay_alu instid0(SALU_CYCLE_1)
	s_and_b32 s0, s0, exec_lo
                                        ; implicit-def: $vgpr123
	s_or_saveexec_b32 s1, s1
	v_mov_b32_e32 v108, 0x7f800001
	s_wait_alu 0xfffe
	s_xor_b32 exec_lo, exec_lo, s1
	s_cbranch_execz .LBB7_908
.LBB7_1932:                             ;   in Loop: Header=BB7_62 Depth=1
	v_cmp_ne_u16_e32 vcc_lo, 0, v123
	v_mov_b32_e32 v108, 0
	s_and_not1_b32 s0, s0, exec_lo
	s_and_b32 s2, vcc_lo, exec_lo
	s_wait_alu 0xfffe
	s_or_b32 s0, s0, s2
	s_or_b32 exec_lo, exec_lo, s1
	s_wait_alu 0xfffe
	s_and_saveexec_b32 s1, s0
	s_cbranch_execnz .LBB7_909
	s_branch .LBB7_910
.LBB7_1933:                             ;   in Loop: Header=BB7_62 Depth=1
	s_mov_b32 s0, -1
	s_mov_b32 s2, exec_lo
	v_cmpx_eq_u16_e32 0x80, v123
; %bb.1934:                             ;   in Loop: Header=BB7_62 Depth=1
	s_xor_b32 s0, exec_lo, -1
; %bb.1935:                             ;   in Loop: Header=BB7_62 Depth=1
	s_wait_alu 0xfffe
	s_or_b32 exec_lo, exec_lo, s2
	s_delay_alu instid0(SALU_CYCLE_1)
	s_and_b32 s0, s0, exec_lo
                                        ; implicit-def: $vgpr123
	s_or_saveexec_b32 s1, s1
	v_mov_b32_e32 v61, 0x7f800001
	s_wait_alu 0xfffe
	s_xor_b32 exec_lo, exec_lo, s1
	s_cbranch_execz .LBB7_912
.LBB7_1936:                             ;   in Loop: Header=BB7_62 Depth=1
	v_cmp_ne_u16_e32 vcc_lo, 0, v123
	v_mov_b32_e32 v61, 0
	s_and_not1_b32 s0, s0, exec_lo
	s_and_b32 s2, vcc_lo, exec_lo
	s_wait_alu 0xfffe
	s_or_b32 s0, s0, s2
	s_or_b32 exec_lo, exec_lo, s1
	s_wait_alu 0xfffe
	s_and_saveexec_b32 s1, s0
	s_cbranch_execnz .LBB7_913
	s_branch .LBB7_914
.LBB7_1937:                             ;   in Loop: Header=BB7_62 Depth=1
	s_mov_b32 s0, -1
	s_mov_b32 s2, exec_lo
	v_cmpx_eq_u16_e32 0x80, v123
; %bb.1938:                             ;   in Loop: Header=BB7_62 Depth=1
	s_xor_b32 s0, exec_lo, -1
; %bb.1939:                             ;   in Loop: Header=BB7_62 Depth=1
	s_wait_alu 0xfffe
	s_or_b32 exec_lo, exec_lo, s2
	s_delay_alu instid0(SALU_CYCLE_1)
	s_and_b32 s0, s0, exec_lo
                                        ; implicit-def: $vgpr123
	s_or_saveexec_b32 s1, s1
	v_mov_b32_e32 v111, 0x7f800001
	s_wait_alu 0xfffe
	s_xor_b32 exec_lo, exec_lo, s1
	s_cbranch_execz .LBB7_916
.LBB7_1940:                             ;   in Loop: Header=BB7_62 Depth=1
	v_cmp_ne_u16_e32 vcc_lo, 0, v123
	v_mov_b32_e32 v111, 0
	s_and_not1_b32 s0, s0, exec_lo
	s_and_b32 s2, vcc_lo, exec_lo
	s_wait_alu 0xfffe
	s_or_b32 s0, s0, s2
	s_or_b32 exec_lo, exec_lo, s1
	s_wait_alu 0xfffe
	s_and_saveexec_b32 s1, s0
	s_cbranch_execnz .LBB7_917
	s_branch .LBB7_918
.LBB7_1941:                             ;   in Loop: Header=BB7_62 Depth=1
	s_mov_b32 s0, -1
	s_mov_b32 s2, exec_lo
	v_cmpx_eq_u16_e32 0x80, v122
; %bb.1942:                             ;   in Loop: Header=BB7_62 Depth=1
	s_xor_b32 s0, exec_lo, -1
; %bb.1943:                             ;   in Loop: Header=BB7_62 Depth=1
	s_wait_alu 0xfffe
	s_or_b32 exec_lo, exec_lo, s2
	s_delay_alu instid0(SALU_CYCLE_1)
	s_and_b32 s0, s0, exec_lo
	s_or_saveexec_b32 s1, s1
	v_mov_b32_e32 v121, 0x7f800001
	s_wait_alu 0xfffe
	s_xor_b32 exec_lo, exec_lo, s1
	s_cbranch_execz .LBB7_920
.LBB7_1944:                             ;   in Loop: Header=BB7_62 Depth=1
	v_cmp_ne_u16_e32 vcc_lo, 0, v122
	v_mov_b32_e32 v121, 0
	s_and_not1_b32 s0, s0, exec_lo
	s_and_b32 s2, vcc_lo, exec_lo
	s_wait_alu 0xfffe
	s_or_b32 s0, s0, s2
	s_or_b32 exec_lo, exec_lo, s1
	s_wait_alu 0xfffe
	s_and_saveexec_b32 s1, s0
	s_cbranch_execnz .LBB7_921
	s_branch .LBB7_922
.LBB7_1945:                             ;   in Loop: Header=BB7_62 Depth=1
	s_mov_b32 s0, -1
	s_mov_b32 s2, exec_lo
	v_cmpx_eq_u16_e32 0x80, v123
; %bb.1946:                             ;   in Loop: Header=BB7_62 Depth=1
	s_xor_b32 s0, exec_lo, -1
; %bb.1947:                             ;   in Loop: Header=BB7_62 Depth=1
	s_wait_alu 0xfffe
	s_or_b32 exec_lo, exec_lo, s2
	s_delay_alu instid0(SALU_CYCLE_1)
	s_and_b32 s0, s0, exec_lo
                                        ; implicit-def: $vgpr123
	s_or_saveexec_b32 s1, s1
	v_mov_b32_e32 v122, 0x7f800001
	s_wait_alu 0xfffe
	s_xor_b32 exec_lo, exec_lo, s1
	s_cbranch_execz .LBB7_924
.LBB7_1948:                             ;   in Loop: Header=BB7_62 Depth=1
	v_cmp_ne_u16_e32 vcc_lo, 0, v123
	v_mov_b32_e32 v122, 0
	s_and_not1_b32 s0, s0, exec_lo
	s_and_b32 s2, vcc_lo, exec_lo
	s_wait_alu 0xfffe
	s_or_b32 s0, s0, s2
	s_or_b32 exec_lo, exec_lo, s1
	s_wait_alu 0xfffe
	s_and_saveexec_b32 s1, s0
	s_cbranch_execnz .LBB7_925
	s_branch .LBB7_926
.LBB7_1949:                             ;   in Loop: Header=BB7_62 Depth=1
	s_mov_b32 s0, -1
	s_mov_b32 s2, exec_lo
	v_cmpx_eq_u16_e32 0x80, v123
; %bb.1950:                             ;   in Loop: Header=BB7_62 Depth=1
	s_xor_b32 s0, exec_lo, -1
; %bb.1951:                             ;   in Loop: Header=BB7_62 Depth=1
	s_wait_alu 0xfffe
	s_or_b32 exec_lo, exec_lo, s2
	s_delay_alu instid0(SALU_CYCLE_1)
	s_and_b32 s0, s0, exec_lo
                                        ; implicit-def: $vgpr123
	s_or_saveexec_b32 s1, s1
	v_mov_b32_e32 v62, 0x7f800001
	s_wait_alu 0xfffe
	s_xor_b32 exec_lo, exec_lo, s1
	s_cbranch_execz .LBB7_928
.LBB7_1952:                             ;   in Loop: Header=BB7_62 Depth=1
	v_cmp_ne_u16_e32 vcc_lo, 0, v123
	v_mov_b32_e32 v62, 0
	s_and_not1_b32 s0, s0, exec_lo
	s_and_b32 s2, vcc_lo, exec_lo
	s_wait_alu 0xfffe
	s_or_b32 s0, s0, s2
	s_or_b32 exec_lo, exec_lo, s1
	s_wait_alu 0xfffe
	s_and_saveexec_b32 s1, s0
	s_cbranch_execnz .LBB7_929
	s_branch .LBB7_930
.LBB7_1953:                             ;   in Loop: Header=BB7_62 Depth=1
	s_mov_b32 s0, -1
	s_mov_b32 s2, exec_lo
	v_cmpx_eq_u16_e32 0x80, v123
; %bb.1954:                             ;   in Loop: Header=BB7_62 Depth=1
	s_xor_b32 s0, exec_lo, -1
; %bb.1955:                             ;   in Loop: Header=BB7_62 Depth=1
	s_wait_alu 0xfffe
	s_or_b32 exec_lo, exec_lo, s2
	s_delay_alu instid0(SALU_CYCLE_1)
	s_and_b32 s0, s0, exec_lo
                                        ; implicit-def: $vgpr123
	s_or_saveexec_b32 s1, s1
	v_mov_b32_e32 v120, 0x7f800001
	s_wait_alu 0xfffe
	s_xor_b32 exec_lo, exec_lo, s1
	s_cbranch_execz .LBB7_932
.LBB7_1956:                             ;   in Loop: Header=BB7_62 Depth=1
	v_cmp_ne_u16_e32 vcc_lo, 0, v123
	v_mov_b32_e32 v120, 0
	s_and_not1_b32 s0, s0, exec_lo
	s_and_b32 s2, vcc_lo, exec_lo
	s_wait_alu 0xfffe
	s_or_b32 s0, s0, s2
	s_or_b32 exec_lo, exec_lo, s1
	s_wait_alu 0xfffe
	s_and_saveexec_b32 s1, s0
	s_cbranch_execnz .LBB7_933
	s_branch .LBB7_934
.LBB7_1957:                             ;   in Loop: Header=BB7_62 Depth=1
	s_mov_b32 s0, -1
	s_mov_b32 s2, exec_lo
	v_cmpx_eq_u16_e32 0x80, v109
; %bb.1958:                             ;   in Loop: Header=BB7_62 Depth=1
	s_xor_b32 s0, exec_lo, -1
; %bb.1959:                             ;   in Loop: Header=BB7_62 Depth=1
	s_wait_alu 0xfffe
	s_or_b32 exec_lo, exec_lo, s2
	s_delay_alu instid0(SALU_CYCLE_1)
	s_and_b32 s0, s0, exec_lo
	s_or_saveexec_b32 s1, s1
	v_mov_b32_e32 v110, 0x7f800001
	s_wait_alu 0xfffe
	s_xor_b32 exec_lo, exec_lo, s1
	s_cbranch_execz .LBB7_936
.LBB7_1960:                             ;   in Loop: Header=BB7_62 Depth=1
	v_cmp_ne_u16_e32 vcc_lo, 0, v109
	v_mov_b32_e32 v110, 0
	s_and_not1_b32 s0, s0, exec_lo
	s_and_b32 s2, vcc_lo, exec_lo
	s_wait_alu 0xfffe
	s_or_b32 s0, s0, s2
	s_or_b32 exec_lo, exec_lo, s1
	s_wait_alu 0xfffe
	s_and_saveexec_b32 s1, s0
	s_cbranch_execnz .LBB7_937
	s_branch .LBB7_938
.LBB7_1961:                             ;   in Loop: Header=BB7_62 Depth=1
	s_mov_b32 s0, -1
	s_mov_b32 s2, exec_lo
	v_cmpx_eq_u16_e32 0x80, v123
; %bb.1962:                             ;   in Loop: Header=BB7_62 Depth=1
	s_xor_b32 s0, exec_lo, -1
; %bb.1963:                             ;   in Loop: Header=BB7_62 Depth=1
	s_wait_alu 0xfffe
	s_or_b32 exec_lo, exec_lo, s2
	s_delay_alu instid0(SALU_CYCLE_1)
	s_and_b32 s0, s0, exec_lo
                                        ; implicit-def: $vgpr123
	s_or_saveexec_b32 s1, s1
	v_mov_b32_e32 v109, 0x7f800001
	s_wait_alu 0xfffe
	s_xor_b32 exec_lo, exec_lo, s1
	s_cbranch_execz .LBB7_940
.LBB7_1964:                             ;   in Loop: Header=BB7_62 Depth=1
	v_cmp_ne_u16_e32 vcc_lo, 0, v123
	v_mov_b32_e32 v109, 0
	s_and_not1_b32 s0, s0, exec_lo
	s_and_b32 s2, vcc_lo, exec_lo
	s_wait_alu 0xfffe
	s_or_b32 s0, s0, s2
	s_or_b32 exec_lo, exec_lo, s1
	s_wait_alu 0xfffe
	s_and_saveexec_b32 s1, s0
	s_cbranch_execnz .LBB7_941
	s_branch .LBB7_942
.LBB7_1965:                             ;   in Loop: Header=BB7_62 Depth=1
	s_mov_b32 s0, -1
	s_mov_b32 s2, exec_lo
	v_cmpx_eq_u16_e32 0x80, v123
; %bb.1966:                             ;   in Loop: Header=BB7_62 Depth=1
	s_xor_b32 s0, exec_lo, -1
; %bb.1967:                             ;   in Loop: Header=BB7_62 Depth=1
	s_wait_alu 0xfffe
	s_or_b32 exec_lo, exec_lo, s2
	s_delay_alu instid0(SALU_CYCLE_1)
	s_and_b32 s0, s0, exec_lo
                                        ; implicit-def: $vgpr123
	s_or_saveexec_b32 s1, s1
	v_mov_b32_e32 v63, 0x7f800001
	s_wait_alu 0xfffe
	s_xor_b32 exec_lo, exec_lo, s1
	s_cbranch_execz .LBB7_944
.LBB7_1968:                             ;   in Loop: Header=BB7_62 Depth=1
	v_cmp_ne_u16_e32 vcc_lo, 0, v123
	v_mov_b32_e32 v63, 0
	s_and_not1_b32 s0, s0, exec_lo
	s_and_b32 s2, vcc_lo, exec_lo
	s_wait_alu 0xfffe
	s_or_b32 s0, s0, s2
	s_or_b32 exec_lo, exec_lo, s1
	s_wait_alu 0xfffe
	s_and_saveexec_b32 s1, s0
	s_cbranch_execnz .LBB7_945
	s_branch .LBB7_946
.LBB7_1969:                             ;   in Loop: Header=BB7_62 Depth=1
	s_mov_b32 s0, -1
	s_mov_b32 s2, exec_lo
	v_cmpx_eq_u16_e32 0x80, v123
; %bb.1970:                             ;   in Loop: Header=BB7_62 Depth=1
	s_xor_b32 s0, exec_lo, -1
; %bb.1971:                             ;   in Loop: Header=BB7_62 Depth=1
	s_wait_alu 0xfffe
	s_or_b32 exec_lo, exec_lo, s2
	s_delay_alu instid0(SALU_CYCLE_1)
	s_and_b32 s0, s0, exec_lo
                                        ; implicit-def: $vgpr123
	s_or_saveexec_b32 s1, s1
	v_mov_b32_e32 v106, 0x7f800001
	s_wait_alu 0xfffe
	s_xor_b32 exec_lo, exec_lo, s1
	s_cbranch_execz .LBB7_948
.LBB7_1972:                             ;   in Loop: Header=BB7_62 Depth=1
	v_cmp_ne_u16_e32 vcc_lo, 0, v123
	v_mov_b32_e32 v106, 0
	s_and_not1_b32 s0, s0, exec_lo
	s_and_b32 s2, vcc_lo, exec_lo
	s_wait_alu 0xfffe
	s_or_b32 s0, s0, s2
	s_or_b32 exec_lo, exec_lo, s1
	s_wait_alu 0xfffe
	s_and_saveexec_b32 s1, s0
	s_cbranch_execnz .LBB7_949
	s_branch .LBB7_950
.LBB7_1973:                             ;   in Loop: Header=BB7_62 Depth=1
	s_mov_b32 s0, -1
	s_mov_b32 s2, exec_lo
	v_cmpx_eq_u16_e32 0x80, v95
; %bb.1974:                             ;   in Loop: Header=BB7_62 Depth=1
	s_xor_b32 s0, exec_lo, -1
; %bb.1975:                             ;   in Loop: Header=BB7_62 Depth=1
	s_wait_alu 0xfffe
	s_or_b32 exec_lo, exec_lo, s2
	s_delay_alu instid0(SALU_CYCLE_1)
	s_and_b32 s0, s0, exec_lo
	s_or_saveexec_b32 s1, s1
	v_mov_b32_e32 v104, 0x7f800001
	s_wait_alu 0xfffe
	s_xor_b32 exec_lo, exec_lo, s1
	s_cbranch_execz .LBB7_952
.LBB7_1976:                             ;   in Loop: Header=BB7_62 Depth=1
	v_cmp_ne_u16_e32 vcc_lo, 0, v95
	v_mov_b32_e32 v104, 0
	s_and_not1_b32 s0, s0, exec_lo
	s_and_b32 s2, vcc_lo, exec_lo
	s_wait_alu 0xfffe
	s_or_b32 s0, s0, s2
	s_or_b32 exec_lo, exec_lo, s1
	s_wait_alu 0xfffe
	s_and_saveexec_b32 s1, s0
	s_cbranch_execnz .LBB7_953
	s_branch .LBB7_954
.LBB7_1977:                             ;   in Loop: Header=BB7_62 Depth=1
	s_mov_b32 s0, -1
	s_mov_b32 s2, exec_lo
	v_cmpx_eq_u16_e32 0x80, v94
; %bb.1978:                             ;   in Loop: Header=BB7_62 Depth=1
	s_xor_b32 s0, exec_lo, -1
; %bb.1979:                             ;   in Loop: Header=BB7_62 Depth=1
	s_wait_alu 0xfffe
	s_or_b32 exec_lo, exec_lo, s2
	s_delay_alu instid0(SALU_CYCLE_1)
	s_and_b32 s0, s0, exec_lo
                                        ; implicit-def: $vgpr94
	s_or_saveexec_b32 s1, s1
	v_mov_b32_e32 v93, 0x7f800001
	s_wait_alu 0xfffe
	s_xor_b32 exec_lo, exec_lo, s1
	s_cbranch_execz .LBB7_956
.LBB7_1980:                             ;   in Loop: Header=BB7_62 Depth=1
	v_cmp_ne_u16_e32 vcc_lo, 0, v94
	v_mov_b32_e32 v93, 0
	s_and_not1_b32 s0, s0, exec_lo
	s_and_b32 s2, vcc_lo, exec_lo
	s_wait_alu 0xfffe
	s_or_b32 s0, s0, s2
	s_or_b32 exec_lo, exec_lo, s1
	s_wait_alu 0xfffe
	s_and_saveexec_b32 s1, s0
	s_cbranch_execnz .LBB7_957
	s_branch .LBB7_958
.LBB7_1981:                             ;   in Loop: Header=BB7_62 Depth=1
	s_mov_b32 s0, -1
	s_mov_b32 s2, exec_lo
	v_cmpx_eq_u16_e32 0x80, v122
; %bb.1982:                             ;   in Loop: Header=BB7_62 Depth=1
	s_xor_b32 s0, exec_lo, -1
; %bb.1983:                             ;   in Loop: Header=BB7_62 Depth=1
	s_wait_alu 0xfffe
	s_or_b32 exec_lo, exec_lo, s2
	s_delay_alu instid0(SALU_CYCLE_1)
	s_and_b32 s0, s0, exec_lo
                                        ; implicit-def: $vgpr122
	s_or_saveexec_b32 s1, s1
	v_mov_b32_e32 v60, 0x7f800001
	s_wait_alu 0xfffe
	s_xor_b32 exec_lo, exec_lo, s1
	s_cbranch_execz .LBB7_960
.LBB7_1984:                             ;   in Loop: Header=BB7_62 Depth=1
	v_cmp_ne_u16_e32 vcc_lo, 0, v122
	v_mov_b32_e32 v60, 0
	s_and_not1_b32 s0, s0, exec_lo
	s_and_b32 s2, vcc_lo, exec_lo
	s_wait_alu 0xfffe
	s_or_b32 s0, s0, s2
	s_or_b32 exec_lo, exec_lo, s1
	s_wait_alu 0xfffe
	s_and_saveexec_b32 s1, s0
	s_cbranch_execnz .LBB7_961
	s_branch .LBB7_962
.LBB7_1985:                             ;   in Loop: Header=BB7_62 Depth=1
	s_mov_b32 s0, -1
	s_mov_b32 s2, exec_lo
	v_cmpx_eq_u16_e32 0x80, v122
; %bb.1986:                             ;   in Loop: Header=BB7_62 Depth=1
	s_xor_b32 s0, exec_lo, -1
; %bb.1987:                             ;   in Loop: Header=BB7_62 Depth=1
	s_wait_alu 0xfffe
	s_or_b32 exec_lo, exec_lo, s2
	s_delay_alu instid0(SALU_CYCLE_1)
	s_and_b32 s0, s0, exec_lo
                                        ; implicit-def: $vgpr122
	s_or_saveexec_b32 s1, s1
	v_mov_b32_e32 v104, 0x7f800001
	s_wait_alu 0xfffe
	s_xor_b32 exec_lo, exec_lo, s1
	s_cbranch_execz .LBB7_964
.LBB7_1988:                             ;   in Loop: Header=BB7_62 Depth=1
	v_cmp_ne_u16_e32 vcc_lo, 0, v122
	v_mov_b32_e32 v104, 0
	s_and_not1_b32 s0, s0, exec_lo
	s_and_b32 s2, vcc_lo, exec_lo
	s_wait_alu 0xfffe
	s_or_b32 s0, s0, s2
	s_or_b32 exec_lo, exec_lo, s1
	s_wait_alu 0xfffe
	s_and_saveexec_b32 s1, s0
	s_cbranch_execnz .LBB7_965
	s_branch .LBB7_966
.LBB7_1989:                             ;   in Loop: Header=BB7_62 Depth=1
	s_mov_b32 s0, -1
	s_mov_b32 s2, exec_lo
	v_cmpx_eq_u16_e32 0x80, v107
; %bb.1990:                             ;   in Loop: Header=BB7_62 Depth=1
	s_xor_b32 s0, exec_lo, -1
; %bb.1991:                             ;   in Loop: Header=BB7_62 Depth=1
	s_wait_alu 0xfffe
	s_or_b32 exec_lo, exec_lo, s2
	s_delay_alu instid0(SALU_CYCLE_1)
	s_and_b32 s0, s0, exec_lo
	s_or_saveexec_b32 s1, s1
	v_mov_b32_e32 v106, 0x7f800001
	s_wait_alu 0xfffe
	s_xor_b32 exec_lo, exec_lo, s1
	s_cbranch_execz .LBB7_968
.LBB7_1992:                             ;   in Loop: Header=BB7_62 Depth=1
	v_cmp_ne_u16_e32 vcc_lo, 0, v107
	v_mov_b32_e32 v106, 0
	s_and_not1_b32 s0, s0, exec_lo
	s_and_b32 s2, vcc_lo, exec_lo
	s_wait_alu 0xfffe
	s_or_b32 s0, s0, s2
	s_or_b32 exec_lo, exec_lo, s1
	s_wait_alu 0xfffe
	s_and_saveexec_b32 s1, s0
	s_cbranch_execnz .LBB7_969
	s_branch .LBB7_970
.LBB7_1993:                             ;   in Loop: Header=BB7_62 Depth=1
	s_mov_b32 s0, -1
	s_mov_b32 s2, exec_lo
	v_cmpx_eq_u16_e32 0x80, v122
; %bb.1994:                             ;   in Loop: Header=BB7_62 Depth=1
	s_xor_b32 s0, exec_lo, -1
; %bb.1995:                             ;   in Loop: Header=BB7_62 Depth=1
	s_wait_alu 0xfffe
	s_or_b32 exec_lo, exec_lo, s2
	s_delay_alu instid0(SALU_CYCLE_1)
	s_and_b32 s0, s0, exec_lo
                                        ; implicit-def: $vgpr122
	s_or_saveexec_b32 s1, s1
	v_mov_b32_e32 v107, 0x7f800001
	s_wait_alu 0xfffe
	s_xor_b32 exec_lo, exec_lo, s1
	s_cbranch_execz .LBB7_972
.LBB7_1996:                             ;   in Loop: Header=BB7_62 Depth=1
	v_cmp_ne_u16_e32 vcc_lo, 0, v122
	v_mov_b32_e32 v107, 0
	s_and_not1_b32 s0, s0, exec_lo
	s_and_b32 s2, vcc_lo, exec_lo
	s_wait_alu 0xfffe
	s_or_b32 s0, s0, s2
	s_or_b32 exec_lo, exec_lo, s1
	s_wait_alu 0xfffe
	s_and_saveexec_b32 s1, s0
	s_cbranch_execnz .LBB7_973
	s_branch .LBB7_974
.LBB7_1997:                             ;   in Loop: Header=BB7_62 Depth=1
	s_mov_b32 s0, -1
	s_mov_b32 s2, exec_lo
	v_cmpx_eq_u16_e32 0x80, v122
; %bb.1998:                             ;   in Loop: Header=BB7_62 Depth=1
	s_xor_b32 s0, exec_lo, -1
; %bb.1999:                             ;   in Loop: Header=BB7_62 Depth=1
	s_wait_alu 0xfffe
	s_or_b32 exec_lo, exec_lo, s2
	s_delay_alu instid0(SALU_CYCLE_1)
	s_and_b32 s0, s0, exec_lo
                                        ; implicit-def: $vgpr122
	s_or_saveexec_b32 s1, s1
	v_mov_b32_e32 v61, 0x7f800001
	s_wait_alu 0xfffe
	s_xor_b32 exec_lo, exec_lo, s1
	s_cbranch_execz .LBB7_976
.LBB7_2000:                             ;   in Loop: Header=BB7_62 Depth=1
	v_cmp_ne_u16_e32 vcc_lo, 0, v122
	v_mov_b32_e32 v61, 0
	s_and_not1_b32 s0, s0, exec_lo
	s_and_b32 s2, vcc_lo, exec_lo
	s_wait_alu 0xfffe
	s_or_b32 s0, s0, s2
	s_or_b32 exec_lo, exec_lo, s1
	s_wait_alu 0xfffe
	s_and_saveexec_b32 s1, s0
	s_cbranch_execnz .LBB7_977
	s_branch .LBB7_978
.LBB7_2001:                             ;   in Loop: Header=BB7_62 Depth=1
	s_mov_b32 s0, -1
	s_mov_b32 s2, exec_lo
	v_cmpx_eq_u16_e32 0x80, v122
; %bb.2002:                             ;   in Loop: Header=BB7_62 Depth=1
	s_xor_b32 s0, exec_lo, -1
; %bb.2003:                             ;   in Loop: Header=BB7_62 Depth=1
	s_wait_alu 0xfffe
	s_or_b32 exec_lo, exec_lo, s2
	s_delay_alu instid0(SALU_CYCLE_1)
	s_and_b32 s0, s0, exec_lo
                                        ; implicit-def: $vgpr122
	s_or_saveexec_b32 s1, s1
	v_mov_b32_e32 v110, 0x7f800001
	s_wait_alu 0xfffe
	s_xor_b32 exec_lo, exec_lo, s1
	s_cbranch_execz .LBB7_980
.LBB7_2004:                             ;   in Loop: Header=BB7_62 Depth=1
	v_cmp_ne_u16_e32 vcc_lo, 0, v122
	v_mov_b32_e32 v110, 0
	s_and_not1_b32 s0, s0, exec_lo
	s_and_b32 s2, vcc_lo, exec_lo
	s_wait_alu 0xfffe
	s_or_b32 s0, s0, s2
	s_or_b32 exec_lo, exec_lo, s1
	s_wait_alu 0xfffe
	s_and_saveexec_b32 s1, s0
	s_cbranch_execnz .LBB7_981
	s_branch .LBB7_982
.LBB7_2005:                             ;   in Loop: Header=BB7_62 Depth=1
	s_mov_b32 s0, -1
	s_mov_b32 s2, exec_lo
	v_cmpx_eq_u16_e32 0x80, v121
; %bb.2006:                             ;   in Loop: Header=BB7_62 Depth=1
	s_xor_b32 s0, exec_lo, -1
; %bb.2007:                             ;   in Loop: Header=BB7_62 Depth=1
	s_wait_alu 0xfffe
	s_or_b32 exec_lo, exec_lo, s2
	s_delay_alu instid0(SALU_CYCLE_1)
	s_and_b32 s0, s0, exec_lo
	s_or_saveexec_b32 s1, s1
	v_mov_b32_e32 v120, 0x7f800001
	s_wait_alu 0xfffe
	s_xor_b32 exec_lo, exec_lo, s1
	s_cbranch_execz .LBB7_984
.LBB7_2008:                             ;   in Loop: Header=BB7_62 Depth=1
	v_cmp_ne_u16_e32 vcc_lo, 0, v121
	v_mov_b32_e32 v120, 0
	s_and_not1_b32 s0, s0, exec_lo
	s_and_b32 s2, vcc_lo, exec_lo
	s_wait_alu 0xfffe
	s_or_b32 s0, s0, s2
	s_or_b32 exec_lo, exec_lo, s1
	s_wait_alu 0xfffe
	s_and_saveexec_b32 s1, s0
	s_cbranch_execnz .LBB7_985
	s_branch .LBB7_986
.LBB7_2009:                             ;   in Loop: Header=BB7_62 Depth=1
	s_mov_b32 s0, -1
	s_mov_b32 s2, exec_lo
	v_cmpx_eq_u16_e32 0x80, v122
; %bb.2010:                             ;   in Loop: Header=BB7_62 Depth=1
	s_xor_b32 s0, exec_lo, -1
; %bb.2011:                             ;   in Loop: Header=BB7_62 Depth=1
	s_wait_alu 0xfffe
	s_or_b32 exec_lo, exec_lo, s2
	s_delay_alu instid0(SALU_CYCLE_1)
	s_and_b32 s0, s0, exec_lo
                                        ; implicit-def: $vgpr122
	s_or_saveexec_b32 s1, s1
	v_mov_b32_e32 v121, 0x7f800001
	s_wait_alu 0xfffe
	s_xor_b32 exec_lo, exec_lo, s1
	s_cbranch_execz .LBB7_988
.LBB7_2012:                             ;   in Loop: Header=BB7_62 Depth=1
	v_cmp_ne_u16_e32 vcc_lo, 0, v122
	v_mov_b32_e32 v121, 0
	s_and_not1_b32 s0, s0, exec_lo
	s_and_b32 s2, vcc_lo, exec_lo
	s_wait_alu 0xfffe
	s_or_b32 s0, s0, s2
	s_or_b32 exec_lo, exec_lo, s1
	s_wait_alu 0xfffe
	s_and_saveexec_b32 s1, s0
	s_cbranch_execnz .LBB7_989
	s_branch .LBB7_990
.LBB7_2013:                             ;   in Loop: Header=BB7_62 Depth=1
	s_mov_b32 s0, -1
	s_mov_b32 s2, exec_lo
	v_cmpx_eq_u16_e32 0x80, v122
; %bb.2014:                             ;   in Loop: Header=BB7_62 Depth=1
	s_xor_b32 s0, exec_lo, -1
; %bb.2015:                             ;   in Loop: Header=BB7_62 Depth=1
	s_wait_alu 0xfffe
	s_or_b32 exec_lo, exec_lo, s2
	s_delay_alu instid0(SALU_CYCLE_1)
	s_and_b32 s0, s0, exec_lo
                                        ; implicit-def: $vgpr122
	s_or_saveexec_b32 s1, s1
	v_mov_b32_e32 v62, 0x7f800001
	s_wait_alu 0xfffe
	s_xor_b32 exec_lo, exec_lo, s1
	s_cbranch_execz .LBB7_992
.LBB7_2016:                             ;   in Loop: Header=BB7_62 Depth=1
	v_cmp_ne_u16_e32 vcc_lo, 0, v122
	v_mov_b32_e32 v62, 0
	s_and_not1_b32 s0, s0, exec_lo
	s_and_b32 s2, vcc_lo, exec_lo
	s_wait_alu 0xfffe
	s_or_b32 s0, s0, s2
	s_or_b32 exec_lo, exec_lo, s1
	s_wait_alu 0xfffe
	s_and_saveexec_b32 s1, s0
	s_cbranch_execnz .LBB7_993
	s_branch .LBB7_994
.LBB7_2017:                             ;   in Loop: Header=BB7_62 Depth=1
	s_mov_b32 s0, -1
	s_mov_b32 s2, exec_lo
	v_cmpx_eq_u16_e32 0x80, v122
; %bb.2018:                             ;   in Loop: Header=BB7_62 Depth=1
	s_xor_b32 s0, exec_lo, -1
; %bb.2019:                             ;   in Loop: Header=BB7_62 Depth=1
	s_wait_alu 0xfffe
	s_or_b32 exec_lo, exec_lo, s2
	s_delay_alu instid0(SALU_CYCLE_1)
	s_and_b32 s0, s0, exec_lo
                                        ; implicit-def: $vgpr122
	s_or_saveexec_b32 s1, s1
	v_mov_b32_e32 v111, 0x7f800001
	s_wait_alu 0xfffe
	s_xor_b32 exec_lo, exec_lo, s1
	s_cbranch_execz .LBB7_996
.LBB7_2020:                             ;   in Loop: Header=BB7_62 Depth=1
	v_cmp_ne_u16_e32 vcc_lo, 0, v122
	v_mov_b32_e32 v111, 0
	s_and_not1_b32 s0, s0, exec_lo
	s_and_b32 s2, vcc_lo, exec_lo
	s_wait_alu 0xfffe
	s_or_b32 s0, s0, s2
	s_or_b32 exec_lo, exec_lo, s1
	s_wait_alu 0xfffe
	s_and_saveexec_b32 s1, s0
	s_cbranch_execnz .LBB7_997
	s_branch .LBB7_998
.LBB7_2021:                             ;   in Loop: Header=BB7_62 Depth=1
	s_mov_b32 s0, -1
	s_mov_b32 s2, exec_lo
	v_cmpx_eq_u16_e32 0x80, v108
; %bb.2022:                             ;   in Loop: Header=BB7_62 Depth=1
	s_xor_b32 s0, exec_lo, -1
; %bb.2023:                             ;   in Loop: Header=BB7_62 Depth=1
	s_wait_alu 0xfffe
	s_or_b32 exec_lo, exec_lo, s2
	s_delay_alu instid0(SALU_CYCLE_1)
	s_and_b32 s0, s0, exec_lo
	s_or_saveexec_b32 s1, s1
	v_mov_b32_e32 v109, 0x7f800001
	s_wait_alu 0xfffe
	s_xor_b32 exec_lo, exec_lo, s1
	s_cbranch_execz .LBB7_1000
.LBB7_2024:                             ;   in Loop: Header=BB7_62 Depth=1
	v_cmp_ne_u16_e32 vcc_lo, 0, v108
	v_mov_b32_e32 v109, 0
	s_and_not1_b32 s0, s0, exec_lo
	s_and_b32 s2, vcc_lo, exec_lo
	s_wait_alu 0xfffe
	s_or_b32 s0, s0, s2
	s_or_b32 exec_lo, exec_lo, s1
	s_wait_alu 0xfffe
	s_and_saveexec_b32 s1, s0
	s_cbranch_execnz .LBB7_1001
	s_branch .LBB7_1002
.LBB7_2025:                             ;   in Loop: Header=BB7_62 Depth=1
	s_mov_b32 s0, -1
	s_mov_b32 s2, exec_lo
	v_cmpx_eq_u16_e32 0x80, v122
; %bb.2026:                             ;   in Loop: Header=BB7_62 Depth=1
	s_xor_b32 s0, exec_lo, -1
; %bb.2027:                             ;   in Loop: Header=BB7_62 Depth=1
	s_wait_alu 0xfffe
	s_or_b32 exec_lo, exec_lo, s2
	s_delay_alu instid0(SALU_CYCLE_1)
	s_and_b32 s0, s0, exec_lo
                                        ; implicit-def: $vgpr122
	s_or_saveexec_b32 s1, s1
	v_mov_b32_e32 v108, 0x7f800001
	s_wait_alu 0xfffe
	s_xor_b32 exec_lo, exec_lo, s1
	s_cbranch_execz .LBB7_1004
.LBB7_2028:                             ;   in Loop: Header=BB7_62 Depth=1
	v_cmp_ne_u16_e32 vcc_lo, 0, v122
	v_mov_b32_e32 v108, 0
	s_and_not1_b32 s0, s0, exec_lo
	s_and_b32 s2, vcc_lo, exec_lo
	s_wait_alu 0xfffe
	s_or_b32 s0, s0, s2
	s_or_b32 exec_lo, exec_lo, s1
	s_wait_alu 0xfffe
	s_and_saveexec_b32 s1, s0
	s_cbranch_execnz .LBB7_1005
	s_branch .LBB7_1006
.LBB7_2029:                             ;   in Loop: Header=BB7_62 Depth=1
	s_mov_b32 s0, -1
	s_mov_b32 s2, exec_lo
	v_cmpx_eq_u16_e32 0x80, v122
; %bb.2030:                             ;   in Loop: Header=BB7_62 Depth=1
	s_xor_b32 s0, exec_lo, -1
; %bb.2031:                             ;   in Loop: Header=BB7_62 Depth=1
	s_wait_alu 0xfffe
	s_or_b32 exec_lo, exec_lo, s2
	s_delay_alu instid0(SALU_CYCLE_1)
	s_and_b32 s0, s0, exec_lo
                                        ; implicit-def: $vgpr122
	s_or_saveexec_b32 s1, s1
	v_mov_b32_e32 v63, 0x7f800001
	s_wait_alu 0xfffe
	s_xor_b32 exec_lo, exec_lo, s1
	s_cbranch_execz .LBB7_1008
.LBB7_2032:                             ;   in Loop: Header=BB7_62 Depth=1
	v_cmp_ne_u16_e32 vcc_lo, 0, v122
	v_mov_b32_e32 v63, 0
	s_and_not1_b32 s0, s0, exec_lo
	s_and_b32 s2, vcc_lo, exec_lo
	s_wait_alu 0xfffe
	s_or_b32 s0, s0, s2
	s_or_b32 exec_lo, exec_lo, s1
	s_wait_alu 0xfffe
	s_and_saveexec_b32 s1, s0
	s_cbranch_execnz .LBB7_1009
	s_branch .LBB7_1010
.LBB7_2033:                             ;   in Loop: Header=BB7_62 Depth=1
	s_mov_b32 s0, -1
	s_mov_b32 s2, exec_lo
	v_cmpx_eq_u16_e32 0x80, v122
; %bb.2034:                             ;   in Loop: Header=BB7_62 Depth=1
	s_xor_b32 s0, exec_lo, -1
; %bb.2035:                             ;   in Loop: Header=BB7_62 Depth=1
	s_wait_alu 0xfffe
	s_or_b32 exec_lo, exec_lo, s2
	s_delay_alu instid0(SALU_CYCLE_1)
	s_and_b32 s0, s0, exec_lo
                                        ; implicit-def: $vgpr122
	s_or_saveexec_b32 s1, s1
	v_mov_b32_e32 v105, 0x7f800001
	s_wait_alu 0xfffe
	s_xor_b32 exec_lo, exec_lo, s1
	s_cbranch_execz .LBB7_1012
.LBB7_2036:                             ;   in Loop: Header=BB7_62 Depth=1
	v_cmp_ne_u16_e32 vcc_lo, 0, v122
	v_mov_b32_e32 v105, 0
	s_and_not1_b32 s0, s0, exec_lo
	s_and_b32 s2, vcc_lo, exec_lo
	s_wait_alu 0xfffe
	s_or_b32 s0, s0, s2
	s_or_b32 exec_lo, exec_lo, s1
	s_wait_alu 0xfffe
	s_and_saveexec_b32 s1, s0
	s_cbranch_execnz .LBB7_1013
	s_branch .LBB7_1014
.LBB7_2037:                             ;   in Loop: Header=BB7_62 Depth=1
	s_mov_b32 s0, -1
	s_mov_b32 s2, exec_lo
	v_cmpx_eq_u16_e32 0x80, v94
; %bb.2038:                             ;   in Loop: Header=BB7_62 Depth=1
	s_xor_b32 s0, exec_lo, -1
; %bb.2039:                             ;   in Loop: Header=BB7_62 Depth=1
	s_wait_alu 0xfffe
	s_or_b32 exec_lo, exec_lo, s2
	s_delay_alu instid0(SALU_CYCLE_1)
	s_and_b32 s0, s0, exec_lo
	s_or_saveexec_b32 s1, s1
	v_mov_b32_e32 v95, 0x7f800001
	s_wait_alu 0xfffe
	s_xor_b32 exec_lo, exec_lo, s1
	s_cbranch_execz .LBB7_1016
.LBB7_2040:                             ;   in Loop: Header=BB7_62 Depth=1
	v_cmp_ne_u16_e32 vcc_lo, 0, v94
	v_mov_b32_e32 v95, 0
	s_and_not1_b32 s0, s0, exec_lo
	s_and_b32 s2, vcc_lo, exec_lo
	s_wait_alu 0xfffe
	s_or_b32 s0, s0, s2
	s_or_b32 exec_lo, exec_lo, s1
	s_wait_alu 0xfffe
	s_and_saveexec_b32 s1, s0
	s_cbranch_execnz .LBB7_1017
	s_branch .LBB7_1018
.LBB7_2041:                             ;   in Loop: Header=BB7_62 Depth=1
	s_mov_b32 s0, -1
	s_mov_b32 s2, exec_lo
	v_cmpx_eq_u16_e32 0x80, v76
; %bb.2042:                             ;   in Loop: Header=BB7_62 Depth=1
	s_xor_b32 s0, exec_lo, -1
; %bb.2043:                             ;   in Loop: Header=BB7_62 Depth=1
	s_wait_alu 0xfffe
	s_or_b32 exec_lo, exec_lo, s2
	s_delay_alu instid0(SALU_CYCLE_1)
	s_and_b32 s0, s0, exec_lo
                                        ; implicit-def: $vgpr76
	s_or_saveexec_b32 s1, s1
	v_mov_b32_e32 v75, 0x7f800001
	s_wait_alu 0xfffe
	s_xor_b32 exec_lo, exec_lo, s1
	s_cbranch_execz .LBB7_1020
.LBB7_2044:                             ;   in Loop: Header=BB7_62 Depth=1
	v_cmp_ne_u16_e32 vcc_lo, 0, v76
	v_mov_b32_e32 v75, 0
	s_and_not1_b32 s0, s0, exec_lo
	s_and_b32 s2, vcc_lo, exec_lo
	s_wait_alu 0xfffe
	s_or_b32 s0, s0, s2
	s_or_b32 exec_lo, exec_lo, s1
	s_wait_alu 0xfffe
	s_and_saveexec_b32 s1, s0
	s_cbranch_execnz .LBB7_1021
	s_branch .LBB7_1022
.LBB7_2045:                             ;   in Loop: Header=BB7_62 Depth=1
	s_mov_b32 s0, -1
	s_mov_b32 s2, exec_lo
	v_cmpx_eq_u16_e32 0x80, v111
; %bb.2046:                             ;   in Loop: Header=BB7_62 Depth=1
	s_xor_b32 s0, exec_lo, -1
; %bb.2047:                             ;   in Loop: Header=BB7_62 Depth=1
	s_wait_alu 0xfffe
	s_or_b32 exec_lo, exec_lo, s2
	s_delay_alu instid0(SALU_CYCLE_1)
	s_and_b32 s0, s0, exec_lo
                                        ; implicit-def: $vgpr111
	s_or_saveexec_b32 s1, s1
	v_mov_b32_e32 v60, 0x7f800001
	s_wait_alu 0xfffe
	s_xor_b32 exec_lo, exec_lo, s1
	s_cbranch_execz .LBB7_1024
.LBB7_2048:                             ;   in Loop: Header=BB7_62 Depth=1
	v_cmp_ne_u16_e32 vcc_lo, 0, v111
	v_mov_b32_e32 v60, 0
	s_and_not1_b32 s0, s0, exec_lo
	s_and_b32 s2, vcc_lo, exec_lo
	s_wait_alu 0xfffe
	s_or_b32 s0, s0, s2
	s_or_b32 exec_lo, exec_lo, s1
	s_wait_alu 0xfffe
	s_and_saveexec_b32 s1, s0
	s_cbranch_execnz .LBB7_1025
	s_branch .LBB7_1026
.LBB7_2049:                             ;   in Loop: Header=BB7_62 Depth=1
	s_mov_b32 s0, -1
	s_mov_b32 s2, exec_lo
	v_cmpx_eq_u16_e32 0x80, v111
; %bb.2050:                             ;   in Loop: Header=BB7_62 Depth=1
	s_xor_b32 s0, exec_lo, -1
; %bb.2051:                             ;   in Loop: Header=BB7_62 Depth=1
	s_wait_alu 0xfffe
	s_or_b32 exec_lo, exec_lo, s2
	s_delay_alu instid0(SALU_CYCLE_1)
	s_and_b32 s0, s0, exec_lo
                                        ; implicit-def: $vgpr111
	s_or_saveexec_b32 s1, s1
	v_mov_b32_e32 v93, 0x7f800001
	s_wait_alu 0xfffe
	s_xor_b32 exec_lo, exec_lo, s1
	s_cbranch_execz .LBB7_1028
.LBB7_2052:                             ;   in Loop: Header=BB7_62 Depth=1
	v_cmp_ne_u16_e32 vcc_lo, 0, v111
	v_mov_b32_e32 v93, 0
	s_and_not1_b32 s0, s0, exec_lo
	s_and_b32 s2, vcc_lo, exec_lo
	s_wait_alu 0xfffe
	s_or_b32 s0, s0, s2
	s_or_b32 exec_lo, exec_lo, s1
	s_wait_alu 0xfffe
	s_and_saveexec_b32 s1, s0
	s_cbranch_execnz .LBB7_1029
	s_branch .LBB7_1030
.LBB7_2053:                             ;   in Loop: Header=BB7_62 Depth=1
	s_mov_b32 s0, -1
	s_mov_b32 s2, exec_lo
	v_cmpx_eq_u16_e32 0x80, v104
; %bb.2054:                             ;   in Loop: Header=BB7_62 Depth=1
	s_xor_b32 s0, exec_lo, -1
; %bb.2055:                             ;   in Loop: Header=BB7_62 Depth=1
	s_wait_alu 0xfffe
	s_or_b32 exec_lo, exec_lo, s2
	s_delay_alu instid0(SALU_CYCLE_1)
	s_and_b32 s0, s0, exec_lo
	s_or_saveexec_b32 s1, s1
	v_mov_b32_e32 v95, 0x7f800001
	s_wait_alu 0xfffe
	s_xor_b32 exec_lo, exec_lo, s1
	s_cbranch_execz .LBB7_1032
.LBB7_2056:                             ;   in Loop: Header=BB7_62 Depth=1
	v_cmp_ne_u16_e32 vcc_lo, 0, v104
	v_mov_b32_e32 v95, 0
	s_and_not1_b32 s0, s0, exec_lo
	s_and_b32 s2, vcc_lo, exec_lo
	s_wait_alu 0xfffe
	s_or_b32 s0, s0, s2
	s_or_b32 exec_lo, exec_lo, s1
	s_wait_alu 0xfffe
	s_and_saveexec_b32 s1, s0
	s_cbranch_execnz .LBB7_1033
	s_branch .LBB7_1034
.LBB7_2057:                             ;   in Loop: Header=BB7_62 Depth=1
	s_mov_b32 s0, -1
	s_mov_b32 s2, exec_lo
	v_cmpx_eq_u16_e32 0x80, v111
; %bb.2058:                             ;   in Loop: Header=BB7_62 Depth=1
	s_xor_b32 s0, exec_lo, -1
; %bb.2059:                             ;   in Loop: Header=BB7_62 Depth=1
	s_wait_alu 0xfffe
	s_or_b32 exec_lo, exec_lo, s2
	s_delay_alu instid0(SALU_CYCLE_1)
	s_and_b32 s0, s0, exec_lo
                                        ; implicit-def: $vgpr111
	s_or_saveexec_b32 s1, s1
	v_mov_b32_e32 v104, 0x7f800001
	s_wait_alu 0xfffe
	s_xor_b32 exec_lo, exec_lo, s1
	s_cbranch_execz .LBB7_1036
.LBB7_2060:                             ;   in Loop: Header=BB7_62 Depth=1
	v_cmp_ne_u16_e32 vcc_lo, 0, v111
	v_mov_b32_e32 v104, 0
	s_and_not1_b32 s0, s0, exec_lo
	s_and_b32 s2, vcc_lo, exec_lo
	s_wait_alu 0xfffe
	s_or_b32 s0, s0, s2
	s_or_b32 exec_lo, exec_lo, s1
	s_wait_alu 0xfffe
	s_and_saveexec_b32 s1, s0
	s_cbranch_execnz .LBB7_1037
	s_branch .LBB7_1038
.LBB7_2061:                             ;   in Loop: Header=BB7_62 Depth=1
	s_mov_b32 s0, -1
	s_mov_b32 s2, exec_lo
	v_cmpx_eq_u16_e32 0x80, v111
; %bb.2062:                             ;   in Loop: Header=BB7_62 Depth=1
	s_xor_b32 s0, exec_lo, -1
; %bb.2063:                             ;   in Loop: Header=BB7_62 Depth=1
	s_wait_alu 0xfffe
	s_or_b32 exec_lo, exec_lo, s2
	s_delay_alu instid0(SALU_CYCLE_1)
	s_and_b32 s0, s0, exec_lo
                                        ; implicit-def: $vgpr111
	s_or_saveexec_b32 s1, s1
	v_mov_b32_e32 v61, 0x7f800001
	s_wait_alu 0xfffe
	s_xor_b32 exec_lo, exec_lo, s1
	s_cbranch_execz .LBB7_1040
.LBB7_2064:                             ;   in Loop: Header=BB7_62 Depth=1
	v_cmp_ne_u16_e32 vcc_lo, 0, v111
	v_mov_b32_e32 v61, 0
	s_and_not1_b32 s0, s0, exec_lo
	s_and_b32 s2, vcc_lo, exec_lo
	s_wait_alu 0xfffe
	s_or_b32 s0, s0, s2
	s_or_b32 exec_lo, exec_lo, s1
	s_wait_alu 0xfffe
	s_and_saveexec_b32 s1, s0
	s_cbranch_execnz .LBB7_1041
	s_branch .LBB7_1042
.LBB7_2065:                             ;   in Loop: Header=BB7_62 Depth=1
	s_mov_b32 s0, -1
	s_mov_b32 s2, exec_lo
	v_cmpx_eq_u16_e32 0x80, v111
; %bb.2066:                             ;   in Loop: Header=BB7_62 Depth=1
	s_xor_b32 s0, exec_lo, -1
; %bb.2067:                             ;   in Loop: Header=BB7_62 Depth=1
	s_wait_alu 0xfffe
	s_or_b32 exec_lo, exec_lo, s2
	s_delay_alu instid0(SALU_CYCLE_1)
	s_and_b32 s0, s0, exec_lo
                                        ; implicit-def: $vgpr111
	s_or_saveexec_b32 s1, s1
	v_mov_b32_e32 v107, 0x7f800001
	s_wait_alu 0xfffe
	s_xor_b32 exec_lo, exec_lo, s1
	s_cbranch_execz .LBB7_1044
.LBB7_2068:                             ;   in Loop: Header=BB7_62 Depth=1
	v_cmp_ne_u16_e32 vcc_lo, 0, v111
	v_mov_b32_e32 v107, 0
	s_and_not1_b32 s0, s0, exec_lo
	s_and_b32 s2, vcc_lo, exec_lo
	s_wait_alu 0xfffe
	s_or_b32 s0, s0, s2
	s_or_b32 exec_lo, exec_lo, s1
	s_wait_alu 0xfffe
	s_and_saveexec_b32 s1, s0
	s_cbranch_execnz .LBB7_1045
	s_branch .LBB7_1046
.LBB7_2069:                             ;   in Loop: Header=BB7_62 Depth=1
	s_mov_b32 s0, -1
	s_mov_b32 s2, exec_lo
	v_cmpx_eq_u16_e32 0x80, v110
; %bb.2070:                             ;   in Loop: Header=BB7_62 Depth=1
	s_xor_b32 s0, exec_lo, -1
; %bb.2071:                             ;   in Loop: Header=BB7_62 Depth=1
	s_wait_alu 0xfffe
	s_or_b32 exec_lo, exec_lo, s2
	s_delay_alu instid0(SALU_CYCLE_1)
	s_and_b32 s0, s0, exec_lo
	s_or_saveexec_b32 s1, s1
	v_mov_b32_e32 v109, 0x7f800001
	s_wait_alu 0xfffe
	s_xor_b32 exec_lo, exec_lo, s1
	s_cbranch_execz .LBB7_1048
.LBB7_2072:                             ;   in Loop: Header=BB7_62 Depth=1
	v_cmp_ne_u16_e32 vcc_lo, 0, v110
	v_mov_b32_e32 v109, 0
	s_and_not1_b32 s0, s0, exec_lo
	s_and_b32 s2, vcc_lo, exec_lo
	s_wait_alu 0xfffe
	s_or_b32 s0, s0, s2
	s_or_b32 exec_lo, exec_lo, s1
	s_wait_alu 0xfffe
	s_and_saveexec_b32 s1, s0
	s_cbranch_execnz .LBB7_1049
	s_branch .LBB7_1050
.LBB7_2073:                             ;   in Loop: Header=BB7_62 Depth=1
	s_mov_b32 s0, -1
	s_mov_b32 s2, exec_lo
	v_cmpx_eq_u16_e32 0x80, v111
; %bb.2074:                             ;   in Loop: Header=BB7_62 Depth=1
	s_xor_b32 s0, exec_lo, -1
; %bb.2075:                             ;   in Loop: Header=BB7_62 Depth=1
	s_wait_alu 0xfffe
	s_or_b32 exec_lo, exec_lo, s2
	s_delay_alu instid0(SALU_CYCLE_1)
	s_and_b32 s0, s0, exec_lo
                                        ; implicit-def: $vgpr111
	s_or_saveexec_b32 s1, s1
	v_mov_b32_e32 v110, 0x7f800001
	s_wait_alu 0xfffe
	s_xor_b32 exec_lo, exec_lo, s1
	s_cbranch_execz .LBB7_1052
.LBB7_2076:                             ;   in Loop: Header=BB7_62 Depth=1
	v_cmp_ne_u16_e32 vcc_lo, 0, v111
	v_mov_b32_e32 v110, 0
	s_and_not1_b32 s0, s0, exec_lo
	s_and_b32 s2, vcc_lo, exec_lo
	s_wait_alu 0xfffe
	s_or_b32 s0, s0, s2
	s_or_b32 exec_lo, exec_lo, s1
	s_wait_alu 0xfffe
	s_and_saveexec_b32 s1, s0
	s_cbranch_execnz .LBB7_1053
	s_branch .LBB7_1054
.LBB7_2077:                             ;   in Loop: Header=BB7_62 Depth=1
	s_mov_b32 s0, -1
	s_mov_b32 s2, exec_lo
	v_cmpx_eq_u16_e32 0x80, v111
; %bb.2078:                             ;   in Loop: Header=BB7_62 Depth=1
	s_xor_b32 s0, exec_lo, -1
; %bb.2079:                             ;   in Loop: Header=BB7_62 Depth=1
	s_wait_alu 0xfffe
	s_or_b32 exec_lo, exec_lo, s2
	s_delay_alu instid0(SALU_CYCLE_1)
	s_and_b32 s0, s0, exec_lo
                                        ; implicit-def: $vgpr111
	s_or_saveexec_b32 s1, s1
	v_mov_b32_e32 v62, 0x7f800001
	s_wait_alu 0xfffe
	s_xor_b32 exec_lo, exec_lo, s1
	s_cbranch_execz .LBB7_1056
.LBB7_2080:                             ;   in Loop: Header=BB7_62 Depth=1
	v_cmp_ne_u16_e32 vcc_lo, 0, v111
	v_mov_b32_e32 v62, 0
	s_and_not1_b32 s0, s0, exec_lo
	s_and_b32 s2, vcc_lo, exec_lo
	s_wait_alu 0xfffe
	s_or_b32 s0, s0, s2
	s_or_b32 exec_lo, exec_lo, s1
	s_wait_alu 0xfffe
	s_and_saveexec_b32 s1, s0
	s_cbranch_execnz .LBB7_1057
	s_branch .LBB7_1058
.LBB7_2081:                             ;   in Loop: Header=BB7_62 Depth=1
	s_mov_b32 s0, -1
	s_mov_b32 s2, exec_lo
	v_cmpx_eq_u16_e32 0x80, v111
; %bb.2082:                             ;   in Loop: Header=BB7_62 Depth=1
	s_xor_b32 s0, exec_lo, -1
; %bb.2083:                             ;   in Loop: Header=BB7_62 Depth=1
	s_wait_alu 0xfffe
	s_or_b32 exec_lo, exec_lo, s2
	s_delay_alu instid0(SALU_CYCLE_1)
	s_and_b32 s0, s0, exec_lo
                                        ; implicit-def: $vgpr111
	s_or_saveexec_b32 s1, s1
	v_mov_b32_e32 v108, 0x7f800001
	s_wait_alu 0xfffe
	s_xor_b32 exec_lo, exec_lo, s1
	s_cbranch_execz .LBB7_1060
.LBB7_2084:                             ;   in Loop: Header=BB7_62 Depth=1
	v_cmp_ne_u16_e32 vcc_lo, 0, v111
	v_mov_b32_e32 v108, 0
	s_and_not1_b32 s0, s0, exec_lo
	s_and_b32 s2, vcc_lo, exec_lo
	s_wait_alu 0xfffe
	s_or_b32 s0, s0, s2
	s_or_b32 exec_lo, exec_lo, s1
	s_wait_alu 0xfffe
	s_and_saveexec_b32 s1, s0
	s_cbranch_execnz .LBB7_1061
	s_branch .LBB7_1062
.LBB7_2085:                             ;   in Loop: Header=BB7_62 Depth=1
	s_mov_b32 s0, -1
	s_mov_b32 s2, exec_lo
	v_cmpx_eq_u16_e32 0x80, v105
; %bb.2086:                             ;   in Loop: Header=BB7_62 Depth=1
	s_xor_b32 s0, exec_lo, -1
; %bb.2087:                             ;   in Loop: Header=BB7_62 Depth=1
	s_wait_alu 0xfffe
	s_or_b32 exec_lo, exec_lo, s2
	s_delay_alu instid0(SALU_CYCLE_1)
	s_and_b32 s0, s0, exec_lo
	s_or_saveexec_b32 s1, s1
	v_mov_b32_e32 v106, 0x7f800001
	s_wait_alu 0xfffe
	s_xor_b32 exec_lo, exec_lo, s1
	s_cbranch_execz .LBB7_1064
.LBB7_2088:                             ;   in Loop: Header=BB7_62 Depth=1
	v_cmp_ne_u16_e32 vcc_lo, 0, v105
	v_mov_b32_e32 v106, 0
	s_and_not1_b32 s0, s0, exec_lo
	s_and_b32 s2, vcc_lo, exec_lo
	s_wait_alu 0xfffe
	s_or_b32 s0, s0, s2
	s_or_b32 exec_lo, exec_lo, s1
	s_wait_alu 0xfffe
	s_and_saveexec_b32 s1, s0
	s_cbranch_execnz .LBB7_1065
	s_branch .LBB7_1066
.LBB7_2089:                             ;   in Loop: Header=BB7_62 Depth=1
	s_mov_b32 s0, -1
	s_mov_b32 s2, exec_lo
	v_cmpx_eq_u16_e32 0x80, v111
; %bb.2090:                             ;   in Loop: Header=BB7_62 Depth=1
	s_xor_b32 s0, exec_lo, -1
; %bb.2091:                             ;   in Loop: Header=BB7_62 Depth=1
	s_wait_alu 0xfffe
	s_or_b32 exec_lo, exec_lo, s2
	s_delay_alu instid0(SALU_CYCLE_1)
	s_and_b32 s0, s0, exec_lo
                                        ; implicit-def: $vgpr111
	s_or_saveexec_b32 s1, s1
	v_mov_b32_e32 v105, 0x7f800001
	s_wait_alu 0xfffe
	s_xor_b32 exec_lo, exec_lo, s1
	s_cbranch_execz .LBB7_1068
.LBB7_2092:                             ;   in Loop: Header=BB7_62 Depth=1
	v_cmp_ne_u16_e32 vcc_lo, 0, v111
	v_mov_b32_e32 v105, 0
	s_and_not1_b32 s0, s0, exec_lo
	s_and_b32 s2, vcc_lo, exec_lo
	s_wait_alu 0xfffe
	s_or_b32 s0, s0, s2
	s_or_b32 exec_lo, exec_lo, s1
	s_wait_alu 0xfffe
	s_and_saveexec_b32 s1, s0
	s_cbranch_execnz .LBB7_1069
	s_branch .LBB7_1070
.LBB7_2093:                             ;   in Loop: Header=BB7_62 Depth=1
	s_mov_b32 s0, -1
	s_mov_b32 s2, exec_lo
	v_cmpx_eq_u16_e32 0x80, v111
; %bb.2094:                             ;   in Loop: Header=BB7_62 Depth=1
	s_xor_b32 s0, exec_lo, -1
; %bb.2095:                             ;   in Loop: Header=BB7_62 Depth=1
	s_wait_alu 0xfffe
	s_or_b32 exec_lo, exec_lo, s2
	s_delay_alu instid0(SALU_CYCLE_1)
	s_and_b32 s0, s0, exec_lo
                                        ; implicit-def: $vgpr111
	s_or_saveexec_b32 s1, s1
	v_mov_b32_e32 v63, 0x7f800001
	s_wait_alu 0xfffe
	s_xor_b32 exec_lo, exec_lo, s1
	s_cbranch_execz .LBB7_1072
.LBB7_2096:                             ;   in Loop: Header=BB7_62 Depth=1
	v_cmp_ne_u16_e32 vcc_lo, 0, v111
	v_mov_b32_e32 v63, 0
	s_and_not1_b32 s0, s0, exec_lo
	s_and_b32 s2, vcc_lo, exec_lo
	s_wait_alu 0xfffe
	s_or_b32 s0, s0, s2
	s_or_b32 exec_lo, exec_lo, s1
	s_wait_alu 0xfffe
	s_and_saveexec_b32 s1, s0
	s_cbranch_execnz .LBB7_1073
	s_branch .LBB7_1074
.LBB7_2097:                             ;   in Loop: Header=BB7_62 Depth=1
	s_mov_b32 s0, -1
	s_mov_b32 s2, exec_lo
	v_cmpx_eq_u16_e32 0x80, v111
; %bb.2098:                             ;   in Loop: Header=BB7_62 Depth=1
	s_xor_b32 s0, exec_lo, -1
; %bb.2099:                             ;   in Loop: Header=BB7_62 Depth=1
	s_wait_alu 0xfffe
	s_or_b32 exec_lo, exec_lo, s2
	s_delay_alu instid0(SALU_CYCLE_1)
	s_and_b32 s0, s0, exec_lo
                                        ; implicit-def: $vgpr111
	s_or_saveexec_b32 s1, s1
	v_mov_b32_e32 v94, 0x7f800001
	s_wait_alu 0xfffe
	s_xor_b32 exec_lo, exec_lo, s1
	s_cbranch_execz .LBB7_1076
.LBB7_2100:                             ;   in Loop: Header=BB7_62 Depth=1
	v_cmp_ne_u16_e32 vcc_lo, 0, v111
	v_mov_b32_e32 v94, 0
	s_and_not1_b32 s0, s0, exec_lo
	s_and_b32 s2, vcc_lo, exec_lo
	s_wait_alu 0xfffe
	s_or_b32 s0, s0, s2
	s_or_b32 exec_lo, exec_lo, s1
	s_wait_alu 0xfffe
	s_and_saveexec_b32 s1, s0
	s_cbranch_execnz .LBB7_1077
	s_branch .LBB7_1078
.LBB7_2101:                             ;   in Loop: Header=BB7_62 Depth=1
	s_mov_b32 s0, -1
	s_mov_b32 s2, exec_lo
	v_cmpx_eq_u16_e32 0x80, v76
; %bb.2102:                             ;   in Loop: Header=BB7_62 Depth=1
	s_xor_b32 s0, exec_lo, -1
; %bb.2103:                             ;   in Loop: Header=BB7_62 Depth=1
	s_wait_alu 0xfffe
	s_or_b32 exec_lo, exec_lo, s2
	s_delay_alu instid0(SALU_CYCLE_1)
	s_and_b32 s0, s0, exec_lo
	s_or_saveexec_b32 s1, s1
	v_mov_b32_e32 v88, 0x7f800001
	s_wait_alu 0xfffe
	s_xor_b32 exec_lo, exec_lo, s1
	s_cbranch_execz .LBB7_1080
.LBB7_2104:                             ;   in Loop: Header=BB7_62 Depth=1
	v_cmp_ne_u16_e32 vcc_lo, 0, v76
	v_mov_b32_e32 v88, 0
	s_and_not1_b32 s0, s0, exec_lo
	s_and_b32 s2, vcc_lo, exec_lo
	s_wait_alu 0xfffe
	s_or_b32 s0, s0, s2
	s_or_b32 exec_lo, exec_lo, s1
	s_wait_alu 0xfffe
	s_and_saveexec_b32 s1, s0
	s_cbranch_execnz .LBB7_1081
	s_branch .LBB7_1082
.LBB7_2105:                             ;   in Loop: Header=BB7_62 Depth=1
	s_mov_b32 s0, -1
	s_mov_b32 s2, exec_lo
	v_cmpx_eq_u16_e32 0x80, v76
; %bb.2106:                             ;   in Loop: Header=BB7_62 Depth=1
	s_xor_b32 s0, exec_lo, -1
; %bb.2107:                             ;   in Loop: Header=BB7_62 Depth=1
	s_wait_alu 0xfffe
	s_or_b32 exec_lo, exec_lo, s2
	s_delay_alu instid0(SALU_CYCLE_1)
	s_and_b32 s0, s0, exec_lo
                                        ; implicit-def: $vgpr76
	s_or_saveexec_b32 s1, s1
	v_mov_b32_e32 v75, 0x7f800001
	s_wait_alu 0xfffe
	s_xor_b32 exec_lo, exec_lo, s1
	s_cbranch_execz .LBB7_1084
.LBB7_2108:                             ;   in Loop: Header=BB7_62 Depth=1
	v_cmp_ne_u16_e32 vcc_lo, 0, v76
	v_mov_b32_e32 v75, 0
	s_and_not1_b32 s0, s0, exec_lo
	s_and_b32 s2, vcc_lo, exec_lo
	s_wait_alu 0xfffe
	s_or_b32 s0, s0, s2
	s_or_b32 exec_lo, exec_lo, s1
	s_wait_alu 0xfffe
	s_and_saveexec_b32 s1, s0
	s_cbranch_execnz .LBB7_1085
	s_branch .LBB7_1086
.LBB7_2109:                             ;   in Loop: Header=BB7_62 Depth=1
	s_mov_b32 s0, -1
	s_mov_b32 s2, exec_lo
	v_cmpx_eq_u16_e32 0x80, v106
; %bb.2110:                             ;   in Loop: Header=BB7_62 Depth=1
	s_xor_b32 s0, exec_lo, -1
; %bb.2111:                             ;   in Loop: Header=BB7_62 Depth=1
	s_wait_alu 0xfffe
	s_or_b32 exec_lo, exec_lo, s2
	s_delay_alu instid0(SALU_CYCLE_1)
	s_and_b32 s0, s0, exec_lo
                                        ; implicit-def: $vgpr106
	s_or_saveexec_b32 s1, s1
	v_mov_b32_e32 v60, 0x7f800001
	s_wait_alu 0xfffe
	s_xor_b32 exec_lo, exec_lo, s1
	s_cbranch_execz .LBB7_1088
.LBB7_2112:                             ;   in Loop: Header=BB7_62 Depth=1
	v_cmp_ne_u16_e32 vcc_lo, 0, v106
	v_mov_b32_e32 v60, 0
	s_and_not1_b32 s0, s0, exec_lo
	s_and_b32 s2, vcc_lo, exec_lo
	s_wait_alu 0xfffe
	s_or_b32 s0, s0, s2
	s_or_b32 exec_lo, exec_lo, s1
	s_wait_alu 0xfffe
	s_and_saveexec_b32 s1, s0
	s_cbranch_execnz .LBB7_1089
	s_branch .LBB7_1090
.LBB7_2113:                             ;   in Loop: Header=BB7_62 Depth=1
	s_mov_b32 s0, -1
	s_mov_b32 s2, exec_lo
	v_cmpx_eq_u16_e32 0x80, v106
; %bb.2114:                             ;   in Loop: Header=BB7_62 Depth=1
	s_xor_b32 s0, exec_lo, -1
; %bb.2115:                             ;   in Loop: Header=BB7_62 Depth=1
	s_wait_alu 0xfffe
	s_or_b32 exec_lo, exec_lo, s2
	s_delay_alu instid0(SALU_CYCLE_1)
	s_and_b32 s0, s0, exec_lo
                                        ; implicit-def: $vgpr106
	s_or_saveexec_b32 s1, s1
	v_mov_b32_e32 v78, 0x7f800001
	s_wait_alu 0xfffe
	s_xor_b32 exec_lo, exec_lo, s1
	s_cbranch_execz .LBB7_1092
.LBB7_2116:                             ;   in Loop: Header=BB7_62 Depth=1
	v_cmp_ne_u16_e32 vcc_lo, 0, v106
	v_mov_b32_e32 v78, 0
	s_and_not1_b32 s0, s0, exec_lo
	s_and_b32 s2, vcc_lo, exec_lo
	s_wait_alu 0xfffe
	s_or_b32 s0, s0, s2
	s_or_b32 exec_lo, exec_lo, s1
	s_wait_alu 0xfffe
	s_and_saveexec_b32 s1, s0
	s_cbranch_execnz .LBB7_1093
	s_branch .LBB7_1094
.LBB7_2117:                             ;   in Loop: Header=BB7_62 Depth=1
	s_mov_b32 s0, -1
	s_mov_b32 s2, exec_lo
	v_cmpx_eq_u16_e32 0x80, v91
; %bb.2118:                             ;   in Loop: Header=BB7_62 Depth=1
	s_xor_b32 s0, exec_lo, -1
; %bb.2119:                             ;   in Loop: Header=BB7_62 Depth=1
	s_wait_alu 0xfffe
	s_or_b32 exec_lo, exec_lo, s2
	s_delay_alu instid0(SALU_CYCLE_1)
	s_and_b32 s0, s0, exec_lo
	s_or_saveexec_b32 s1, s1
	v_mov_b32_e32 v89, 0x7f800001
	s_wait_alu 0xfffe
	s_xor_b32 exec_lo, exec_lo, s1
	s_cbranch_execz .LBB7_1096
.LBB7_2120:                             ;   in Loop: Header=BB7_62 Depth=1
	v_cmp_ne_u16_e32 vcc_lo, 0, v91
	v_mov_b32_e32 v89, 0
	s_and_not1_b32 s0, s0, exec_lo
	s_and_b32 s2, vcc_lo, exec_lo
	s_wait_alu 0xfffe
	s_or_b32 s0, s0, s2
	s_or_b32 exec_lo, exec_lo, s1
	s_wait_alu 0xfffe
	s_and_saveexec_b32 s1, s0
	s_cbranch_execnz .LBB7_1097
	s_branch .LBB7_1098
.LBB7_2121:                             ;   in Loop: Header=BB7_62 Depth=1
	s_mov_b32 s0, -1
	s_mov_b32 s2, exec_lo
	v_cmpx_eq_u16_e32 0x80, v106
; %bb.2122:                             ;   in Loop: Header=BB7_62 Depth=1
	s_xor_b32 s0, exec_lo, -1
; %bb.2123:                             ;   in Loop: Header=BB7_62 Depth=1
	s_wait_alu 0xfffe
	s_or_b32 exec_lo, exec_lo, s2
	s_delay_alu instid0(SALU_CYCLE_1)
	s_and_b32 s0, s0, exec_lo
                                        ; implicit-def: $vgpr106
	s_or_saveexec_b32 s1, s1
	v_mov_b32_e32 v91, 0x7f800001
	s_wait_alu 0xfffe
	s_xor_b32 exec_lo, exec_lo, s1
	s_cbranch_execz .LBB7_1100
.LBB7_2124:                             ;   in Loop: Header=BB7_62 Depth=1
	v_cmp_ne_u16_e32 vcc_lo, 0, v106
	v_mov_b32_e32 v91, 0
	s_and_not1_b32 s0, s0, exec_lo
	s_and_b32 s2, vcc_lo, exec_lo
	s_wait_alu 0xfffe
	s_or_b32 s0, s0, s2
	s_or_b32 exec_lo, exec_lo, s1
	s_wait_alu 0xfffe
	s_and_saveexec_b32 s1, s0
	s_cbranch_execnz .LBB7_1101
	s_branch .LBB7_1102
.LBB7_2125:                             ;   in Loop: Header=BB7_62 Depth=1
	s_mov_b32 s0, -1
	s_mov_b32 s2, exec_lo
	v_cmpx_eq_u16_e32 0x80, v106
; %bb.2126:                             ;   in Loop: Header=BB7_62 Depth=1
	s_xor_b32 s0, exec_lo, -1
; %bb.2127:                             ;   in Loop: Header=BB7_62 Depth=1
	s_wait_alu 0xfffe
	s_or_b32 exec_lo, exec_lo, s2
	s_delay_alu instid0(SALU_CYCLE_1)
	s_and_b32 s0, s0, exec_lo
                                        ; implicit-def: $vgpr106
	s_or_saveexec_b32 s1, s1
	v_mov_b32_e32 v61, 0x7f800001
	s_wait_alu 0xfffe
	s_xor_b32 exec_lo, exec_lo, s1
	s_cbranch_execz .LBB7_1104
.LBB7_2128:                             ;   in Loop: Header=BB7_62 Depth=1
	v_cmp_ne_u16_e32 vcc_lo, 0, v106
	v_mov_b32_e32 v61, 0
	s_and_not1_b32 s0, s0, exec_lo
	s_and_b32 s2, vcc_lo, exec_lo
	s_wait_alu 0xfffe
	s_or_b32 s0, s0, s2
	s_or_b32 exec_lo, exec_lo, s1
	s_wait_alu 0xfffe
	s_and_saveexec_b32 s1, s0
	s_cbranch_execnz .LBB7_1105
	s_branch .LBB7_1106
.LBB7_2129:                             ;   in Loop: Header=BB7_62 Depth=1
	s_mov_b32 s0, -1
	s_mov_b32 s2, exec_lo
	v_cmpx_eq_u16_e32 0x80, v106
; %bb.2130:                             ;   in Loop: Header=BB7_62 Depth=1
	s_xor_b32 s0, exec_lo, -1
; %bb.2131:                             ;   in Loop: Header=BB7_62 Depth=1
	s_wait_alu 0xfffe
	s_or_b32 exec_lo, exec_lo, s2
	s_delay_alu instid0(SALU_CYCLE_1)
	s_and_b32 s0, s0, exec_lo
                                        ; implicit-def: $vgpr106
	s_or_saveexec_b32 s1, s1
	v_mov_b32_e32 v94, 0x7f800001
	s_wait_alu 0xfffe
	s_xor_b32 exec_lo, exec_lo, s1
	s_cbranch_execz .LBB7_1108
.LBB7_2132:                             ;   in Loop: Header=BB7_62 Depth=1
	v_cmp_ne_u16_e32 vcc_lo, 0, v106
	v_mov_b32_e32 v94, 0
	s_and_not1_b32 s0, s0, exec_lo
	s_and_b32 s2, vcc_lo, exec_lo
	s_wait_alu 0xfffe
	s_or_b32 s0, s0, s2
	s_or_b32 exec_lo, exec_lo, s1
	s_wait_alu 0xfffe
	s_and_saveexec_b32 s1, s0
	s_cbranch_execnz .LBB7_1109
	s_branch .LBB7_1110
.LBB7_2133:                             ;   in Loop: Header=BB7_62 Depth=1
	s_mov_b32 s0, -1
	s_mov_b32 s2, exec_lo
	v_cmpx_eq_u16_e32 0x80, v105
; %bb.2134:                             ;   in Loop: Header=BB7_62 Depth=1
	s_xor_b32 s0, exec_lo, -1
; %bb.2135:                             ;   in Loop: Header=BB7_62 Depth=1
	s_wait_alu 0xfffe
	s_or_b32 exec_lo, exec_lo, s2
	s_delay_alu instid0(SALU_CYCLE_1)
	s_and_b32 s0, s0, exec_lo
	s_or_saveexec_b32 s1, s1
	v_mov_b32_e32 v104, 0x7f800001
	s_wait_alu 0xfffe
	s_xor_b32 exec_lo, exec_lo, s1
	s_cbranch_execz .LBB7_1112
.LBB7_2136:                             ;   in Loop: Header=BB7_62 Depth=1
	v_cmp_ne_u16_e32 vcc_lo, 0, v105
	v_mov_b32_e32 v104, 0
	s_and_not1_b32 s0, s0, exec_lo
	s_and_b32 s2, vcc_lo, exec_lo
	s_wait_alu 0xfffe
	s_or_b32 s0, s0, s2
	s_or_b32 exec_lo, exec_lo, s1
	s_wait_alu 0xfffe
	s_and_saveexec_b32 s1, s0
	s_cbranch_execnz .LBB7_1113
	s_branch .LBB7_1114
.LBB7_2137:                             ;   in Loop: Header=BB7_62 Depth=1
	s_mov_b32 s0, -1
	s_mov_b32 s2, exec_lo
	v_cmpx_eq_u16_e32 0x80, v106
; %bb.2138:                             ;   in Loop: Header=BB7_62 Depth=1
	s_xor_b32 s0, exec_lo, -1
; %bb.2139:                             ;   in Loop: Header=BB7_62 Depth=1
	s_wait_alu 0xfffe
	s_or_b32 exec_lo, exec_lo, s2
	s_delay_alu instid0(SALU_CYCLE_1)
	s_and_b32 s0, s0, exec_lo
                                        ; implicit-def: $vgpr106
	s_or_saveexec_b32 s1, s1
	v_mov_b32_e32 v105, 0x7f800001
	s_wait_alu 0xfffe
	s_xor_b32 exec_lo, exec_lo, s1
	s_cbranch_execz .LBB7_1116
.LBB7_2140:                             ;   in Loop: Header=BB7_62 Depth=1
	v_cmp_ne_u16_e32 vcc_lo, 0, v106
	v_mov_b32_e32 v105, 0
	s_and_not1_b32 s0, s0, exec_lo
	s_and_b32 s2, vcc_lo, exec_lo
	s_wait_alu 0xfffe
	s_or_b32 s0, s0, s2
	s_or_b32 exec_lo, exec_lo, s1
	s_wait_alu 0xfffe
	s_and_saveexec_b32 s1, s0
	s_cbranch_execnz .LBB7_1117
	s_branch .LBB7_1118
.LBB7_2141:                             ;   in Loop: Header=BB7_62 Depth=1
	s_mov_b32 s0, -1
	s_mov_b32 s2, exec_lo
	v_cmpx_eq_u16_e32 0x80, v106
; %bb.2142:                             ;   in Loop: Header=BB7_62 Depth=1
	s_xor_b32 s0, exec_lo, -1
; %bb.2143:                             ;   in Loop: Header=BB7_62 Depth=1
	s_wait_alu 0xfffe
	s_or_b32 exec_lo, exec_lo, s2
	s_delay_alu instid0(SALU_CYCLE_1)
	s_and_b32 s0, s0, exec_lo
                                        ; implicit-def: $vgpr106
	s_or_saveexec_b32 s1, s1
	v_mov_b32_e32 v62, 0x7f800001
	s_wait_alu 0xfffe
	s_xor_b32 exec_lo, exec_lo, s1
	s_cbranch_execz .LBB7_1120
.LBB7_2144:                             ;   in Loop: Header=BB7_62 Depth=1
	v_cmp_ne_u16_e32 vcc_lo, 0, v106
	v_mov_b32_e32 v62, 0
	s_and_not1_b32 s0, s0, exec_lo
	s_and_b32 s2, vcc_lo, exec_lo
	s_wait_alu 0xfffe
	s_or_b32 s0, s0, s2
	s_or_b32 exec_lo, exec_lo, s1
	s_wait_alu 0xfffe
	s_and_saveexec_b32 s1, s0
	s_cbranch_execnz .LBB7_1121
	s_branch .LBB7_1122
.LBB7_2145:                             ;   in Loop: Header=BB7_62 Depth=1
	s_mov_b32 s0, -1
	s_mov_b32 s2, exec_lo
	v_cmpx_eq_u16_e32 0x80, v106
; %bb.2146:                             ;   in Loop: Header=BB7_62 Depth=1
	s_xor_b32 s0, exec_lo, -1
; %bb.2147:                             ;   in Loop: Header=BB7_62 Depth=1
	s_wait_alu 0xfffe
	s_or_b32 exec_lo, exec_lo, s2
	s_delay_alu instid0(SALU_CYCLE_1)
	s_and_b32 s0, s0, exec_lo
                                        ; implicit-def: $vgpr106
	s_or_saveexec_b32 s1, s1
	v_mov_b32_e32 v95, 0x7f800001
	s_wait_alu 0xfffe
	s_xor_b32 exec_lo, exec_lo, s1
	s_cbranch_execz .LBB7_1124
.LBB7_2148:                             ;   in Loop: Header=BB7_62 Depth=1
	v_cmp_ne_u16_e32 vcc_lo, 0, v106
	v_mov_b32_e32 v95, 0
	s_and_not1_b32 s0, s0, exec_lo
	s_and_b32 s2, vcc_lo, exec_lo
	s_wait_alu 0xfffe
	s_or_b32 s0, s0, s2
	s_or_b32 exec_lo, exec_lo, s1
	s_wait_alu 0xfffe
	s_and_saveexec_b32 s1, s0
	s_cbranch_execnz .LBB7_1125
	s_branch .LBB7_1126
.LBB7_2149:                             ;   in Loop: Header=BB7_62 Depth=1
	s_mov_b32 s0, -1
	s_mov_b32 s2, exec_lo
	v_cmpx_eq_u16_e32 0x80, v92
; %bb.2150:                             ;   in Loop: Header=BB7_62 Depth=1
	s_xor_b32 s0, exec_lo, -1
; %bb.2151:                             ;   in Loop: Header=BB7_62 Depth=1
	s_wait_alu 0xfffe
	s_or_b32 exec_lo, exec_lo, s2
	s_delay_alu instid0(SALU_CYCLE_1)
	s_and_b32 s0, s0, exec_lo
	s_or_saveexec_b32 s1, s1
	v_mov_b32_e32 v93, 0x7f800001
	s_wait_alu 0xfffe
	s_xor_b32 exec_lo, exec_lo, s1
	s_cbranch_execz .LBB7_1128
.LBB7_2152:                             ;   in Loop: Header=BB7_62 Depth=1
	v_cmp_ne_u16_e32 vcc_lo, 0, v92
	v_mov_b32_e32 v93, 0
	s_and_not1_b32 s0, s0, exec_lo
	s_and_b32 s2, vcc_lo, exec_lo
	s_wait_alu 0xfffe
	s_or_b32 s0, s0, s2
	s_or_b32 exec_lo, exec_lo, s1
	s_wait_alu 0xfffe
	s_and_saveexec_b32 s1, s0
	s_cbranch_execnz .LBB7_1129
	s_branch .LBB7_1130
.LBB7_2153:                             ;   in Loop: Header=BB7_62 Depth=1
	s_mov_b32 s0, -1
	s_mov_b32 s2, exec_lo
	v_cmpx_eq_u16_e32 0x80, v106
; %bb.2154:                             ;   in Loop: Header=BB7_62 Depth=1
	s_xor_b32 s0, exec_lo, -1
; %bb.2155:                             ;   in Loop: Header=BB7_62 Depth=1
	s_wait_alu 0xfffe
	s_or_b32 exec_lo, exec_lo, s2
	s_delay_alu instid0(SALU_CYCLE_1)
	s_and_b32 s0, s0, exec_lo
                                        ; implicit-def: $vgpr106
	s_or_saveexec_b32 s1, s1
	v_mov_b32_e32 v92, 0x7f800001
	s_wait_alu 0xfffe
	s_xor_b32 exec_lo, exec_lo, s1
	s_cbranch_execz .LBB7_1132
.LBB7_2156:                             ;   in Loop: Header=BB7_62 Depth=1
	v_cmp_ne_u16_e32 vcc_lo, 0, v106
	v_mov_b32_e32 v92, 0
	s_and_not1_b32 s0, s0, exec_lo
	s_and_b32 s2, vcc_lo, exec_lo
	s_wait_alu 0xfffe
	s_or_b32 s0, s0, s2
	s_or_b32 exec_lo, exec_lo, s1
	s_wait_alu 0xfffe
	s_and_saveexec_b32 s1, s0
	s_cbranch_execnz .LBB7_1133
	s_branch .LBB7_1134
.LBB7_2157:                             ;   in Loop: Header=BB7_62 Depth=1
	s_mov_b32 s0, -1
	s_mov_b32 s2, exec_lo
	v_cmpx_eq_u16_e32 0x80, v106
; %bb.2158:                             ;   in Loop: Header=BB7_62 Depth=1
	s_xor_b32 s0, exec_lo, -1
; %bb.2159:                             ;   in Loop: Header=BB7_62 Depth=1
	s_wait_alu 0xfffe
	s_or_b32 exec_lo, exec_lo, s2
	s_delay_alu instid0(SALU_CYCLE_1)
	s_and_b32 s0, s0, exec_lo
                                        ; implicit-def: $vgpr106
	s_or_saveexec_b32 s1, s1
	v_mov_b32_e32 v63, 0x7f800001
	s_wait_alu 0xfffe
	s_xor_b32 exec_lo, exec_lo, s1
	s_cbranch_execz .LBB7_1136
.LBB7_2160:                             ;   in Loop: Header=BB7_62 Depth=1
	v_cmp_ne_u16_e32 vcc_lo, 0, v106
	v_mov_b32_e32 v63, 0
	s_and_not1_b32 s0, s0, exec_lo
	s_and_b32 s2, vcc_lo, exec_lo
	s_wait_alu 0xfffe
	s_or_b32 s0, s0, s2
	s_or_b32 exec_lo, exec_lo, s1
	s_wait_alu 0xfffe
	s_and_saveexec_b32 s1, s0
	s_cbranch_execnz .LBB7_1137
	s_branch .LBB7_1138
.LBB7_2161:                             ;   in Loop: Header=BB7_62 Depth=1
	s_mov_b32 s0, -1
	s_mov_b32 s2, exec_lo
	v_cmpx_eq_u16_e32 0x80, v106
; %bb.2162:                             ;   in Loop: Header=BB7_62 Depth=1
	s_xor_b32 s0, exec_lo, -1
; %bb.2163:                             ;   in Loop: Header=BB7_62 Depth=1
	s_wait_alu 0xfffe
	s_or_b32 exec_lo, exec_lo, s2
	s_delay_alu instid0(SALU_CYCLE_1)
	s_and_b32 s0, s0, exec_lo
                                        ; implicit-def: $vgpr106
	s_or_saveexec_b32 s1, s1
	v_mov_b32_e32 v88, 0x7f800001
	s_wait_alu 0xfffe
	s_xor_b32 exec_lo, exec_lo, s1
	s_cbranch_execz .LBB7_1140
.LBB7_2164:                             ;   in Loop: Header=BB7_62 Depth=1
	v_cmp_ne_u16_e32 vcc_lo, 0, v106
	v_mov_b32_e32 v88, 0
	s_and_not1_b32 s0, s0, exec_lo
	s_and_b32 s2, vcc_lo, exec_lo
	s_wait_alu 0xfffe
	s_or_b32 s0, s0, s2
	s_or_b32 exec_lo, exec_lo, s1
	s_wait_alu 0xfffe
	s_and_saveexec_b32 s1, s0
	s_cbranch_execnz .LBB7_1141
	s_branch .LBB7_1142
.LBB7_2165:                             ;   in Loop: Header=BB7_62 Depth=1
	s_mov_b32 s0, -1
	s_mov_b32 s2, exec_lo
	v_cmpx_eq_u16_e32 0x80, v76
; %bb.2166:                             ;   in Loop: Header=BB7_62 Depth=1
	s_xor_b32 s0, exec_lo, -1
; %bb.2167:                             ;   in Loop: Header=BB7_62 Depth=1
	s_wait_alu 0xfffe
	s_or_b32 exec_lo, exec_lo, s2
	s_delay_alu instid0(SALU_CYCLE_1)
	s_and_b32 s0, s0, exec_lo
	s_or_saveexec_b32 s1, s1
	v_mov_b32_e32 v77, 0x7f800001
	s_wait_alu 0xfffe
	s_xor_b32 exec_lo, exec_lo, s1
	s_cbranch_execz .LBB7_1144
.LBB7_2168:                             ;   in Loop: Header=BB7_62 Depth=1
	v_cmp_ne_u16_e32 vcc_lo, 0, v76
	v_mov_b32_e32 v77, 0
	s_and_not1_b32 s0, s0, exec_lo
	s_and_b32 s2, vcc_lo, exec_lo
	s_wait_alu 0xfffe
	s_or_b32 s0, s0, s2
	s_or_b32 exec_lo, exec_lo, s1
	s_wait_alu 0xfffe
	s_and_saveexec_b32 s1, s0
	s_cbranch_execz .LBB7_61
.LBB7_2169:                             ;   in Loop: Header=BB7_62 Depth=1
	v_lshrrev_b16 v108, 3, v76
	s_delay_alu instid0(VALU_DEP_1) | instskip(NEXT) | instid1(VALU_DEP_1)
	v_and_b32_e32 v108, 15, v108
	v_cmp_eq_u16_e32 vcc_lo, 0, v108
	v_and_b32_e32 v77, 7, v76
	v_lshrrev_b16 v76, 7, v76
	s_delay_alu instid0(VALU_DEP_2) | instskip(NEXT) | instid1(VALU_DEP_2)
	v_clz_i32_u32_e32 v106, v77
	v_lshlrev_b32_e32 v76, 31, v76
	s_delay_alu instid0(VALU_DEP_2) | instskip(NEXT) | instid1(VALU_DEP_1)
	v_min_u32_e32 v106, 32, v106
	v_subrev_nc_u32_e32 v107, 28, v106
	v_sub_nc_u32_e32 v106, 29, v106
	s_wait_alu 0xfffd
	s_delay_alu instid0(VALU_DEP_1) | instskip(NEXT) | instid1(VALU_DEP_1)
	v_dual_cndmask_b32 v106, v108, v106 :: v_dual_lshlrev_b32 v107, v107, v77
	v_lshl_add_u32 v106, v106, 23, 0x3b800000
	s_delay_alu instid0(VALU_DEP_2) | instskip(NEXT) | instid1(VALU_DEP_1)
	v_and_b32_e32 v107, 7, v107
	v_cndmask_b32_e32 v77, v77, v107, vcc_lo
	s_delay_alu instid0(VALU_DEP_1) | instskip(NEXT) | instid1(VALU_DEP_1)
	v_lshlrev_b32_e32 v77, 20, v77
	v_or3_b32 v77, v76, v106, v77
	s_branch .LBB7_61
.LBB7_2170:
	s_or_b32 exec_lo, exec_lo, s8
	s_wait_dscnt 0x0
	s_barrier_signal -1
	s_barrier_wait -1
	s_clause 0x3
	flat_load_b96 v[2:4], v[146:147] offset:208
	flat_load_b64 v[5:6], v[146:147] offset:224
	flat_load_b64 v[7:8], v[146:147] offset:260
	flat_load_b32 v11, v[146:147] offset:252
	flat_load_b64 v[0:1], v[144:145]
	s_mov_b64 s[4:5], src_private_base
	s_getpc_b64 s[6:7]
	s_wait_alu 0xfffe
	s_sext_i32_i16 s7, s7
	s_add_co_u32 s6, s6, _ZNK2ck32ThreadwiseTensorSliceTransfer_v4INS_9f8_fnuz_tEDF16_KNS_16TensorDescriptorINS_5TupleIJNS_5EmbedINS3_IJNS_17integral_constantIiLi16EEENS5_IiLi32EEES6_EEENS3_IJS6_NS5_IiLi256EEENS5_IiLi1EEEEEELb0EEENS_3XorINS3_IJS7_S6_EEELb1EEENS_11PassThroughIS6_EENS_7UnMergeINS3_IJS6_SA_EEELb0EEENSG_IS7_EESH_SH_NS_21Merge_v3_division_modINS3_IJS7_SA_EEEEESH_NSM_INS3_IJS6_S6_EEEEENSI_INS3_IJSA_NS5_IiLi2EEES6_EEELb0EEEEEENS3_IJNS_8SequenceIJLi0EEEENSV_IJLi2ELi1EEEENSV_IJLi3EEEENSV_IJLi5EEEENSV_IJLi4EEEENSV_IJLi6EEEENSV_IJLi7EEEENSV_IJLi9ELi8EEEENSV_IJLi10EEEENSV_IJLi11ELi13EEEENSV_IJLi12EEEEEEENS3_IJNSV_IJLi1ELi2ELi3EEEENSV_IJLi4ELi5EEEES11_NSV_IJLi7ELi8EEEENSV_IJLi9EEEES14_NSV_IJLi11EEEES16_NSV_IJLi13EEEENSV_IJLi14EEEENSV_IJLi15ELi16ELi17EEEEEEENSV_IJLi15ELi16ELi17ELi14EEEENS5_IlLl8192EEEEEKNS2_INS3_IJNS4_INS3_IJSA_SA_SA_NS5_IiLi128EEEEEENS3_IJS1L_S1L_S1L_SA_EEELb0EEEEEENS3_IJSW_EEENS3_IJNSV_IJLi1ELi2ELi3ELi4EEEEEEES1R_NS5_IlLl128EEEEENSV_IJLi1ELi1ELi1ELi128EEEENSV_IJLi0ELi1ELi2ELi3EEEELi3ELi16ELi16ELb0EE3RunINS3_IJNS5_IiLi0EEES20_S20_S20_EEES21_NS_13DynamicBufferILNS_16AddressSpaceEnumE2ES1_S1I_Lb1ELNS_22AmdBufferCoherenceEnumE0EiEENS_12StaticBufferILS23_4EDF16_Li128ELb1EEEEEvRS1K_RKT_RKT1_RS1V_RKT0_RT2_@rel32@lo+12
	s_wait_alu 0xfffe
	s_add_co_ci_u32 s7, s7, _ZNK2ck32ThreadwiseTensorSliceTransfer_v4INS_9f8_fnuz_tEDF16_KNS_16TensorDescriptorINS_5TupleIJNS_5EmbedINS3_IJNS_17integral_constantIiLi16EEENS5_IiLi32EEES6_EEENS3_IJS6_NS5_IiLi256EEENS5_IiLi1EEEEEELb0EEENS_3XorINS3_IJS7_S6_EEELb1EEENS_11PassThroughIS6_EENS_7UnMergeINS3_IJS6_SA_EEELb0EEENSG_IS7_EESH_SH_NS_21Merge_v3_division_modINS3_IJS7_SA_EEEEESH_NSM_INS3_IJS6_S6_EEEEENSI_INS3_IJSA_NS5_IiLi2EEES6_EEELb0EEEEEENS3_IJNS_8SequenceIJLi0EEEENSV_IJLi2ELi1EEEENSV_IJLi3EEEENSV_IJLi5EEEENSV_IJLi4EEEENSV_IJLi6EEEENSV_IJLi7EEEENSV_IJLi9ELi8EEEENSV_IJLi10EEEENSV_IJLi11ELi13EEEENSV_IJLi12EEEEEEENS3_IJNSV_IJLi1ELi2ELi3EEEENSV_IJLi4ELi5EEEES11_NSV_IJLi7ELi8EEEENSV_IJLi9EEEES14_NSV_IJLi11EEEES16_NSV_IJLi13EEEENSV_IJLi14EEEENSV_IJLi15ELi16ELi17EEEEEEENSV_IJLi15ELi16ELi17ELi14EEEENS5_IlLl8192EEEEEKNS2_INS3_IJNS4_INS3_IJSA_SA_SA_NS5_IiLi128EEEEEENS3_IJS1L_S1L_S1L_SA_EEELb0EEEEEENS3_IJSW_EEENS3_IJNSV_IJLi1ELi2ELi3ELi4EEEEEEES1R_NS5_IlLl128EEEEENSV_IJLi1ELi1ELi1ELi128EEEENSV_IJLi0ELi1ELi2ELi3EEEELi3ELi16ELi16ELb0EE3RunINS3_IJNS5_IiLi0EEES20_S20_S20_EEES21_NS_13DynamicBufferILNS_16AddressSpaceEnumE2ES1_S1I_Lb1ELNS_22AmdBufferCoherenceEnumE0EiEENS_12StaticBufferILS23_4EDF16_Li128ELb1EEEEEvRS1K_RKT_RKT1_RS1V_RKT0_RT2_@rel32@hi+24
	s_wait_loadcnt_dscnt 0x404
	v_ashrrev_i32_e32 v10, 31, v2
	s_wait_loadcnt_dscnt 0x202
	v_dual_mov_b32 v9, v2 :: v_dual_add_nc_u32 v12, 8, v8
	s_wait_loadcnt_dscnt 0x101
	v_sub_nc_u32_e32 v11, v6, v11
	v_ashrrev_i32_e32 v6, 31, v5
	v_sub_nc_u32_e32 v4, v5, v4
	v_add_nc_u32_e32 v13, 16, v8
	v_add_nc_u32_e32 v14, 24, v8
	v_add_nc_u32_e32 v15, 32, v8
	v_add_nc_u32_e32 v16, 40, v8
	v_add_nc_u32_e32 v17, 48, v8
	v_add_nc_u32_e32 v18, 56, v8
	v_add_nc_u32_e32 v19, 64, v8
	v_add_nc_u32_e32 v20, 0x48, v8
	v_add_nc_u32_e32 v21, 0x50, v8
	v_add_nc_u32_e32 v22, 0x58, v8
	v_add_nc_u32_e32 v23, 0x60, v8
	v_add_nc_u32_e32 v24, 0x68, v8
	v_add_nc_u32_e32 v25, 0x70, v8
	v_add_nc_u32_e32 v26, 0x78, v8
	v_lshlrev_b64_e32 v[8:9], 1, v[9:10]
	v_ashrrev_i32_e32 v10, 31, v12
	v_lshrrev_b32_e32 v6, 27, v6
	v_lshl_add_u32 v2, v4, 8, v2
	v_ashrrev_i32_e32 v4, 31, v13
	v_ashrrev_i32_e32 v27, 31, v14
	;; [unrolled: 1-line block ×14, first 2 shown]
	v_lshrrev_b32_e32 v10, 29, v10
	v_add_nc_u32_e32 v48, v5, v6
	v_sub_nc_u32_e32 v49, v2, v7
	v_lshrrev_b32_e32 v2, 29, v4
	v_lshrrev_b32_e32 v4, 29, v27
	;; [unrolled: 1-line block ×14, first 2 shown]
	s_wait_loadcnt_dscnt 0x0
	v_add_co_u32 v6, vcc_lo, v0, v8
	v_add_nc_u32_e32 v8, v12, v10
	s_wait_alu 0xfffd
	v_add_co_ci_u32_e64 v7, null, v1, v9, vcc_lo
	v_and_b32_e32 v9, 0xffffffe0, v48
	v_add_nc_u32_e32 v2, v13, v2
	v_add_nc_u32_e32 v4, v14, v4
	;; [unrolled: 1-line block ×14, first 2 shown]
	v_lshrrev_b32_e32 v38, 3, v8
	v_and_b32_e32 v8, -8, v8
	v_sub_nc_u32_e32 v5, v5, v9
	v_lshrrev_b32_e32 v9, 3, v2
	v_and_b32_e32 v2, -8, v2
	v_lshrrev_b32_e32 v39, 3, v4
	v_and_b32_e32 v4, -8, v4
	;; [unrolled: 2-line block ×12, first 2 shown]
	v_lshrrev_b32_e32 v67, 3, v36
	v_lshrrev_b32_e32 v68, 3, v37
	v_sub_nc_u32_e32 v8, v12, v8
	v_add_nc_u32_e32 v12, v38, v11
	v_sub_nc_u32_e32 v13, v13, v2
	v_add_nc_u32_e32 v2, v9, v11
	;; [unrolled: 2-line block ×3, first 2 shown]
	v_and_b32_e32 v36, -8, v36
	v_and_b32_e32 v37, -8, v37
	v_sub_nc_u32_e32 v10, v15, v10
	v_add_nc_u32_e32 v14, v48, v11
	v_sub_nc_u32_e32 v15, v16, v27
	v_add_nc_u32_e32 v16, v50, v11
	;; [unrolled: 2-line block ×10, first 2 shown]
	v_add_nc_u32_e32 v35, v67, v11
	v_add_nc_u32_e32 v11, v68, v11
	v_xor_b32_e32 v12, v12, v5
	v_xor_b32_e32 v2, v2, v5
	;; [unrolled: 1-line block ×3, first 2 shown]
	v_sub_nc_u32_e32 v25, v25, v36
	v_sub_nc_u32_e32 v36, v26, v37
	v_xor_b32_e32 v14, v14, v5
	v_xor_b32_e32 v16, v16, v5
	;; [unrolled: 1-line block ×12, first 2 shown]
	v_sub_nc_u32_e32 v11, v12, v3
	v_sub_nc_u32_e32 v2, v2, v3
	;; [unrolled: 1-line block ×15, first 2 shown]
	v_lshlrev_b32_e32 v5, 3, v11
	v_lshlrev_b32_e32 v11, 3, v2
	;; [unrolled: 1-line block ×5, first 2 shown]
	v_add3_u32 v2, v8, v49, v5
	v_lshlrev_b32_e32 v12, 3, v12
	v_add3_u32 v4, v13, v49, v11
	v_lshlrev_b32_e32 v14, 3, v14
	;; [unrolled: 2-line block ×3, first 2 shown]
	v_lshlrev_b32_e32 v37, 3, v24
	v_add3_u32 v24, v32, v49, v35
	v_add3_u32 v32, v36, v49, v3
	v_ashrrev_i32_e32 v3, 31, v2
	v_add3_u32 v10, v10, v49, v12
	v_lshlrev_b32_e32 v26, 3, v26
	v_ashrrev_i32_e32 v5, 31, v4
	v_add3_u32 v12, v15, v49, v14
	v_lshlrev_b32_e32 v27, 3, v27
	v_ashrrev_i32_e32 v9, 31, v8
	v_add3_u32 v14, v17, v49, v16
	v_lshlrev_b64_e32 v[2:3], 1, v[2:3]
	v_lshlrev_b32_e32 v28, 3, v28
	v_ashrrev_i32_e32 v11, 31, v10
	v_add3_u32 v16, v18, v49, v26
	v_lshlrev_b64_e32 v[4:5], 1, v[4:5]
	;; [unrolled: 4-line block ×3, first 2 shown]
	v_ashrrev_i32_e32 v15, 31, v14
	v_add3_u32 v20, v20, v49, v28
	v_lshlrev_b64_e32 v[10:11], 1, v[10:11]
	v_add_co_u32 v2, vcc_lo, v0, v2
	v_lshlrev_b32_e32 v30, 3, v30
	v_ashrrev_i32_e32 v17, 31, v16
	v_add3_u32 v22, v21, v49, v29
	v_lshlrev_b64_e32 v[12:13], 1, v[12:13]
	s_wait_alu 0xfffd
	v_add_co_ci_u32_e64 v3, null, v1, v3, vcc_lo
	v_add_co_u32 v4, vcc_lo, v0, v4
	v_ashrrev_i32_e32 v19, 31, v18
	v_lshlrev_b32_e32 v31, 3, v31
	v_lshlrev_b64_e32 v[14:15], 1, v[14:15]
	s_wait_alu 0xfffd
	v_add_co_ci_u32_e64 v5, null, v1, v5, vcc_lo
	v_add_co_u32 v8, vcc_lo, v0, v8
	v_ashrrev_i32_e32 v21, 31, v20
	v_add3_u32 v26, v23, v49, v30
	v_lshlrev_b64_e32 v[16:17], 1, v[16:17]
	s_wait_alu 0xfffd
	v_add_co_ci_u32_e64 v9, null, v1, v9, vcc_lo
	v_add_co_u32 v10, vcc_lo, v0, v10
	v_ashrrev_i32_e32 v23, 31, v22
	v_add3_u32 v28, v34, v49, v37
	v_lshlrev_b64_e32 v[18:19], 1, v[18:19]
	s_wait_alu 0xfffd
	v_add_co_ci_u32_e64 v11, null, v1, v11, vcc_lo
	v_add_co_u32 v12, vcc_lo, v0, v12
	v_add3_u32 v30, v25, v49, v31
	v_ashrrev_i32_e32 v25, 31, v24
	v_lshlrev_b64_e32 v[20:21], 1, v[20:21]
	s_wait_alu 0xfffd
	v_add_co_ci_u32_e64 v13, null, v1, v13, vcc_lo
	v_add_co_u32 v14, vcc_lo, v0, v14
	v_ashrrev_i32_e32 v27, 31, v26
	v_lshlrev_b64_e32 v[22:23], 1, v[22:23]
	s_wait_alu 0xfffd
	v_add_co_ci_u32_e64 v15, null, v1, v15, vcc_lo
	v_add_co_u32 v16, vcc_lo, v0, v16
	v_ashrrev_i32_e32 v29, 31, v28
	v_lshlrev_b64_e32 v[24:25], 1, v[24:25]
	s_wait_alu 0xfffd
	v_add_co_ci_u32_e64 v17, null, v1, v17, vcc_lo
	v_add_co_u32 v18, vcc_lo, v0, v18
	v_ashrrev_i32_e32 v31, 31, v30
	v_lshlrev_b64_e32 v[26:27], 1, v[26:27]
	s_wait_alu 0xfffd
	v_add_co_ci_u32_e64 v19, null, v1, v19, vcc_lo
	v_add_co_u32 v20, vcc_lo, v0, v20
	v_ashrrev_i32_e32 v33, 31, v32
	v_lshlrev_b64_e32 v[28:29], 1, v[28:29]
	s_wait_alu 0xfffd
	v_add_co_ci_u32_e64 v21, null, v1, v21, vcc_lo
	v_add_co_u32 v22, vcc_lo, v0, v22
	v_lshlrev_b64_e32 v[30:31], 1, v[30:31]
	s_wait_alu 0xfffd
	v_add_co_ci_u32_e64 v23, null, v1, v23, vcc_lo
	v_add_co_u32 v24, vcc_lo, v0, v24
	v_lshlrev_b64_e32 v[32:33], 1, v[32:33]
	s_wait_alu 0xfffd
	v_add_co_ci_u32_e64 v25, null, v1, v25, vcc_lo
	v_add_co_u32 v26, vcc_lo, v0, v26
	s_wait_alu 0xfffd
	v_add_co_ci_u32_e64 v27, null, v1, v27, vcc_lo
	v_add_co_u32 v28, vcc_lo, v0, v28
	;; [unrolled: 3-line block ×4, first 2 shown]
	s_wait_alu 0xfffd
	v_add_co_ci_u32_e64 v1, null, v1, v33, vcc_lo
	s_clause 0xf
	flat_load_b128 v[164:167], v[6:7]
	flat_load_b128 v[160:163], v[2:3]
	;; [unrolled: 1-line block ×16, first 2 shown]
	v_dual_mov_b32 v0, v182 :: v_dual_mov_b32 v1, v183
	v_dual_mov_b32 v2, v134 :: v_dual_mov_b32 v3, v135
	;; [unrolled: 1-line block ×3, first 2 shown]
	s_wait_alu 0xfffe
	s_swappc_b64 s[30:31], s[6:7]
	s_clause 0x3
	flat_load_b64 v[9:10], v[146:147] offset:224
	flat_load_b64 v[11:12], v[146:147] offset:240
	flat_load_b128 v[2:5], v[146:147] offset:252
	flat_load_b96 v[6:8], v[146:147] offset:208
	flat_load_b64 v[0:1], v[144:145]
	s_wait_loadcnt_dscnt 0x303
	v_sub_nc_u32_e32 v9, v9, v12
	s_wait_loadcnt_dscnt 0x202
	v_add_nc_u32_e32 v13, 8, v5
	v_sub_nc_u32_e32 v12, v10, v11
	v_add_nc_u32_e32 v2, v11, v2
	v_add_nc_u32_e32 v11, 16, v5
	v_add3_u32 v3, v9, v3, 16
	v_add_nc_u32_e32 v14, 24, v5
	v_add_nc_u32_e32 v15, 32, v5
	;; [unrolled: 1-line block ×13, first 2 shown]
	v_ashrrev_i32_e32 v179, 31, v3
	v_ashrrev_i32_e32 v9, 31, v13
	v_sub_nc_u32_e32 v2, v10, v2
	v_ashrrev_i32_e32 v10, 31, v11
	v_ashrrev_i32_e32 v26, 31, v14
	;; [unrolled: 1-line block ×14, first 2 shown]
	v_lshrrev_b32_e32 v179, 27, v179
	v_lshrrev_b32_e32 v9, 29, v9
	s_wait_loadcnt_dscnt 0x101
	v_sub_nc_u32_e32 v8, v3, v8
	v_lshrrev_b32_e32 v10, 29, v10
	v_lshrrev_b32_e32 v26, 29, v26
	;; [unrolled: 1-line block ×14, first 2 shown]
	v_add_nc_u32_e32 v179, v3, v179
	v_add_nc_u32_e32 v9, v13, v9
	v_sub_nc_u32_e32 v4, v6, v4
	v_lshlrev_b32_e32 v8, 8, v8
	v_add_nc_u32_e32 v10, v11, v10
	v_add_nc_u32_e32 v26, v14, v26
	;; [unrolled: 1-line block ×14, first 2 shown]
	v_and_b32_e32 v179, 0xffffffe0, v179
	v_lshrrev_b32_e32 v180, 3, v9
	v_and_b32_e32 v9, -8, v9
	v_add_nc_u32_e32 v181, v4, v8
	v_lshrrev_b32_e32 v4, 3, v10
	v_and_b32_e32 v10, -8, v10
	v_lshrrev_b32_e32 v192, 3, v26
	v_and_b32_e32 v26, -8, v26
	v_lshrrev_b32_e32 v193, 3, v27
	v_and_b32_e32 v27, -8, v27
	v_lshrrev_b32_e32 v194, 3, v28
	v_and_b32_e32 v28, -8, v28
	v_lshrrev_b32_e32 v195, 3, v37
	v_and_b32_e32 v37, -8, v37
	v_lshrrev_b32_e32 v196, 3, v38
	v_and_b32_e32 v38, -8, v38
	v_lshrrev_b32_e32 v197, 3, v39
	v_and_b32_e32 v39, -8, v39
	v_lshrrev_b32_e32 v198, 3, v144
	v_and_b32_e32 v144, -8, v144
	v_lshrrev_b32_e32 v199, 3, v145
	v_and_b32_e32 v145, -8, v145
	v_lshrrev_b32_e32 v208, 3, v146
	v_and_b32_e32 v146, -8, v146
	v_lshrrev_b32_e32 v209, 3, v147
	v_and_b32_e32 v147, -8, v147
	v_lshrrev_b32_e32 v210, 3, v176
	v_and_b32_e32 v176, -8, v176
	v_lshrrev_b32_e32 v211, 3, v177
	v_lshrrev_b32_e32 v212, 3, v178
	v_sub_nc_u32_e32 v3, v3, v179
	v_sub_nc_u32_e32 v9, v13, v9
	v_add_nc_u32_e32 v13, v180, v2
	v_add_nc_u32_e32 v4, v4, v2
	v_sub_nc_u32_e32 v10, v11, v10
	v_sub_nc_u32_e32 v11, v14, v26
	v_add_nc_u32_e32 v14, v192, v2
	v_sub_nc_u32_e32 v15, v15, v27
	v_add_nc_u32_e32 v26, v193, v2
	;; [unrolled: 2-line block ×11, first 2 shown]
	v_add_nc_u32_e32 v176, v211, v2
	v_add_nc_u32_e32 v2, v212, v2
	v_xor_b32_e32 v12, v3, v12
	v_xor_b32_e32 v13, v13, v3
	;; [unrolled: 1-line block ×16, first 2 shown]
	v_sub_nc_u32_e32 v3, v12, v7
	v_sub_nc_u32_e32 v12, v13, v7
	;; [unrolled: 1-line block ×3, first 2 shown]
	v_and_b32_e32 v178, -8, v178
	v_sub_nc_u32_e32 v2, v2, v7
	v_lshlrev_b32_e32 v3, 3, v3
	v_sub_nc_u32_e32 v13, v14, v7
	v_and_b32_e32 v177, -8, v177
	v_sub_nc_u32_e32 v14, v26, v7
	v_sub_nc_u32_e32 v26, v27, v7
	;; [unrolled: 1-line block ×11, first 2 shown]
	v_lshlrev_b32_e32 v7, 3, v12
	v_lshlrev_b32_e32 v12, 3, v4
	v_sub_nc_u32_e32 v5, v5, v178
	v_lshlrev_b32_e32 v178, 3, v2
	v_add3_u32 v2, v8, v6, v3
	v_lshlrev_b32_e32 v13, 3, v13
	v_sub_nc_u32_e32 v25, v25, v177
	v_lshlrev_b32_e32 v26, 3, v26
	v_lshlrev_b32_e32 v144, 3, v144
	;; [unrolled: 1-line block ×3, first 2 shown]
	v_add3_u32 v4, v9, v181, v7
	v_lshlrev_b32_e32 v14, 3, v14
	v_add3_u32 v6, v10, v181, v12
	v_ashrrev_i32_e32 v3, 31, v2
	v_add3_u32 v8, v11, v181, v13
	v_lshlrev_b32_e32 v27, 3, v27
	v_add3_u32 v12, v16, v181, v26
	v_add3_u32 v26, v23, v181, v144
	;; [unrolled: 1-line block ×4, first 2 shown]
	v_ashrrev_i32_e32 v5, 31, v4
	v_add3_u32 v10, v15, v181, v14
	v_lshlrev_b32_e32 v28, 3, v28
	v_ashrrev_i32_e32 v7, 31, v6
	v_lshlrev_b64_e32 v[2:3], 1, v[2:3]
	v_lshlrev_b32_e32 v37, 3, v37
	v_ashrrev_i32_e32 v9, 31, v8
	v_add3_u32 v14, v17, v181, v27
	v_lshlrev_b64_e32 v[4:5], 1, v[4:5]
	v_lshlrev_b32_e32 v38, 3, v38
	v_ashrrev_i32_e32 v11, 31, v10
	v_add3_u32 v16, v18, v181, v28
	;; [unrolled: 4-line block ×3, first 2 shown]
	v_lshlrev_b64_e32 v[8:9], 1, v[8:9]
	s_wait_loadcnt_dscnt 0x0
	v_add_co_u32 v2, vcc_lo, v0, v2
	v_lshlrev_b32_e32 v176, 3, v22
	v_ashrrev_i32_e32 v15, 31, v14
	v_add3_u32 v20, v20, v181, v38
	v_lshlrev_b64_e32 v[10:11], 1, v[10:11]
	s_wait_alu 0xfffd
	v_add_co_ci_u32_e64 v3, null, v1, v3, vcc_lo
	v_add_co_u32 v4, vcc_lo, v0, v4
	v_ashrrev_i32_e32 v17, 31, v16
	v_add3_u32 v22, v21, v181, v39
	v_lshlrev_b64_e32 v[12:13], 1, v[12:13]
	s_wait_alu 0xfffd
	v_add_co_ci_u32_e64 v5, null, v1, v5, vcc_lo
	v_add_co_u32 v6, vcc_lo, v0, v6
	v_lshlrev_b32_e32 v177, 3, v24
	v_ashrrev_i32_e32 v19, 31, v18
	v_add3_u32 v24, v145, v181, v176
	v_lshlrev_b64_e32 v[14:15], 1, v[14:15]
	s_wait_alu 0xfffd
	v_add_co_ci_u32_e64 v7, null, v1, v7, vcc_lo
	v_add_co_u32 v8, vcc_lo, v0, v8
	v_ashrrev_i32_e32 v21, 31, v20
	v_lshlrev_b64_e32 v[16:17], 1, v[16:17]
	s_wait_alu 0xfffd
	v_add_co_ci_u32_e64 v9, null, v1, v9, vcc_lo
	v_add_co_u32 v10, vcc_lo, v0, v10
	v_ashrrev_i32_e32 v23, 31, v22
	v_add3_u32 v37, v147, v181, v177
	v_lshlrev_b64_e32 v[18:19], 1, v[18:19]
	s_wait_alu 0xfffd
	v_add_co_ci_u32_e64 v11, null, v1, v11, vcc_lo
	v_add_co_u32 v12, vcc_lo, v0, v12
	v_ashrrev_i32_e32 v25, 31, v24
	v_lshlrev_b64_e32 v[20:21], 1, v[20:21]
	s_wait_alu 0xfffd
	v_add_co_ci_u32_e64 v13, null, v1, v13, vcc_lo
	v_add_co_u32 v14, vcc_lo, v0, v14
	v_ashrrev_i32_e32 v27, 31, v26
	;; [unrolled: 5-line block ×5, first 2 shown]
	v_lshlrev_b64_e32 v[37:38], 1, v[37:38]
	s_wait_alu 0xfffd
	v_add_co_ci_u32_e64 v21, null, v1, v21, vcc_lo
	v_add_co_u32 v22, vcc_lo, v0, v22
	v_lshlrev_b64_e32 v[144:145], 1, v[144:145]
	s_wait_alu 0xfffd
	v_add_co_ci_u32_e64 v23, null, v1, v23, vcc_lo
	v_add_co_u32 v24, vcc_lo, v0, v24
	;; [unrolled: 4-line block ×3, first 2 shown]
	s_wait_alu 0xfffd
	v_add_co_ci_u32_e64 v27, null, v1, v27, vcc_lo
	v_add_co_u32 v180, vcc_lo, v0, v37
	s_wait_alu 0xfffd
	v_add_co_ci_u32_e64 v181, null, v1, v38, vcc_lo
	v_add_co_u32 v45, vcc_lo, v0, v144
	;; [unrolled: 3-line block ×3, first 2 shown]
	s_wait_alu 0xfffd
	v_add_co_ci_u32_e64 v1, null, v1, v147, vcc_lo
	s_clause 0xf
	flat_load_b128 v[144:147], v[2:3]
	flat_load_b128 v[176:179], v[4:5]
	;; [unrolled: 1-line block ×16, first 2 shown]
	v_dual_mov_b32 v0, v182 :: v_dual_mov_b32 v1, v183
	v_dual_mov_b32 v2, v134 :: v_dual_mov_b32 v3, v135
	;; [unrolled: 1-line block ×3, first 2 shown]
	s_wait_alu 0xfffe
	s_swappc_b64 s[30:31], s[6:7]
	; sched_barrier mask(0x00000000)
	s_barrier_signal -1
	s_barrier_wait -1
	; sched_barrier mask(0x00000000)
	s_clause 0x1
	flat_load_b128 v[4:7], v[132:133] offset:16
	flat_load_b128 v[0:3], v[132:133]
	s_clause 0x1
	scratch_load_b128 v[8:11], off, s33
	scratch_load_b128 v[12:15], off, s33 offset:16
	s_wait_loadcnt_dscnt 0x100
	v_wmma_f32_16x16x16_f16 v[0:7], v[8:11], v[164:167], v[0:7]
	s_wait_loadcnt 0x0
	s_delay_alu instid0(VALU_DEP_1)
	v_wmma_f32_16x16x16_f16 v[0:7], v[12:15], v[160:163], v[0:7]
	s_clause 0x1
	flat_store_b128 v[132:133], v[0:3]
	flat_store_b128 v[132:133], v[4:7] offset:16
	; sched_barrier mask(0x00000000)
	s_setprio 1
	; sched_barrier mask(0x00000000)
	scratch_load_b128 v[16:19], off, s33
	s_clause 0x1
	flat_load_b128 v[4:7], v[132:133] offset:48
	flat_load_b128 v[0:3], v[132:133] offset:32
	scratch_load_b128 v[20:23], off, s33 offset:32
	s_clause 0x1
	flat_load_b128 v[12:15], v[132:133] offset:16
	flat_load_b128 v[8:11], v[132:133]
	s_clause 0x1
	scratch_load_b128 v[24:27], off, s33 offset:16
	scratch_load_b128 v[160:163], off, s33 offset:44
	s_wait_loadcnt 0x0
	s_clause 0x6
	scratch_load_b128 v[162:165], off, s33 offset:48
	scratch_load_b128 v[180:183], off, s33 offset:64
	scratch_load_b32 v89, off, s33 offset:52
	scratch_load_b32 v90, off, s33 offset:56
	;; [unrolled: 1-line block ×3, first 2 shown]
	scratch_load_b128 v[92:95], off, s33 offset:80
	scratch_load_b128 v[104:107], off, s33 offset:76
	s_wait_loadcnt 0x0
	s_clause 0x1
	scratch_load_b128 v[106:109], off, s33 offset:96
	scratch_load_b128 v[120:123], off, s33 offset:108
	s_wait_loadcnt 0x0
	s_clause 0x3
	scratch_load_b32 v123, off, s33 offset:84
	scratch_load_b32 v124, off, s33 offset:88
	;; [unrolled: 1-line block ×3, first 2 shown]
	scratch_load_b128 v[134:137], off, s33 offset:112
	s_wait_dscnt 0x2
	v_wmma_f32_16x16x16_f16 v[0:7], v[16:19], v[144:147], v[0:7]
	s_clause 0x4
	scratch_load_b128 v[16:19], off, s33 offset:128
	scratch_load_b128 v[144:147], off, s33 offset:140
	scratch_load_b32 v138, off, s33 offset:116
	scratch_load_b32 v139, off, s33 offset:120
	;; [unrolled: 1-line block ×3, first 2 shown]
	s_wait_dscnt 0x0
	v_wmma_f32_16x16x16_f16 v[8:15], v[20:23], v[148:151], v[8:15]
	s_wait_loadcnt 0x3
	scratch_load_b128 v[146:149], off, s33 offset:144
	v_wmma_f32_16x16x16_f16 v[0:7], v[24:27], v[176:179], v[0:7]
	s_clause 0x1
	scratch_load_b128 v[24:27], off, s33 offset:160
	scratch_load_b128 v[176:179], off, s33 offset:172
	v_dual_mov_b32 v23, v160 :: v_dual_mov_b32 v88, v161
	v_wmma_f32_16x16x16_f16 v[8:15], v[162:165], v[128:131], v[8:15]
	s_clause 0x3
	scratch_load_b32 v129, off, s33 offset:148
	scratch_load_b32 v130, off, s33 offset:152
	;; [unrolled: 1-line block ×3, first 2 shown]
	scratch_load_b128 v[162:165], off, s33 offset:176
	v_mov_b32_e32 v122, v105
	v_wmma_f32_16x16x16_f16 v[0:7], v[20:23], v[192:195], v[0:7]
	s_clause 0x4
	scratch_load_b128 v[20:23], off, s33 offset:192
	scratch_load_b128 v[192:195], off, s33 offset:204
	scratch_load_b32 v141, off, s33 offset:180
	scratch_load_b32 v142, off, s33 offset:184
	;; [unrolled: 1-line block ×3, first 2 shown]
	v_wmma_f32_16x16x16_f16 v[8:15], v[180:183], v[116:119], v[8:15]
	scratch_load_b128 v[116:119], off, s33 offset:208
	v_wmma_f32_16x16x16_f16 v[0:7], v[88:91], v[196:199], v[0:7]
	s_wait_loadcnt 0x4
	s_clause 0x3
	scratch_load_b128 v[194:197], off, s33 offset:224
	scratch_load_b32 v45, off, s33 offset:212
	scratch_load_b32 v46, off, s33 offset:216
	;; [unrolled: 1-line block ×3, first 2 shown]
	v_mov_b32_e32 v183, v104
	v_wmma_f32_16x16x16_f16 v[8:15], v[92:95], v[112:115], v[8:15]
	scratch_load_b128 v[112:115], off, s33 offset:240
	v_wmma_f32_16x16x16_f16 v[0:7], v[180:183], v[208:211], v[0:7]
	v_wmma_f32_16x16x16_f16 v[8:15], v[106:109], v[100:103], v[8:15]
	v_mov_b32_e32 v109, v120
	s_delay_alu instid0(VALU_DEP_3) | instskip(NEXT) | instid1(VALU_DEP_3)
	v_wmma_f32_16x16x16_f16 v[0:7], v[122:125], v[212:215], v[0:7]
	v_wmma_f32_16x16x16_f16 v[8:15], v[134:137], v[96:99], v[8:15]
	v_mov_b32_e32 v137, v121
	s_delay_alu instid0(VALU_DEP_2) | instskip(SKIP_3) | instid1(VALU_DEP_2)
	v_wmma_f32_16x16x16_f16 v[8:15], v[16:19], v[84:87], v[8:15]
	v_mov_b32_e32 v128, v145
	v_wmma_f32_16x16x16_f16 v[0:7], v[106:109], v[224:227], v[0:7]
	v_mov_b32_e32 v19, v144
	v_wmma_f32_16x16x16_f16 v[0:7], v[137:140], v[228:231], v[0:7]
	v_wmma_f32_16x16x16_f16 v[8:15], v[146:149], v[80:83], v[8:15]
	v_mov_b32_e32 v140, v177
	s_delay_alu instid0(VALU_DEP_3) | instskip(NEXT) | instid1(VALU_DEP_3)
	v_wmma_f32_16x16x16_f16 v[0:7], v[16:19], v[240:243], v[0:7]
	v_wmma_f32_16x16x16_f16 v[8:15], v[24:27], v[68:71], v[8:15]
	v_mov_b32_e32 v27, v176
	s_delay_alu instid0(VALU_DEP_3) | instskip(NEXT) | instid1(VALU_DEP_3)
	v_wmma_f32_16x16x16_f16 v[0:7], v[128:131], v[244:247], v[0:7]
	v_wmma_f32_16x16x16_f16 v[8:15], v[162:165], v[64:67], v[8:15]
	s_delay_alu instid0(VALU_DEP_2) | instskip(NEXT) | instid1(VALU_DEP_2)
	v_wmma_f32_16x16x16_f16 v[0:7], v[24:27], v[37:40], v[0:7]
	v_wmma_f32_16x16x16_f16 v[8:15], v[20:23], v[52:55], v[8:15]
	v_mov_b32_e32 v23, v192
	s_wait_loadcnt 0x6
	s_delay_alu instid0(VALU_DEP_3) | instskip(SKIP_3) | instid1(VALU_DEP_3)
	v_wmma_f32_16x16x16_f16 v[0:7], v[140:143], v[41:44], v[0:7]
	s_wait_loadcnt 0x5
	v_wmma_f32_16x16x16_f16 v[8:15], v[116:119], v[48:51], v[8:15]
	v_mov_b32_e32 v44, v193
	v_wmma_f32_16x16x16_f16 v[0:7], v[20:23], v[56:59], v[0:7]
	s_wait_loadcnt 0x4
	s_delay_alu instid0(VALU_DEP_3) | instskip(SKIP_1) | instid1(VALU_DEP_2)
	v_wmma_f32_16x16x16_f16 v[8:15], v[194:197], v[33:36], v[8:15]
	s_wait_loadcnt 0x1
	v_wmma_f32_16x16x16_f16 v[0:7], v[44:47], v[60:63], v[0:7]
	s_wait_loadcnt 0x0
	s_delay_alu instid0(VALU_DEP_2)
	v_wmma_f32_16x16x16_f16 v[8:15], v[112:115], v[29:32], v[8:15]
	s_clause 0x3
	flat_store_b128 v[132:133], v[4:7] offset:48
	flat_store_b128 v[132:133], v[0:3] offset:32
	;; [unrolled: 1-line block ×3, first 2 shown]
	flat_store_b128 v[132:133], v[8:11]
	; sched_barrier mask(0x00000000)
	s_wait_dscnt 0x0
	s_barrier_signal -1
	s_barrier_wait -1
	; sched_barrier mask(0x00000000)
	s_clause 0x1
	flat_load_b128 v[4:7], v[132:133] offset:48
	flat_load_b128 v[0:3], v[132:133] offset:32
	s_wait_loadcnt_dscnt 0x0
	v_wmma_f32_16x16x16_f16 v[0:7], v[194:197], v[72:75], v[0:7]
	s_delay_alu instid0(VALU_DEP_1)
	v_wmma_f32_16x16x16_f16 v[0:7], v[112:115], v[76:79], v[0:7]
	s_clause 0x1
	flat_store_b128 v[132:133], v[0:3] offset:32
	flat_store_b128 v[132:133], v[4:7] offset:48
	; sched_barrier mask(0x00000000)
	s_setprio 0
	; sched_barrier mask(0x00000000)
	v_readlane_b32 s30, v152, 0
	v_readlane_b32 s31, v152, 1
	s_mov_b32 s32, s33
	s_or_saveexec_b32 s0, -1
	scratch_load_b32 v152, off, s33 offset:256 ; 4-byte Folded Reload
	s_wait_alu 0xfffe
	s_mov_b32 exec_lo, s0
	s_mov_b32 s33, s12
	s_wait_loadcnt_dscnt 0x0
	s_wait_alu 0xfffe
	s_setpc_b64 s[30:31]
.Lfunc_end7:
	.size	_ZNK2ck31BlockwiseGemmXdlops_pipeline_v1ILNS_26BlockGemmPipelineSchedulerE1ELi64EDF16_NS_9f8_fnuz_tEDF16_fNS_16TensorDescriptorINS_5TupleIJNS_5EmbedINS4_IJNS_17integral_constantIiLi32EEES7_NS6_IiLi8EEEEEENS4_IJS8_NS6_IiLi256EEENS6_IiLi1EEEEEELb0EEENS_3XorINS4_IJS7_S7_EEELb1EEENS_11PassThroughIS8_EENS_7UnMergeINS4_IJS7_SB_EEELb0EEENSH_IS7_EESI_SM_NS_21Merge_v3_division_modISK_EESI_EEENS4_IJNS_8SequenceIJLi0EEEENSQ_IJLi2ELi1EEEENSQ_IJLi3EEEENSQ_IJLi5EEEENSQ_IJLi4EEEENSQ_IJLi6EEEENSQ_IJLi7EEEENSQ_IJLi9ELi8EEEENSQ_IJLi10EEEEEEENS4_IJNSQ_IJLi1ELi2ELi3EEEENSQ_IJLi4ELi5EEEESW_NSQ_IJLi7ELi8EEEENSQ_IJLi9EEEESZ_NSQ_IJLi11EEEENSQ_IJLi12EEEENSQ_IJLi13EEEEEEENSQ_IJLi11ELi12ELi13EEEENS6_IlLl8192EEEEENS3_INS4_IJNS5_INS4_IJNS6_IiLi16EEES7_S1C_EEENS4_IJS1C_SA_SB_EEELb0EEENSE_INS4_IJS7_S1C_EEELb1EEENSH_IS1C_EENSJ_INS4_IJS1C_SB_EEELb0EEESM_S1I_S1I_SO_S1I_EEES10_S18_S19_S1A_EENS3_INS4_IJSD_SG_SI_SL_SM_SI_SM_SO_SI_NSN_INS4_IJS7_S8_EEEEENSJ_INS4_IJNS6_IiLi2EEESB_S1C_EEELb0EEEEEENS4_IJSR_SS_ST_SU_SV_SW_SX_SY_SZ_NSQ_IJLi11ELi13EEEES16_EEENS4_IJS11_S12_SW_S13_S14_SZ_S15_S16_S17_NSQ_IJLi14EEEENSQ_IJLi15ELi16ELi17EEEEEEENSQ_IJLi15ELi16ELi17ELi14EEEES1A_EENS3_INS4_IJS1F_S1H_S1I_S1K_SM_S1I_S1I_SO_S1I_NSN_INS4_IJS1C_S1C_EEEEENSJ_INS4_IJSB_S1P_S1C_EEELb0EEEEEES1U_S1X_S1Y_S1A_EELi8ELi16ELi32ELi32ELi256ELi16ELi16ELi2ELi1ELi16ELb1EE3RunILb1ELNS_10TailNumberE10ENS3_INS4_IJNS5_INS4_IJiiEEENS4_IJiSB_EEELb0EEENSJ_IS29_Lb0EEENSH_IiEEEEENS4_IJSR_NSQ_IJLi2EEEENSQ_IJLi1EEEEEEENS4_IJNSQ_IJLi1ELi2EEEENSQ_IJLi3ELi4EEEESU_EEENSQ_IJLi3ELi5ELi4EEEElEES1B_NS_35ThreadGroupTensorSliceTransfer_v4r1INS_15ThisThreadBlockILi64EEENS_16tensor_operation12element_wise11PassThroughES2S_LNS_25InMemoryDataOperationEnumE0ENSQ_IJLi32ELi32ELi8EEEENSQ_IJLi32ELi2ELi1EEEENSQ_IJLi1ELi0ELi2EEEEDF16_DF16_RKS2M_KS1B_S2W_NSQ_IJLi0ELi1ELi2EEEELi2ELi2ELi8ELi8ELi1ELi1ELb0ELb1ELi1EiEENS_13DynamicBufferILNS_16AddressSpaceEnumE1EKDF16_lLb1ELNS_22AmdBufferCoherenceEnumE0EiEENS32_ILS33_2EDF16_S1A_Lb1ELS35_0EiEENS4_IJiiiEEES2M_S1M_NS2N_IS2P_S2S_S2S_LS2T_0ENSQ_IJLi16ELi32ELi16EEEENSQ_IJLi16ELi4ELi1EEEES2W_S2_S2_S2Y_KS1M_S2W_S30_Li2ELi2ELi16ELi16ELi1ELi1ELb0ELb1ELi1EiEENS32_ILS33_1EKS2_lLb1ELS35_0EiEENS32_ILS33_2ES2_S1A_Lb1ELS35_0EiEES38_NS_25StaticBufferTupleOfVectorILS33_4EfLi2ELi8ELb1ELb0EEEEEvRKT1_RKT2_RT3_RKT4_RT5_RKT6_RKT7_RKT8_RT9_RKT10_RT11_RKT12_RT13_i, .Lfunc_end7-_ZNK2ck31BlockwiseGemmXdlops_pipeline_v1ILNS_26BlockGemmPipelineSchedulerE1ELi64EDF16_NS_9f8_fnuz_tEDF16_fNS_16TensorDescriptorINS_5TupleIJNS_5EmbedINS4_IJNS_17integral_constantIiLi32EEES7_NS6_IiLi8EEEEEENS4_IJS8_NS6_IiLi256EEENS6_IiLi1EEEEEELb0EEENS_3XorINS4_IJS7_S7_EEELb1EEENS_11PassThroughIS8_EENS_7UnMergeINS4_IJS7_SB_EEELb0EEENSH_IS7_EESI_SM_NS_21Merge_v3_division_modISK_EESI_EEENS4_IJNS_8SequenceIJLi0EEEENSQ_IJLi2ELi1EEEENSQ_IJLi3EEEENSQ_IJLi5EEEENSQ_IJLi4EEEENSQ_IJLi6EEEENSQ_IJLi7EEEENSQ_IJLi9ELi8EEEENSQ_IJLi10EEEEEEENS4_IJNSQ_IJLi1ELi2ELi3EEEENSQ_IJLi4ELi5EEEESW_NSQ_IJLi7ELi8EEEENSQ_IJLi9EEEESZ_NSQ_IJLi11EEEENSQ_IJLi12EEEENSQ_IJLi13EEEEEEENSQ_IJLi11ELi12ELi13EEEENS6_IlLl8192EEEEENS3_INS4_IJNS5_INS4_IJNS6_IiLi16EEES7_S1C_EEENS4_IJS1C_SA_SB_EEELb0EEENSE_INS4_IJS7_S1C_EEELb1EEENSH_IS1C_EENSJ_INS4_IJS1C_SB_EEELb0EEESM_S1I_S1I_SO_S1I_EEES10_S18_S19_S1A_EENS3_INS4_IJSD_SG_SI_SL_SM_SI_SM_SO_SI_NSN_INS4_IJS7_S8_EEEEENSJ_INS4_IJNS6_IiLi2EEESB_S1C_EEELb0EEEEEENS4_IJSR_SS_ST_SU_SV_SW_SX_SY_SZ_NSQ_IJLi11ELi13EEEES16_EEENS4_IJS11_S12_SW_S13_S14_SZ_S15_S16_S17_NSQ_IJLi14EEEENSQ_IJLi15ELi16ELi17EEEEEEENSQ_IJLi15ELi16ELi17ELi14EEEES1A_EENS3_INS4_IJS1F_S1H_S1I_S1K_SM_S1I_S1I_SO_S1I_NSN_INS4_IJS1C_S1C_EEEEENSJ_INS4_IJSB_S1P_S1C_EEELb0EEEEEES1U_S1X_S1Y_S1A_EELi8ELi16ELi32ELi32ELi256ELi16ELi16ELi2ELi1ELi16ELb1EE3RunILb1ELNS_10TailNumberE10ENS3_INS4_IJNS5_INS4_IJiiEEENS4_IJiSB_EEELb0EEENSJ_IS29_Lb0EEENSH_IiEEEEENS4_IJSR_NSQ_IJLi2EEEENSQ_IJLi1EEEEEEENS4_IJNSQ_IJLi1ELi2EEEENSQ_IJLi3ELi4EEEESU_EEENSQ_IJLi3ELi5ELi4EEEElEES1B_NS_35ThreadGroupTensorSliceTransfer_v4r1INS_15ThisThreadBlockILi64EEENS_16tensor_operation12element_wise11PassThroughES2S_LNS_25InMemoryDataOperationEnumE0ENSQ_IJLi32ELi32ELi8EEEENSQ_IJLi32ELi2ELi1EEEENSQ_IJLi1ELi0ELi2EEEEDF16_DF16_RKS2M_KS1B_S2W_NSQ_IJLi0ELi1ELi2EEEELi2ELi2ELi8ELi8ELi1ELi1ELb0ELb1ELi1EiEENS_13DynamicBufferILNS_16AddressSpaceEnumE1EKDF16_lLb1ELNS_22AmdBufferCoherenceEnumE0EiEENS32_ILS33_2EDF16_S1A_Lb1ELS35_0EiEENS4_IJiiiEEES2M_S1M_NS2N_IS2P_S2S_S2S_LS2T_0ENSQ_IJLi16ELi32ELi16EEEENSQ_IJLi16ELi4ELi1EEEES2W_S2_S2_S2Y_KS1M_S2W_S30_Li2ELi2ELi16ELi16ELi1ELi1ELb0ELb1ELi1EiEENS32_ILS33_1EKS2_lLb1ELS35_0EiEENS32_ILS33_2ES2_S1A_Lb1ELS35_0EiEES38_NS_25StaticBufferTupleOfVectorILS33_4EfLi2ELi8ELb1ELb0EEEEEvRKT1_RKT2_RT3_RKT4_RT5_RKT6_RKT7_RKT8_RT9_RKT10_RT11_RKT12_RT13_i
                                        ; -- End function
	.set .L_ZNK2ck31BlockwiseGemmXdlops_pipeline_v1ILNS_26BlockGemmPipelineSchedulerE1ELi64EDF16_NS_9f8_fnuz_tEDF16_fNS_16TensorDescriptorINS_5TupleIJNS_5EmbedINS4_IJNS_17integral_constantIiLi32EEES7_NS6_IiLi8EEEEEENS4_IJS8_NS6_IiLi256EEENS6_IiLi1EEEEEELb0EEENS_3XorINS4_IJS7_S7_EEELb1EEENS_11PassThroughIS8_EENS_7UnMergeINS4_IJS7_SB_EEELb0EEENSH_IS7_EESI_SM_NS_21Merge_v3_division_modISK_EESI_EEENS4_IJNS_8SequenceIJLi0EEEENSQ_IJLi2ELi1EEEENSQ_IJLi3EEEENSQ_IJLi5EEEENSQ_IJLi4EEEENSQ_IJLi6EEEENSQ_IJLi7EEEENSQ_IJLi9ELi8EEEENSQ_IJLi10EEEEEEENS4_IJNSQ_IJLi1ELi2ELi3EEEENSQ_IJLi4ELi5EEEESW_NSQ_IJLi7ELi8EEEENSQ_IJLi9EEEESZ_NSQ_IJLi11EEEENSQ_IJLi12EEEENSQ_IJLi13EEEEEEENSQ_IJLi11ELi12ELi13EEEENS6_IlLl8192EEEEENS3_INS4_IJNS5_INS4_IJNS6_IiLi16EEES7_S1C_EEENS4_IJS1C_SA_SB_EEELb0EEENSE_INS4_IJS7_S1C_EEELb1EEENSH_IS1C_EENSJ_INS4_IJS1C_SB_EEELb0EEESM_S1I_S1I_SO_S1I_EEES10_S18_S19_S1A_EENS3_INS4_IJSD_SG_SI_SL_SM_SI_SM_SO_SI_NSN_INS4_IJS7_S8_EEEEENSJ_INS4_IJNS6_IiLi2EEESB_S1C_EEELb0EEEEEENS4_IJSR_SS_ST_SU_SV_SW_SX_SY_SZ_NSQ_IJLi11ELi13EEEES16_EEENS4_IJS11_S12_SW_S13_S14_SZ_S15_S16_S17_NSQ_IJLi14EEEENSQ_IJLi15ELi16ELi17EEEEEEENSQ_IJLi15ELi16ELi17ELi14EEEES1A_EENS3_INS4_IJS1F_S1H_S1I_S1K_SM_S1I_S1I_SO_S1I_NSN_INS4_IJS1C_S1C_EEEEENSJ_INS4_IJSB_S1P_S1C_EEELb0EEEEEES1U_S1X_S1Y_S1A_EELi8ELi16ELi32ELi32ELi256ELi16ELi16ELi2ELi1ELi16ELb1EE3RunILb1ELNS_10TailNumberE10ENS3_INS4_IJNS5_INS4_IJiiEEENS4_IJiSB_EEELb0EEENSJ_IS29_Lb0EEENSH_IiEEEEENS4_IJSR_NSQ_IJLi2EEEENSQ_IJLi1EEEEEEENS4_IJNSQ_IJLi1ELi2EEEENSQ_IJLi3ELi4EEEESU_EEENSQ_IJLi3ELi5ELi4EEEElEES1B_NS_35ThreadGroupTensorSliceTransfer_v4r1INS_15ThisThreadBlockILi64EEENS_16tensor_operation12element_wise11PassThroughES2S_LNS_25InMemoryDataOperationEnumE0ENSQ_IJLi32ELi32ELi8EEEENSQ_IJLi32ELi2ELi1EEEENSQ_IJLi1ELi0ELi2EEEEDF16_DF16_RKS2M_KS1B_S2W_NSQ_IJLi0ELi1ELi2EEEELi2ELi2ELi8ELi8ELi1ELi1ELb0ELb1ELi1EiEENS_13DynamicBufferILNS_16AddressSpaceEnumE1EKDF16_lLb1ELNS_22AmdBufferCoherenceEnumE0EiEENS32_ILS33_2EDF16_S1A_Lb1ELS35_0EiEENS4_IJiiiEEES2M_S1M_NS2N_IS2P_S2S_S2S_LS2T_0ENSQ_IJLi16ELi32ELi16EEEENSQ_IJLi16ELi4ELi1EEEES2W_S2_S2_S2Y_KS1M_S2W_S30_Li2ELi2ELi16ELi16ELi1ELi1ELb0ELb1ELi1EiEENS32_ILS33_1EKS2_lLb1ELS35_0EiEENS32_ILS33_2ES2_S1A_Lb1ELS35_0EiEES38_NS_25StaticBufferTupleOfVectorILS33_4EfLi2ELi8ELb1ELb0EEEEEvRKT1_RKT2_RT3_RKT4_RT5_RKT6_RKT7_RKT8_RT9_RKT10_RT11_RKT12_RT13_i.num_vgpr, max(248, .L_ZN2ck35ThreadGroupTensorSliceTransfer_v4r1INS_15ThisThreadBlockILi64EEENS_16tensor_operation12element_wise11PassThroughES5_LNS_25InMemoryDataOperationEnumE0ENS_8SequenceIJLi32ELi32ELi8EEEENS7_IJLi32ELi2ELi1EEEENS7_IJLi1ELi0ELi2EEEEDF16_DF16_RKNS_16TensorDescriptorINS_5TupleIJNS_5EmbedINSC_IJiiEEENSC_IJiNS_17integral_constantIiLi1EEEEEELb0EEENS_7UnMergeISE_Lb0EEENS_11PassThroughIiEEEEENSC_IJNS7_IJLi0EEEENS7_IJLi2EEEENS7_IJLi1EEEEEEENSC_IJNS7_IJLi1ELi2EEEENS7_IJLi3ELi4EEEENS7_IJLi5EEEEEEENS7_IJLi3ELi5ELi4EEEElEEKNSB_INSC_IJNSD_INSC_IJNSF_IiLi32EEES10_NSF_IiLi8EEEEEENSC_IJS11_NSF_IiLi256EEESG_EEELb0EEENS_3XorINSC_IJS10_S10_EEELb1EEENSL_IS11_EENSJ_INSC_IJS10_SG_EEELb0EEENSL_IS10_EES19_S1C_NS_21Merge_v3_division_modIS1A_EES19_EEENSC_IJSO_NS7_IJLi2ELi1EEEENS7_IJLi3EEEESU_NS7_IJLi4EEEENS7_IJLi6EEEENS7_IJLi7EEEENS7_IJLi9ELi8EEEENS7_IJLi10EEEEEEENSC_IJNS7_IJLi1ELi2ELi3EEEENS7_IJLi4ELi5EEEES1J_NS7_IJLi7ELi8EEEENS7_IJLi9EEEES1M_NS7_IJLi11EEEENS7_IJLi12EEEENS7_IJLi13EEEEEEENS7_IJLi11ELi12ELi13EEEENSF_IlLl8192EEEEESA_NS7_IJLi0ELi1ELi2EEEELi2ELi2ELi8ELi8ELi1ELi1ELb0ELb1ELi1EiE8RunWriteINS_13DynamicBufferILNS_16AddressSpaceEnumE2EDF16_S1X_Lb1ELNS_22AmdBufferCoherenceEnumE0EiEELi0EEEvRS1Z_RT_NSF_IiXT0_EEE.num_vgpr, .L_ZNK2ck32ThreadwiseTensorSliceTransfer_v4INS_9f8_fnuz_tEDF16_KNS_16TensorDescriptorINS_5TupleIJNS_5EmbedINS3_IJNS_17integral_constantIiLi16EEENS5_IiLi32EEES6_EEENS3_IJS6_NS5_IiLi256EEENS5_IiLi1EEEEEELb0EEENS_3XorINS3_IJS7_S6_EEELb1EEENS_11PassThroughIS6_EENS_7UnMergeINS3_IJS6_SA_EEELb0EEENSG_IS7_EESH_SH_NS_21Merge_v3_division_modINS3_IJS7_SA_EEEEESH_NSM_INS3_IJS6_S6_EEEEENSI_INS3_IJSA_NS5_IiLi2EEES6_EEELb0EEEEEENS3_IJNS_8SequenceIJLi0EEEENSV_IJLi2ELi1EEEENSV_IJLi3EEEENSV_IJLi5EEEENSV_IJLi4EEEENSV_IJLi6EEEENSV_IJLi7EEEENSV_IJLi9ELi8EEEENSV_IJLi10EEEENSV_IJLi11ELi13EEEENSV_IJLi12EEEEEEENS3_IJNSV_IJLi1ELi2ELi3EEEENSV_IJLi4ELi5EEEES11_NSV_IJLi7ELi8EEEENSV_IJLi9EEEES14_NSV_IJLi11EEEES16_NSV_IJLi13EEEENSV_IJLi14EEEENSV_IJLi15ELi16ELi17EEEEEEENSV_IJLi15ELi16ELi17ELi14EEEENS5_IlLl8192EEEEEKNS2_INS3_IJNS4_INS3_IJSA_SA_SA_NS5_IiLi128EEEEEENS3_IJS1L_S1L_S1L_SA_EEELb0EEEEEENS3_IJSW_EEENS3_IJNSV_IJLi1ELi2ELi3ELi4EEEEEEES1R_NS5_IlLl128EEEEENSV_IJLi1ELi1ELi1ELi128EEEENSV_IJLi0ELi1ELi2ELi3EEEELi3ELi16ELi16ELb0EE3RunINS3_IJNS5_IiLi0EEES20_S20_S20_EEES21_NS_13DynamicBufferILNS_16AddressSpaceEnumE2ES1_S1I_Lb1ELNS_22AmdBufferCoherenceEnumE0EiEENS_12StaticBufferILS23_4EDF16_Li128ELb1EEEEEvRS1K_RKT_RKT1_RS1V_RKT0_RT2_.num_vgpr)
	.set .L_ZNK2ck31BlockwiseGemmXdlops_pipeline_v1ILNS_26BlockGemmPipelineSchedulerE1ELi64EDF16_NS_9f8_fnuz_tEDF16_fNS_16TensorDescriptorINS_5TupleIJNS_5EmbedINS4_IJNS_17integral_constantIiLi32EEES7_NS6_IiLi8EEEEEENS4_IJS8_NS6_IiLi256EEENS6_IiLi1EEEEEELb0EEENS_3XorINS4_IJS7_S7_EEELb1EEENS_11PassThroughIS8_EENS_7UnMergeINS4_IJS7_SB_EEELb0EEENSH_IS7_EESI_SM_NS_21Merge_v3_division_modISK_EESI_EEENS4_IJNS_8SequenceIJLi0EEEENSQ_IJLi2ELi1EEEENSQ_IJLi3EEEENSQ_IJLi5EEEENSQ_IJLi4EEEENSQ_IJLi6EEEENSQ_IJLi7EEEENSQ_IJLi9ELi8EEEENSQ_IJLi10EEEEEEENS4_IJNSQ_IJLi1ELi2ELi3EEEENSQ_IJLi4ELi5EEEESW_NSQ_IJLi7ELi8EEEENSQ_IJLi9EEEESZ_NSQ_IJLi11EEEENSQ_IJLi12EEEENSQ_IJLi13EEEEEEENSQ_IJLi11ELi12ELi13EEEENS6_IlLl8192EEEEENS3_INS4_IJNS5_INS4_IJNS6_IiLi16EEES7_S1C_EEENS4_IJS1C_SA_SB_EEELb0EEENSE_INS4_IJS7_S1C_EEELb1EEENSH_IS1C_EENSJ_INS4_IJS1C_SB_EEELb0EEESM_S1I_S1I_SO_S1I_EEES10_S18_S19_S1A_EENS3_INS4_IJSD_SG_SI_SL_SM_SI_SM_SO_SI_NSN_INS4_IJS7_S8_EEEEENSJ_INS4_IJNS6_IiLi2EEESB_S1C_EEELb0EEEEEENS4_IJSR_SS_ST_SU_SV_SW_SX_SY_SZ_NSQ_IJLi11ELi13EEEES16_EEENS4_IJS11_S12_SW_S13_S14_SZ_S15_S16_S17_NSQ_IJLi14EEEENSQ_IJLi15ELi16ELi17EEEEEEENSQ_IJLi15ELi16ELi17ELi14EEEES1A_EENS3_INS4_IJS1F_S1H_S1I_S1K_SM_S1I_S1I_SO_S1I_NSN_INS4_IJS1C_S1C_EEEEENSJ_INS4_IJSB_S1P_S1C_EEELb0EEEEEES1U_S1X_S1Y_S1A_EELi8ELi16ELi32ELi32ELi256ELi16ELi16ELi2ELi1ELi16ELb1EE3RunILb1ELNS_10TailNumberE10ENS3_INS4_IJNS5_INS4_IJiiEEENS4_IJiSB_EEELb0EEENSJ_IS29_Lb0EEENSH_IiEEEEENS4_IJSR_NSQ_IJLi2EEEENSQ_IJLi1EEEEEEENS4_IJNSQ_IJLi1ELi2EEEENSQ_IJLi3ELi4EEEESU_EEENSQ_IJLi3ELi5ELi4EEEElEES1B_NS_35ThreadGroupTensorSliceTransfer_v4r1INS_15ThisThreadBlockILi64EEENS_16tensor_operation12element_wise11PassThroughES2S_LNS_25InMemoryDataOperationEnumE0ENSQ_IJLi32ELi32ELi8EEEENSQ_IJLi32ELi2ELi1EEEENSQ_IJLi1ELi0ELi2EEEEDF16_DF16_RKS2M_KS1B_S2W_NSQ_IJLi0ELi1ELi2EEEELi2ELi2ELi8ELi8ELi1ELi1ELb0ELb1ELi1EiEENS_13DynamicBufferILNS_16AddressSpaceEnumE1EKDF16_lLb1ELNS_22AmdBufferCoherenceEnumE0EiEENS32_ILS33_2EDF16_S1A_Lb1ELS35_0EiEENS4_IJiiiEEES2M_S1M_NS2N_IS2P_S2S_S2S_LS2T_0ENSQ_IJLi16ELi32ELi16EEEENSQ_IJLi16ELi4ELi1EEEES2W_S2_S2_S2Y_KS1M_S2W_S30_Li2ELi2ELi16ELi16ELi1ELi1ELb0ELb1ELi1EiEENS32_ILS33_1EKS2_lLb1ELS35_0EiEENS32_ILS33_2ES2_S1A_Lb1ELS35_0EiEES38_NS_25StaticBufferTupleOfVectorILS33_4EfLi2ELi8ELb1ELb0EEEEEvRKT1_RKT2_RT3_RKT4_RT5_RKT6_RKT7_RKT8_RT9_RKT10_RT11_RKT12_RT13_i.num_agpr, max(0, .L_ZN2ck35ThreadGroupTensorSliceTransfer_v4r1INS_15ThisThreadBlockILi64EEENS_16tensor_operation12element_wise11PassThroughES5_LNS_25InMemoryDataOperationEnumE0ENS_8SequenceIJLi32ELi32ELi8EEEENS7_IJLi32ELi2ELi1EEEENS7_IJLi1ELi0ELi2EEEEDF16_DF16_RKNS_16TensorDescriptorINS_5TupleIJNS_5EmbedINSC_IJiiEEENSC_IJiNS_17integral_constantIiLi1EEEEEELb0EEENS_7UnMergeISE_Lb0EEENS_11PassThroughIiEEEEENSC_IJNS7_IJLi0EEEENS7_IJLi2EEEENS7_IJLi1EEEEEEENSC_IJNS7_IJLi1ELi2EEEENS7_IJLi3ELi4EEEENS7_IJLi5EEEEEEENS7_IJLi3ELi5ELi4EEEElEEKNSB_INSC_IJNSD_INSC_IJNSF_IiLi32EEES10_NSF_IiLi8EEEEEENSC_IJS11_NSF_IiLi256EEESG_EEELb0EEENS_3XorINSC_IJS10_S10_EEELb1EEENSL_IS11_EENSJ_INSC_IJS10_SG_EEELb0EEENSL_IS10_EES19_S1C_NS_21Merge_v3_division_modIS1A_EES19_EEENSC_IJSO_NS7_IJLi2ELi1EEEENS7_IJLi3EEEESU_NS7_IJLi4EEEENS7_IJLi6EEEENS7_IJLi7EEEENS7_IJLi9ELi8EEEENS7_IJLi10EEEEEEENSC_IJNS7_IJLi1ELi2ELi3EEEENS7_IJLi4ELi5EEEES1J_NS7_IJLi7ELi8EEEENS7_IJLi9EEEES1M_NS7_IJLi11EEEENS7_IJLi12EEEENS7_IJLi13EEEEEEENS7_IJLi11ELi12ELi13EEEENSF_IlLl8192EEEEESA_NS7_IJLi0ELi1ELi2EEEELi2ELi2ELi8ELi8ELi1ELi1ELb0ELb1ELi1EiE8RunWriteINS_13DynamicBufferILNS_16AddressSpaceEnumE2EDF16_S1X_Lb1ELNS_22AmdBufferCoherenceEnumE0EiEELi0EEEvRS1Z_RT_NSF_IiXT0_EEE.num_agpr, .L_ZNK2ck32ThreadwiseTensorSliceTransfer_v4INS_9f8_fnuz_tEDF16_KNS_16TensorDescriptorINS_5TupleIJNS_5EmbedINS3_IJNS_17integral_constantIiLi16EEENS5_IiLi32EEES6_EEENS3_IJS6_NS5_IiLi256EEENS5_IiLi1EEEEEELb0EEENS_3XorINS3_IJS7_S6_EEELb1EEENS_11PassThroughIS6_EENS_7UnMergeINS3_IJS6_SA_EEELb0EEENSG_IS7_EESH_SH_NS_21Merge_v3_division_modINS3_IJS7_SA_EEEEESH_NSM_INS3_IJS6_S6_EEEEENSI_INS3_IJSA_NS5_IiLi2EEES6_EEELb0EEEEEENS3_IJNS_8SequenceIJLi0EEEENSV_IJLi2ELi1EEEENSV_IJLi3EEEENSV_IJLi5EEEENSV_IJLi4EEEENSV_IJLi6EEEENSV_IJLi7EEEENSV_IJLi9ELi8EEEENSV_IJLi10EEEENSV_IJLi11ELi13EEEENSV_IJLi12EEEEEEENS3_IJNSV_IJLi1ELi2ELi3EEEENSV_IJLi4ELi5EEEES11_NSV_IJLi7ELi8EEEENSV_IJLi9EEEES14_NSV_IJLi11EEEES16_NSV_IJLi13EEEENSV_IJLi14EEEENSV_IJLi15ELi16ELi17EEEEEEENSV_IJLi15ELi16ELi17ELi14EEEENS5_IlLl8192EEEEEKNS2_INS3_IJNS4_INS3_IJSA_SA_SA_NS5_IiLi128EEEEEENS3_IJS1L_S1L_S1L_SA_EEELb0EEEEEENS3_IJSW_EEENS3_IJNSV_IJLi1ELi2ELi3ELi4EEEEEEES1R_NS5_IlLl128EEEEENSV_IJLi1ELi1ELi1ELi128EEEENSV_IJLi0ELi1ELi2ELi3EEEELi3ELi16ELi16ELb0EE3RunINS3_IJNS5_IiLi0EEES20_S20_S20_EEES21_NS_13DynamicBufferILNS_16AddressSpaceEnumE2ES1_S1I_Lb1ELNS_22AmdBufferCoherenceEnumE0EiEENS_12StaticBufferILS23_4EDF16_Li128ELb1EEEEEvRS1K_RKT_RKT1_RS1V_RKT0_RT2_.num_agpr)
	.set .L_ZNK2ck31BlockwiseGemmXdlops_pipeline_v1ILNS_26BlockGemmPipelineSchedulerE1ELi64EDF16_NS_9f8_fnuz_tEDF16_fNS_16TensorDescriptorINS_5TupleIJNS_5EmbedINS4_IJNS_17integral_constantIiLi32EEES7_NS6_IiLi8EEEEEENS4_IJS8_NS6_IiLi256EEENS6_IiLi1EEEEEELb0EEENS_3XorINS4_IJS7_S7_EEELb1EEENS_11PassThroughIS8_EENS_7UnMergeINS4_IJS7_SB_EEELb0EEENSH_IS7_EESI_SM_NS_21Merge_v3_division_modISK_EESI_EEENS4_IJNS_8SequenceIJLi0EEEENSQ_IJLi2ELi1EEEENSQ_IJLi3EEEENSQ_IJLi5EEEENSQ_IJLi4EEEENSQ_IJLi6EEEENSQ_IJLi7EEEENSQ_IJLi9ELi8EEEENSQ_IJLi10EEEEEEENS4_IJNSQ_IJLi1ELi2ELi3EEEENSQ_IJLi4ELi5EEEESW_NSQ_IJLi7ELi8EEEENSQ_IJLi9EEEESZ_NSQ_IJLi11EEEENSQ_IJLi12EEEENSQ_IJLi13EEEEEEENSQ_IJLi11ELi12ELi13EEEENS6_IlLl8192EEEEENS3_INS4_IJNS5_INS4_IJNS6_IiLi16EEES7_S1C_EEENS4_IJS1C_SA_SB_EEELb0EEENSE_INS4_IJS7_S1C_EEELb1EEENSH_IS1C_EENSJ_INS4_IJS1C_SB_EEELb0EEESM_S1I_S1I_SO_S1I_EEES10_S18_S19_S1A_EENS3_INS4_IJSD_SG_SI_SL_SM_SI_SM_SO_SI_NSN_INS4_IJS7_S8_EEEEENSJ_INS4_IJNS6_IiLi2EEESB_S1C_EEELb0EEEEEENS4_IJSR_SS_ST_SU_SV_SW_SX_SY_SZ_NSQ_IJLi11ELi13EEEES16_EEENS4_IJS11_S12_SW_S13_S14_SZ_S15_S16_S17_NSQ_IJLi14EEEENSQ_IJLi15ELi16ELi17EEEEEEENSQ_IJLi15ELi16ELi17ELi14EEEES1A_EENS3_INS4_IJS1F_S1H_S1I_S1K_SM_S1I_S1I_SO_S1I_NSN_INS4_IJS1C_S1C_EEEEENSJ_INS4_IJSB_S1P_S1C_EEELb0EEEEEES1U_S1X_S1Y_S1A_EELi8ELi16ELi32ELi32ELi256ELi16ELi16ELi2ELi1ELi16ELb1EE3RunILb1ELNS_10TailNumberE10ENS3_INS4_IJNS5_INS4_IJiiEEENS4_IJiSB_EEELb0EEENSJ_IS29_Lb0EEENSH_IiEEEEENS4_IJSR_NSQ_IJLi2EEEENSQ_IJLi1EEEEEEENS4_IJNSQ_IJLi1ELi2EEEENSQ_IJLi3ELi4EEEESU_EEENSQ_IJLi3ELi5ELi4EEEElEES1B_NS_35ThreadGroupTensorSliceTransfer_v4r1INS_15ThisThreadBlockILi64EEENS_16tensor_operation12element_wise11PassThroughES2S_LNS_25InMemoryDataOperationEnumE0ENSQ_IJLi32ELi32ELi8EEEENSQ_IJLi32ELi2ELi1EEEENSQ_IJLi1ELi0ELi2EEEEDF16_DF16_RKS2M_KS1B_S2W_NSQ_IJLi0ELi1ELi2EEEELi2ELi2ELi8ELi8ELi1ELi1ELb0ELb1ELi1EiEENS_13DynamicBufferILNS_16AddressSpaceEnumE1EKDF16_lLb1ELNS_22AmdBufferCoherenceEnumE0EiEENS32_ILS33_2EDF16_S1A_Lb1ELS35_0EiEENS4_IJiiiEEES2M_S1M_NS2N_IS2P_S2S_S2S_LS2T_0ENSQ_IJLi16ELi32ELi16EEEENSQ_IJLi16ELi4ELi1EEEES2W_S2_S2_S2Y_KS1M_S2W_S30_Li2ELi2ELi16ELi16ELi1ELi1ELb0ELb1ELi1EiEENS32_ILS33_1EKS2_lLb1ELS35_0EiEENS32_ILS33_2ES2_S1A_Lb1ELS35_0EiEES38_NS_25StaticBufferTupleOfVectorILS33_4EfLi2ELi8ELb1ELb0EEEEEvRKT1_RKT2_RT3_RKT4_RT5_RKT6_RKT7_RKT8_RT9_RKT10_RT11_RKT12_RT13_i.numbered_sgpr, max(34, .L_ZN2ck35ThreadGroupTensorSliceTransfer_v4r1INS_15ThisThreadBlockILi64EEENS_16tensor_operation12element_wise11PassThroughES5_LNS_25InMemoryDataOperationEnumE0ENS_8SequenceIJLi32ELi32ELi8EEEENS7_IJLi32ELi2ELi1EEEENS7_IJLi1ELi0ELi2EEEEDF16_DF16_RKNS_16TensorDescriptorINS_5TupleIJNS_5EmbedINSC_IJiiEEENSC_IJiNS_17integral_constantIiLi1EEEEEELb0EEENS_7UnMergeISE_Lb0EEENS_11PassThroughIiEEEEENSC_IJNS7_IJLi0EEEENS7_IJLi2EEEENS7_IJLi1EEEEEEENSC_IJNS7_IJLi1ELi2EEEENS7_IJLi3ELi4EEEENS7_IJLi5EEEEEEENS7_IJLi3ELi5ELi4EEEElEEKNSB_INSC_IJNSD_INSC_IJNSF_IiLi32EEES10_NSF_IiLi8EEEEEENSC_IJS11_NSF_IiLi256EEESG_EEELb0EEENS_3XorINSC_IJS10_S10_EEELb1EEENSL_IS11_EENSJ_INSC_IJS10_SG_EEELb0EEENSL_IS10_EES19_S1C_NS_21Merge_v3_division_modIS1A_EES19_EEENSC_IJSO_NS7_IJLi2ELi1EEEENS7_IJLi3EEEESU_NS7_IJLi4EEEENS7_IJLi6EEEENS7_IJLi7EEEENS7_IJLi9ELi8EEEENS7_IJLi10EEEEEEENSC_IJNS7_IJLi1ELi2ELi3EEEENS7_IJLi4ELi5EEEES1J_NS7_IJLi7ELi8EEEENS7_IJLi9EEEES1M_NS7_IJLi11EEEENS7_IJLi12EEEENS7_IJLi13EEEEEEENS7_IJLi11ELi12ELi13EEEENSF_IlLl8192EEEEESA_NS7_IJLi0ELi1ELi2EEEELi2ELi2ELi8ELi8ELi1ELi1ELb0ELb1ELi1EiE8RunWriteINS_13DynamicBufferILNS_16AddressSpaceEnumE2EDF16_S1X_Lb1ELNS_22AmdBufferCoherenceEnumE0EiEELi0EEEvRS1Z_RT_NSF_IiXT0_EEE.numbered_sgpr, .L_ZNK2ck32ThreadwiseTensorSliceTransfer_v4INS_9f8_fnuz_tEDF16_KNS_16TensorDescriptorINS_5TupleIJNS_5EmbedINS3_IJNS_17integral_constantIiLi16EEENS5_IiLi32EEES6_EEENS3_IJS6_NS5_IiLi256EEENS5_IiLi1EEEEEELb0EEENS_3XorINS3_IJS7_S6_EEELb1EEENS_11PassThroughIS6_EENS_7UnMergeINS3_IJS6_SA_EEELb0EEENSG_IS7_EESH_SH_NS_21Merge_v3_division_modINS3_IJS7_SA_EEEEESH_NSM_INS3_IJS6_S6_EEEEENSI_INS3_IJSA_NS5_IiLi2EEES6_EEELb0EEEEEENS3_IJNS_8SequenceIJLi0EEEENSV_IJLi2ELi1EEEENSV_IJLi3EEEENSV_IJLi5EEEENSV_IJLi4EEEENSV_IJLi6EEEENSV_IJLi7EEEENSV_IJLi9ELi8EEEENSV_IJLi10EEEENSV_IJLi11ELi13EEEENSV_IJLi12EEEEEEENS3_IJNSV_IJLi1ELi2ELi3EEEENSV_IJLi4ELi5EEEES11_NSV_IJLi7ELi8EEEENSV_IJLi9EEEES14_NSV_IJLi11EEEES16_NSV_IJLi13EEEENSV_IJLi14EEEENSV_IJLi15ELi16ELi17EEEEEEENSV_IJLi15ELi16ELi17ELi14EEEENS5_IlLl8192EEEEEKNS2_INS3_IJNS4_INS3_IJSA_SA_SA_NS5_IiLi128EEEEEENS3_IJS1L_S1L_S1L_SA_EEELb0EEEEEENS3_IJSW_EEENS3_IJNSV_IJLi1ELi2ELi3ELi4EEEEEEES1R_NS5_IlLl128EEEEENSV_IJLi1ELi1ELi1ELi128EEEENSV_IJLi0ELi1ELi2ELi3EEEELi3ELi16ELi16ELb0EE3RunINS3_IJNS5_IiLi0EEES20_S20_S20_EEES21_NS_13DynamicBufferILNS_16AddressSpaceEnumE2ES1_S1I_Lb1ELNS_22AmdBufferCoherenceEnumE0EiEENS_12StaticBufferILS23_4EDF16_Li128ELb1EEEEEvRS1K_RKT_RKT1_RS1V_RKT0_RT2_.numbered_sgpr)
	.set .L_ZNK2ck31BlockwiseGemmXdlops_pipeline_v1ILNS_26BlockGemmPipelineSchedulerE1ELi64EDF16_NS_9f8_fnuz_tEDF16_fNS_16TensorDescriptorINS_5TupleIJNS_5EmbedINS4_IJNS_17integral_constantIiLi32EEES7_NS6_IiLi8EEEEEENS4_IJS8_NS6_IiLi256EEENS6_IiLi1EEEEEELb0EEENS_3XorINS4_IJS7_S7_EEELb1EEENS_11PassThroughIS8_EENS_7UnMergeINS4_IJS7_SB_EEELb0EEENSH_IS7_EESI_SM_NS_21Merge_v3_division_modISK_EESI_EEENS4_IJNS_8SequenceIJLi0EEEENSQ_IJLi2ELi1EEEENSQ_IJLi3EEEENSQ_IJLi5EEEENSQ_IJLi4EEEENSQ_IJLi6EEEENSQ_IJLi7EEEENSQ_IJLi9ELi8EEEENSQ_IJLi10EEEEEEENS4_IJNSQ_IJLi1ELi2ELi3EEEENSQ_IJLi4ELi5EEEESW_NSQ_IJLi7ELi8EEEENSQ_IJLi9EEEESZ_NSQ_IJLi11EEEENSQ_IJLi12EEEENSQ_IJLi13EEEEEEENSQ_IJLi11ELi12ELi13EEEENS6_IlLl8192EEEEENS3_INS4_IJNS5_INS4_IJNS6_IiLi16EEES7_S1C_EEENS4_IJS1C_SA_SB_EEELb0EEENSE_INS4_IJS7_S1C_EEELb1EEENSH_IS1C_EENSJ_INS4_IJS1C_SB_EEELb0EEESM_S1I_S1I_SO_S1I_EEES10_S18_S19_S1A_EENS3_INS4_IJSD_SG_SI_SL_SM_SI_SM_SO_SI_NSN_INS4_IJS7_S8_EEEEENSJ_INS4_IJNS6_IiLi2EEESB_S1C_EEELb0EEEEEENS4_IJSR_SS_ST_SU_SV_SW_SX_SY_SZ_NSQ_IJLi11ELi13EEEES16_EEENS4_IJS11_S12_SW_S13_S14_SZ_S15_S16_S17_NSQ_IJLi14EEEENSQ_IJLi15ELi16ELi17EEEEEEENSQ_IJLi15ELi16ELi17ELi14EEEES1A_EENS3_INS4_IJS1F_S1H_S1I_S1K_SM_S1I_S1I_SO_S1I_NSN_INS4_IJS1C_S1C_EEEEENSJ_INS4_IJSB_S1P_S1C_EEELb0EEEEEES1U_S1X_S1Y_S1A_EELi8ELi16ELi32ELi32ELi256ELi16ELi16ELi2ELi1ELi16ELb1EE3RunILb1ELNS_10TailNumberE10ENS3_INS4_IJNS5_INS4_IJiiEEENS4_IJiSB_EEELb0EEENSJ_IS29_Lb0EEENSH_IiEEEEENS4_IJSR_NSQ_IJLi2EEEENSQ_IJLi1EEEEEEENS4_IJNSQ_IJLi1ELi2EEEENSQ_IJLi3ELi4EEEESU_EEENSQ_IJLi3ELi5ELi4EEEElEES1B_NS_35ThreadGroupTensorSliceTransfer_v4r1INS_15ThisThreadBlockILi64EEENS_16tensor_operation12element_wise11PassThroughES2S_LNS_25InMemoryDataOperationEnumE0ENSQ_IJLi32ELi32ELi8EEEENSQ_IJLi32ELi2ELi1EEEENSQ_IJLi1ELi0ELi2EEEEDF16_DF16_RKS2M_KS1B_S2W_NSQ_IJLi0ELi1ELi2EEEELi2ELi2ELi8ELi8ELi1ELi1ELb0ELb1ELi1EiEENS_13DynamicBufferILNS_16AddressSpaceEnumE1EKDF16_lLb1ELNS_22AmdBufferCoherenceEnumE0EiEENS32_ILS33_2EDF16_S1A_Lb1ELS35_0EiEENS4_IJiiiEEES2M_S1M_NS2N_IS2P_S2S_S2S_LS2T_0ENSQ_IJLi16ELi32ELi16EEEENSQ_IJLi16ELi4ELi1EEEES2W_S2_S2_S2Y_KS1M_S2W_S30_Li2ELi2ELi16ELi16ELi1ELi1ELb0ELb1ELi1EiEENS32_ILS33_1EKS2_lLb1ELS35_0EiEENS32_ILS33_2ES2_S1A_Lb1ELS35_0EiEES38_NS_25StaticBufferTupleOfVectorILS33_4EfLi2ELi8ELb1ELb0EEEEEvRKT1_RKT2_RT3_RKT4_RT5_RKT6_RKT7_RKT8_RT9_RKT10_RT11_RKT12_RT13_i.num_named_barrier, max(0, .L_ZN2ck35ThreadGroupTensorSliceTransfer_v4r1INS_15ThisThreadBlockILi64EEENS_16tensor_operation12element_wise11PassThroughES5_LNS_25InMemoryDataOperationEnumE0ENS_8SequenceIJLi32ELi32ELi8EEEENS7_IJLi32ELi2ELi1EEEENS7_IJLi1ELi0ELi2EEEEDF16_DF16_RKNS_16TensorDescriptorINS_5TupleIJNS_5EmbedINSC_IJiiEEENSC_IJiNS_17integral_constantIiLi1EEEEEELb0EEENS_7UnMergeISE_Lb0EEENS_11PassThroughIiEEEEENSC_IJNS7_IJLi0EEEENS7_IJLi2EEEENS7_IJLi1EEEEEEENSC_IJNS7_IJLi1ELi2EEEENS7_IJLi3ELi4EEEENS7_IJLi5EEEEEEENS7_IJLi3ELi5ELi4EEEElEEKNSB_INSC_IJNSD_INSC_IJNSF_IiLi32EEES10_NSF_IiLi8EEEEEENSC_IJS11_NSF_IiLi256EEESG_EEELb0EEENS_3XorINSC_IJS10_S10_EEELb1EEENSL_IS11_EENSJ_INSC_IJS10_SG_EEELb0EEENSL_IS10_EES19_S1C_NS_21Merge_v3_division_modIS1A_EES19_EEENSC_IJSO_NS7_IJLi2ELi1EEEENS7_IJLi3EEEESU_NS7_IJLi4EEEENS7_IJLi6EEEENS7_IJLi7EEEENS7_IJLi9ELi8EEEENS7_IJLi10EEEEEEENSC_IJNS7_IJLi1ELi2ELi3EEEENS7_IJLi4ELi5EEEES1J_NS7_IJLi7ELi8EEEENS7_IJLi9EEEES1M_NS7_IJLi11EEEENS7_IJLi12EEEENS7_IJLi13EEEEEEENS7_IJLi11ELi12ELi13EEEENSF_IlLl8192EEEEESA_NS7_IJLi0ELi1ELi2EEEELi2ELi2ELi8ELi8ELi1ELi1ELb0ELb1ELi1EiE8RunWriteINS_13DynamicBufferILNS_16AddressSpaceEnumE2EDF16_S1X_Lb1ELNS_22AmdBufferCoherenceEnumE0EiEELi0EEEvRS1Z_RT_NSF_IiXT0_EEE.num_named_barrier, .L_ZNK2ck32ThreadwiseTensorSliceTransfer_v4INS_9f8_fnuz_tEDF16_KNS_16TensorDescriptorINS_5TupleIJNS_5EmbedINS3_IJNS_17integral_constantIiLi16EEENS5_IiLi32EEES6_EEENS3_IJS6_NS5_IiLi256EEENS5_IiLi1EEEEEELb0EEENS_3XorINS3_IJS7_S6_EEELb1EEENS_11PassThroughIS6_EENS_7UnMergeINS3_IJS6_SA_EEELb0EEENSG_IS7_EESH_SH_NS_21Merge_v3_division_modINS3_IJS7_SA_EEEEESH_NSM_INS3_IJS6_S6_EEEEENSI_INS3_IJSA_NS5_IiLi2EEES6_EEELb0EEEEEENS3_IJNS_8SequenceIJLi0EEEENSV_IJLi2ELi1EEEENSV_IJLi3EEEENSV_IJLi5EEEENSV_IJLi4EEEENSV_IJLi6EEEENSV_IJLi7EEEENSV_IJLi9ELi8EEEENSV_IJLi10EEEENSV_IJLi11ELi13EEEENSV_IJLi12EEEEEEENS3_IJNSV_IJLi1ELi2ELi3EEEENSV_IJLi4ELi5EEEES11_NSV_IJLi7ELi8EEEENSV_IJLi9EEEES14_NSV_IJLi11EEEES16_NSV_IJLi13EEEENSV_IJLi14EEEENSV_IJLi15ELi16ELi17EEEEEEENSV_IJLi15ELi16ELi17ELi14EEEENS5_IlLl8192EEEEEKNS2_INS3_IJNS4_INS3_IJSA_SA_SA_NS5_IiLi128EEEEEENS3_IJS1L_S1L_S1L_SA_EEELb0EEEEEENS3_IJSW_EEENS3_IJNSV_IJLi1ELi2ELi3ELi4EEEEEEES1R_NS5_IlLl128EEEEENSV_IJLi1ELi1ELi1ELi128EEEENSV_IJLi0ELi1ELi2ELi3EEEELi3ELi16ELi16ELb0EE3RunINS3_IJNS5_IiLi0EEES20_S20_S20_EEES21_NS_13DynamicBufferILNS_16AddressSpaceEnumE2ES1_S1I_Lb1ELNS_22AmdBufferCoherenceEnumE0EiEENS_12StaticBufferILS23_4EDF16_Li128ELb1EEEEEvRS1K_RKT_RKT1_RS1V_RKT0_RT2_.num_named_barrier)
	.set .L_ZNK2ck31BlockwiseGemmXdlops_pipeline_v1ILNS_26BlockGemmPipelineSchedulerE1ELi64EDF16_NS_9f8_fnuz_tEDF16_fNS_16TensorDescriptorINS_5TupleIJNS_5EmbedINS4_IJNS_17integral_constantIiLi32EEES7_NS6_IiLi8EEEEEENS4_IJS8_NS6_IiLi256EEENS6_IiLi1EEEEEELb0EEENS_3XorINS4_IJS7_S7_EEELb1EEENS_11PassThroughIS8_EENS_7UnMergeINS4_IJS7_SB_EEELb0EEENSH_IS7_EESI_SM_NS_21Merge_v3_division_modISK_EESI_EEENS4_IJNS_8SequenceIJLi0EEEENSQ_IJLi2ELi1EEEENSQ_IJLi3EEEENSQ_IJLi5EEEENSQ_IJLi4EEEENSQ_IJLi6EEEENSQ_IJLi7EEEENSQ_IJLi9ELi8EEEENSQ_IJLi10EEEEEEENS4_IJNSQ_IJLi1ELi2ELi3EEEENSQ_IJLi4ELi5EEEESW_NSQ_IJLi7ELi8EEEENSQ_IJLi9EEEESZ_NSQ_IJLi11EEEENSQ_IJLi12EEEENSQ_IJLi13EEEEEEENSQ_IJLi11ELi12ELi13EEEENS6_IlLl8192EEEEENS3_INS4_IJNS5_INS4_IJNS6_IiLi16EEES7_S1C_EEENS4_IJS1C_SA_SB_EEELb0EEENSE_INS4_IJS7_S1C_EEELb1EEENSH_IS1C_EENSJ_INS4_IJS1C_SB_EEELb0EEESM_S1I_S1I_SO_S1I_EEES10_S18_S19_S1A_EENS3_INS4_IJSD_SG_SI_SL_SM_SI_SM_SO_SI_NSN_INS4_IJS7_S8_EEEEENSJ_INS4_IJNS6_IiLi2EEESB_S1C_EEELb0EEEEEENS4_IJSR_SS_ST_SU_SV_SW_SX_SY_SZ_NSQ_IJLi11ELi13EEEES16_EEENS4_IJS11_S12_SW_S13_S14_SZ_S15_S16_S17_NSQ_IJLi14EEEENSQ_IJLi15ELi16ELi17EEEEEEENSQ_IJLi15ELi16ELi17ELi14EEEES1A_EENS3_INS4_IJS1F_S1H_S1I_S1K_SM_S1I_S1I_SO_S1I_NSN_INS4_IJS1C_S1C_EEEEENSJ_INS4_IJSB_S1P_S1C_EEELb0EEEEEES1U_S1X_S1Y_S1A_EELi8ELi16ELi32ELi32ELi256ELi16ELi16ELi2ELi1ELi16ELb1EE3RunILb1ELNS_10TailNumberE10ENS3_INS4_IJNS5_INS4_IJiiEEENS4_IJiSB_EEELb0EEENSJ_IS29_Lb0EEENSH_IiEEEEENS4_IJSR_NSQ_IJLi2EEEENSQ_IJLi1EEEEEEENS4_IJNSQ_IJLi1ELi2EEEENSQ_IJLi3ELi4EEEESU_EEENSQ_IJLi3ELi5ELi4EEEElEES1B_NS_35ThreadGroupTensorSliceTransfer_v4r1INS_15ThisThreadBlockILi64EEENS_16tensor_operation12element_wise11PassThroughES2S_LNS_25InMemoryDataOperationEnumE0ENSQ_IJLi32ELi32ELi8EEEENSQ_IJLi32ELi2ELi1EEEENSQ_IJLi1ELi0ELi2EEEEDF16_DF16_RKS2M_KS1B_S2W_NSQ_IJLi0ELi1ELi2EEEELi2ELi2ELi8ELi8ELi1ELi1ELb0ELb1ELi1EiEENS_13DynamicBufferILNS_16AddressSpaceEnumE1EKDF16_lLb1ELNS_22AmdBufferCoherenceEnumE0EiEENS32_ILS33_2EDF16_S1A_Lb1ELS35_0EiEENS4_IJiiiEEES2M_S1M_NS2N_IS2P_S2S_S2S_LS2T_0ENSQ_IJLi16ELi32ELi16EEEENSQ_IJLi16ELi4ELi1EEEES2W_S2_S2_S2Y_KS1M_S2W_S30_Li2ELi2ELi16ELi16ELi1ELi1ELb0ELb1ELi1EiEENS32_ILS33_1EKS2_lLb1ELS35_0EiEENS32_ILS33_2ES2_S1A_Lb1ELS35_0EiEES38_NS_25StaticBufferTupleOfVectorILS33_4EfLi2ELi8ELb1ELb0EEEEEvRKT1_RKT2_RT3_RKT4_RT5_RKT6_RKT7_RKT8_RT9_RKT10_RT11_RKT12_RT13_i.private_seg_size, 272+max(.L_ZN2ck35ThreadGroupTensorSliceTransfer_v4r1INS_15ThisThreadBlockILi64EEENS_16tensor_operation12element_wise11PassThroughES5_LNS_25InMemoryDataOperationEnumE0ENS_8SequenceIJLi32ELi32ELi8EEEENS7_IJLi32ELi2ELi1EEEENS7_IJLi1ELi0ELi2EEEEDF16_DF16_RKNS_16TensorDescriptorINS_5TupleIJNS_5EmbedINSC_IJiiEEENSC_IJiNS_17integral_constantIiLi1EEEEEELb0EEENS_7UnMergeISE_Lb0EEENS_11PassThroughIiEEEEENSC_IJNS7_IJLi0EEEENS7_IJLi2EEEENS7_IJLi1EEEEEEENSC_IJNS7_IJLi1ELi2EEEENS7_IJLi3ELi4EEEENS7_IJLi5EEEEEEENS7_IJLi3ELi5ELi4EEEElEEKNSB_INSC_IJNSD_INSC_IJNSF_IiLi32EEES10_NSF_IiLi8EEEEEENSC_IJS11_NSF_IiLi256EEESG_EEELb0EEENS_3XorINSC_IJS10_S10_EEELb1EEENSL_IS11_EENSJ_INSC_IJS10_SG_EEELb0EEENSL_IS10_EES19_S1C_NS_21Merge_v3_division_modIS1A_EES19_EEENSC_IJSO_NS7_IJLi2ELi1EEEENS7_IJLi3EEEESU_NS7_IJLi4EEEENS7_IJLi6EEEENS7_IJLi7EEEENS7_IJLi9ELi8EEEENS7_IJLi10EEEEEEENSC_IJNS7_IJLi1ELi2ELi3EEEENS7_IJLi4ELi5EEEES1J_NS7_IJLi7ELi8EEEENS7_IJLi9EEEES1M_NS7_IJLi11EEEENS7_IJLi12EEEENS7_IJLi13EEEEEEENS7_IJLi11ELi12ELi13EEEENSF_IlLl8192EEEEESA_NS7_IJLi0ELi1ELi2EEEELi2ELi2ELi8ELi8ELi1ELi1ELb0ELb1ELi1EiE8RunWriteINS_13DynamicBufferILNS_16AddressSpaceEnumE2EDF16_S1X_Lb1ELNS_22AmdBufferCoherenceEnumE0EiEELi0EEEvRS1Z_RT_NSF_IiXT0_EEE.private_seg_size, .L_ZNK2ck32ThreadwiseTensorSliceTransfer_v4INS_9f8_fnuz_tEDF16_KNS_16TensorDescriptorINS_5TupleIJNS_5EmbedINS3_IJNS_17integral_constantIiLi16EEENS5_IiLi32EEES6_EEENS3_IJS6_NS5_IiLi256EEENS5_IiLi1EEEEEELb0EEENS_3XorINS3_IJS7_S6_EEELb1EEENS_11PassThroughIS6_EENS_7UnMergeINS3_IJS6_SA_EEELb0EEENSG_IS7_EESH_SH_NS_21Merge_v3_division_modINS3_IJS7_SA_EEEEESH_NSM_INS3_IJS6_S6_EEEEENSI_INS3_IJSA_NS5_IiLi2EEES6_EEELb0EEEEEENS3_IJNS_8SequenceIJLi0EEEENSV_IJLi2ELi1EEEENSV_IJLi3EEEENSV_IJLi5EEEENSV_IJLi4EEEENSV_IJLi6EEEENSV_IJLi7EEEENSV_IJLi9ELi8EEEENSV_IJLi10EEEENSV_IJLi11ELi13EEEENSV_IJLi12EEEEEEENS3_IJNSV_IJLi1ELi2ELi3EEEENSV_IJLi4ELi5EEEES11_NSV_IJLi7ELi8EEEENSV_IJLi9EEEES14_NSV_IJLi11EEEES16_NSV_IJLi13EEEENSV_IJLi14EEEENSV_IJLi15ELi16ELi17EEEEEEENSV_IJLi15ELi16ELi17ELi14EEEENS5_IlLl8192EEEEEKNS2_INS3_IJNS4_INS3_IJSA_SA_SA_NS5_IiLi128EEEEEENS3_IJS1L_S1L_S1L_SA_EEELb0EEEEEENS3_IJSW_EEENS3_IJNSV_IJLi1ELi2ELi3ELi4EEEEEEES1R_NS5_IlLl128EEEEENSV_IJLi1ELi1ELi1ELi128EEEENSV_IJLi0ELi1ELi2ELi3EEEELi3ELi16ELi16ELb0EE3RunINS3_IJNS5_IiLi0EEES20_S20_S20_EEES21_NS_13DynamicBufferILNS_16AddressSpaceEnumE2ES1_S1I_Lb1ELNS_22AmdBufferCoherenceEnumE0EiEENS_12StaticBufferILS23_4EDF16_Li128ELb1EEEEEvRS1K_RKT_RKT1_RS1V_RKT0_RT2_.private_seg_size)
	.set .L_ZNK2ck31BlockwiseGemmXdlops_pipeline_v1ILNS_26BlockGemmPipelineSchedulerE1ELi64EDF16_NS_9f8_fnuz_tEDF16_fNS_16TensorDescriptorINS_5TupleIJNS_5EmbedINS4_IJNS_17integral_constantIiLi32EEES7_NS6_IiLi8EEEEEENS4_IJS8_NS6_IiLi256EEENS6_IiLi1EEEEEELb0EEENS_3XorINS4_IJS7_S7_EEELb1EEENS_11PassThroughIS8_EENS_7UnMergeINS4_IJS7_SB_EEELb0EEENSH_IS7_EESI_SM_NS_21Merge_v3_division_modISK_EESI_EEENS4_IJNS_8SequenceIJLi0EEEENSQ_IJLi2ELi1EEEENSQ_IJLi3EEEENSQ_IJLi5EEEENSQ_IJLi4EEEENSQ_IJLi6EEEENSQ_IJLi7EEEENSQ_IJLi9ELi8EEEENSQ_IJLi10EEEEEEENS4_IJNSQ_IJLi1ELi2ELi3EEEENSQ_IJLi4ELi5EEEESW_NSQ_IJLi7ELi8EEEENSQ_IJLi9EEEESZ_NSQ_IJLi11EEEENSQ_IJLi12EEEENSQ_IJLi13EEEEEEENSQ_IJLi11ELi12ELi13EEEENS6_IlLl8192EEEEENS3_INS4_IJNS5_INS4_IJNS6_IiLi16EEES7_S1C_EEENS4_IJS1C_SA_SB_EEELb0EEENSE_INS4_IJS7_S1C_EEELb1EEENSH_IS1C_EENSJ_INS4_IJS1C_SB_EEELb0EEESM_S1I_S1I_SO_S1I_EEES10_S18_S19_S1A_EENS3_INS4_IJSD_SG_SI_SL_SM_SI_SM_SO_SI_NSN_INS4_IJS7_S8_EEEEENSJ_INS4_IJNS6_IiLi2EEESB_S1C_EEELb0EEEEEENS4_IJSR_SS_ST_SU_SV_SW_SX_SY_SZ_NSQ_IJLi11ELi13EEEES16_EEENS4_IJS11_S12_SW_S13_S14_SZ_S15_S16_S17_NSQ_IJLi14EEEENSQ_IJLi15ELi16ELi17EEEEEEENSQ_IJLi15ELi16ELi17ELi14EEEES1A_EENS3_INS4_IJS1F_S1H_S1I_S1K_SM_S1I_S1I_SO_S1I_NSN_INS4_IJS1C_S1C_EEEEENSJ_INS4_IJSB_S1P_S1C_EEELb0EEEEEES1U_S1X_S1Y_S1A_EELi8ELi16ELi32ELi32ELi256ELi16ELi16ELi2ELi1ELi16ELb1EE3RunILb1ELNS_10TailNumberE10ENS3_INS4_IJNS5_INS4_IJiiEEENS4_IJiSB_EEELb0EEENSJ_IS29_Lb0EEENSH_IiEEEEENS4_IJSR_NSQ_IJLi2EEEENSQ_IJLi1EEEEEEENS4_IJNSQ_IJLi1ELi2EEEENSQ_IJLi3ELi4EEEESU_EEENSQ_IJLi3ELi5ELi4EEEElEES1B_NS_35ThreadGroupTensorSliceTransfer_v4r1INS_15ThisThreadBlockILi64EEENS_16tensor_operation12element_wise11PassThroughES2S_LNS_25InMemoryDataOperationEnumE0ENSQ_IJLi32ELi32ELi8EEEENSQ_IJLi32ELi2ELi1EEEENSQ_IJLi1ELi0ELi2EEEEDF16_DF16_RKS2M_KS1B_S2W_NSQ_IJLi0ELi1ELi2EEEELi2ELi2ELi8ELi8ELi1ELi1ELb0ELb1ELi1EiEENS_13DynamicBufferILNS_16AddressSpaceEnumE1EKDF16_lLb1ELNS_22AmdBufferCoherenceEnumE0EiEENS32_ILS33_2EDF16_S1A_Lb1ELS35_0EiEENS4_IJiiiEEES2M_S1M_NS2N_IS2P_S2S_S2S_LS2T_0ENSQ_IJLi16ELi32ELi16EEEENSQ_IJLi16ELi4ELi1EEEES2W_S2_S2_S2Y_KS1M_S2W_S30_Li2ELi2ELi16ELi16ELi1ELi1ELb0ELb1ELi1EiEENS32_ILS33_1EKS2_lLb1ELS35_0EiEENS32_ILS33_2ES2_S1A_Lb1ELS35_0EiEES38_NS_25StaticBufferTupleOfVectorILS33_4EfLi2ELi8ELb1ELb0EEEEEvRKT1_RKT2_RT3_RKT4_RT5_RKT6_RKT7_RKT8_RT9_RKT10_RT11_RKT12_RT13_i.uses_vcc, or(1, .L_ZN2ck35ThreadGroupTensorSliceTransfer_v4r1INS_15ThisThreadBlockILi64EEENS_16tensor_operation12element_wise11PassThroughES5_LNS_25InMemoryDataOperationEnumE0ENS_8SequenceIJLi32ELi32ELi8EEEENS7_IJLi32ELi2ELi1EEEENS7_IJLi1ELi0ELi2EEEEDF16_DF16_RKNS_16TensorDescriptorINS_5TupleIJNS_5EmbedINSC_IJiiEEENSC_IJiNS_17integral_constantIiLi1EEEEEELb0EEENS_7UnMergeISE_Lb0EEENS_11PassThroughIiEEEEENSC_IJNS7_IJLi0EEEENS7_IJLi2EEEENS7_IJLi1EEEEEEENSC_IJNS7_IJLi1ELi2EEEENS7_IJLi3ELi4EEEENS7_IJLi5EEEEEEENS7_IJLi3ELi5ELi4EEEElEEKNSB_INSC_IJNSD_INSC_IJNSF_IiLi32EEES10_NSF_IiLi8EEEEEENSC_IJS11_NSF_IiLi256EEESG_EEELb0EEENS_3XorINSC_IJS10_S10_EEELb1EEENSL_IS11_EENSJ_INSC_IJS10_SG_EEELb0EEENSL_IS10_EES19_S1C_NS_21Merge_v3_division_modIS1A_EES19_EEENSC_IJSO_NS7_IJLi2ELi1EEEENS7_IJLi3EEEESU_NS7_IJLi4EEEENS7_IJLi6EEEENS7_IJLi7EEEENS7_IJLi9ELi8EEEENS7_IJLi10EEEEEEENSC_IJNS7_IJLi1ELi2ELi3EEEENS7_IJLi4ELi5EEEES1J_NS7_IJLi7ELi8EEEENS7_IJLi9EEEES1M_NS7_IJLi11EEEENS7_IJLi12EEEENS7_IJLi13EEEEEEENS7_IJLi11ELi12ELi13EEEENSF_IlLl8192EEEEESA_NS7_IJLi0ELi1ELi2EEEELi2ELi2ELi8ELi8ELi1ELi1ELb0ELb1ELi1EiE8RunWriteINS_13DynamicBufferILNS_16AddressSpaceEnumE2EDF16_S1X_Lb1ELNS_22AmdBufferCoherenceEnumE0EiEELi0EEEvRS1Z_RT_NSF_IiXT0_EEE.uses_vcc, .L_ZNK2ck32ThreadwiseTensorSliceTransfer_v4INS_9f8_fnuz_tEDF16_KNS_16TensorDescriptorINS_5TupleIJNS_5EmbedINS3_IJNS_17integral_constantIiLi16EEENS5_IiLi32EEES6_EEENS3_IJS6_NS5_IiLi256EEENS5_IiLi1EEEEEELb0EEENS_3XorINS3_IJS7_S6_EEELb1EEENS_11PassThroughIS6_EENS_7UnMergeINS3_IJS6_SA_EEELb0EEENSG_IS7_EESH_SH_NS_21Merge_v3_division_modINS3_IJS7_SA_EEEEESH_NSM_INS3_IJS6_S6_EEEEENSI_INS3_IJSA_NS5_IiLi2EEES6_EEELb0EEEEEENS3_IJNS_8SequenceIJLi0EEEENSV_IJLi2ELi1EEEENSV_IJLi3EEEENSV_IJLi5EEEENSV_IJLi4EEEENSV_IJLi6EEEENSV_IJLi7EEEENSV_IJLi9ELi8EEEENSV_IJLi10EEEENSV_IJLi11ELi13EEEENSV_IJLi12EEEEEEENS3_IJNSV_IJLi1ELi2ELi3EEEENSV_IJLi4ELi5EEEES11_NSV_IJLi7ELi8EEEENSV_IJLi9EEEES14_NSV_IJLi11EEEES16_NSV_IJLi13EEEENSV_IJLi14EEEENSV_IJLi15ELi16ELi17EEEEEEENSV_IJLi15ELi16ELi17ELi14EEEENS5_IlLl8192EEEEEKNS2_INS3_IJNS4_INS3_IJSA_SA_SA_NS5_IiLi128EEEEEENS3_IJS1L_S1L_S1L_SA_EEELb0EEEEEENS3_IJSW_EEENS3_IJNSV_IJLi1ELi2ELi3ELi4EEEEEEES1R_NS5_IlLl128EEEEENSV_IJLi1ELi1ELi1ELi128EEEENSV_IJLi0ELi1ELi2ELi3EEEELi3ELi16ELi16ELb0EE3RunINS3_IJNS5_IiLi0EEES20_S20_S20_EEES21_NS_13DynamicBufferILNS_16AddressSpaceEnumE2ES1_S1I_Lb1ELNS_22AmdBufferCoherenceEnumE0EiEENS_12StaticBufferILS23_4EDF16_Li128ELb1EEEEEvRS1K_RKT_RKT1_RS1V_RKT0_RT2_.uses_vcc)
	.set .L_ZNK2ck31BlockwiseGemmXdlops_pipeline_v1ILNS_26BlockGemmPipelineSchedulerE1ELi64EDF16_NS_9f8_fnuz_tEDF16_fNS_16TensorDescriptorINS_5TupleIJNS_5EmbedINS4_IJNS_17integral_constantIiLi32EEES7_NS6_IiLi8EEEEEENS4_IJS8_NS6_IiLi256EEENS6_IiLi1EEEEEELb0EEENS_3XorINS4_IJS7_S7_EEELb1EEENS_11PassThroughIS8_EENS_7UnMergeINS4_IJS7_SB_EEELb0EEENSH_IS7_EESI_SM_NS_21Merge_v3_division_modISK_EESI_EEENS4_IJNS_8SequenceIJLi0EEEENSQ_IJLi2ELi1EEEENSQ_IJLi3EEEENSQ_IJLi5EEEENSQ_IJLi4EEEENSQ_IJLi6EEEENSQ_IJLi7EEEENSQ_IJLi9ELi8EEEENSQ_IJLi10EEEEEEENS4_IJNSQ_IJLi1ELi2ELi3EEEENSQ_IJLi4ELi5EEEESW_NSQ_IJLi7ELi8EEEENSQ_IJLi9EEEESZ_NSQ_IJLi11EEEENSQ_IJLi12EEEENSQ_IJLi13EEEEEEENSQ_IJLi11ELi12ELi13EEEENS6_IlLl8192EEEEENS3_INS4_IJNS5_INS4_IJNS6_IiLi16EEES7_S1C_EEENS4_IJS1C_SA_SB_EEELb0EEENSE_INS4_IJS7_S1C_EEELb1EEENSH_IS1C_EENSJ_INS4_IJS1C_SB_EEELb0EEESM_S1I_S1I_SO_S1I_EEES10_S18_S19_S1A_EENS3_INS4_IJSD_SG_SI_SL_SM_SI_SM_SO_SI_NSN_INS4_IJS7_S8_EEEEENSJ_INS4_IJNS6_IiLi2EEESB_S1C_EEELb0EEEEEENS4_IJSR_SS_ST_SU_SV_SW_SX_SY_SZ_NSQ_IJLi11ELi13EEEES16_EEENS4_IJS11_S12_SW_S13_S14_SZ_S15_S16_S17_NSQ_IJLi14EEEENSQ_IJLi15ELi16ELi17EEEEEEENSQ_IJLi15ELi16ELi17ELi14EEEES1A_EENS3_INS4_IJS1F_S1H_S1I_S1K_SM_S1I_S1I_SO_S1I_NSN_INS4_IJS1C_S1C_EEEEENSJ_INS4_IJSB_S1P_S1C_EEELb0EEEEEES1U_S1X_S1Y_S1A_EELi8ELi16ELi32ELi32ELi256ELi16ELi16ELi2ELi1ELi16ELb1EE3RunILb1ELNS_10TailNumberE10ENS3_INS4_IJNS5_INS4_IJiiEEENS4_IJiSB_EEELb0EEENSJ_IS29_Lb0EEENSH_IiEEEEENS4_IJSR_NSQ_IJLi2EEEENSQ_IJLi1EEEEEEENS4_IJNSQ_IJLi1ELi2EEEENSQ_IJLi3ELi4EEEESU_EEENSQ_IJLi3ELi5ELi4EEEElEES1B_NS_35ThreadGroupTensorSliceTransfer_v4r1INS_15ThisThreadBlockILi64EEENS_16tensor_operation12element_wise11PassThroughES2S_LNS_25InMemoryDataOperationEnumE0ENSQ_IJLi32ELi32ELi8EEEENSQ_IJLi32ELi2ELi1EEEENSQ_IJLi1ELi0ELi2EEEEDF16_DF16_RKS2M_KS1B_S2W_NSQ_IJLi0ELi1ELi2EEEELi2ELi2ELi8ELi8ELi1ELi1ELb0ELb1ELi1EiEENS_13DynamicBufferILNS_16AddressSpaceEnumE1EKDF16_lLb1ELNS_22AmdBufferCoherenceEnumE0EiEENS32_ILS33_2EDF16_S1A_Lb1ELS35_0EiEENS4_IJiiiEEES2M_S1M_NS2N_IS2P_S2S_S2S_LS2T_0ENSQ_IJLi16ELi32ELi16EEEENSQ_IJLi16ELi4ELi1EEEES2W_S2_S2_S2Y_KS1M_S2W_S30_Li2ELi2ELi16ELi16ELi1ELi1ELb0ELb1ELi1EiEENS32_ILS33_1EKS2_lLb1ELS35_0EiEENS32_ILS33_2ES2_S1A_Lb1ELS35_0EiEES38_NS_25StaticBufferTupleOfVectorILS33_4EfLi2ELi8ELb1ELb0EEEEEvRKT1_RKT2_RT3_RKT4_RT5_RKT6_RKT7_RKT8_RT9_RKT10_RT11_RKT12_RT13_i.uses_flat_scratch, or(1, .L_ZN2ck35ThreadGroupTensorSliceTransfer_v4r1INS_15ThisThreadBlockILi64EEENS_16tensor_operation12element_wise11PassThroughES5_LNS_25InMemoryDataOperationEnumE0ENS_8SequenceIJLi32ELi32ELi8EEEENS7_IJLi32ELi2ELi1EEEENS7_IJLi1ELi0ELi2EEEEDF16_DF16_RKNS_16TensorDescriptorINS_5TupleIJNS_5EmbedINSC_IJiiEEENSC_IJiNS_17integral_constantIiLi1EEEEEELb0EEENS_7UnMergeISE_Lb0EEENS_11PassThroughIiEEEEENSC_IJNS7_IJLi0EEEENS7_IJLi2EEEENS7_IJLi1EEEEEEENSC_IJNS7_IJLi1ELi2EEEENS7_IJLi3ELi4EEEENS7_IJLi5EEEEEEENS7_IJLi3ELi5ELi4EEEElEEKNSB_INSC_IJNSD_INSC_IJNSF_IiLi32EEES10_NSF_IiLi8EEEEEENSC_IJS11_NSF_IiLi256EEESG_EEELb0EEENS_3XorINSC_IJS10_S10_EEELb1EEENSL_IS11_EENSJ_INSC_IJS10_SG_EEELb0EEENSL_IS10_EES19_S1C_NS_21Merge_v3_division_modIS1A_EES19_EEENSC_IJSO_NS7_IJLi2ELi1EEEENS7_IJLi3EEEESU_NS7_IJLi4EEEENS7_IJLi6EEEENS7_IJLi7EEEENS7_IJLi9ELi8EEEENS7_IJLi10EEEEEEENSC_IJNS7_IJLi1ELi2ELi3EEEENS7_IJLi4ELi5EEEES1J_NS7_IJLi7ELi8EEEENS7_IJLi9EEEES1M_NS7_IJLi11EEEENS7_IJLi12EEEENS7_IJLi13EEEEEEENS7_IJLi11ELi12ELi13EEEENSF_IlLl8192EEEEESA_NS7_IJLi0ELi1ELi2EEEELi2ELi2ELi8ELi8ELi1ELi1ELb0ELb1ELi1EiE8RunWriteINS_13DynamicBufferILNS_16AddressSpaceEnumE2EDF16_S1X_Lb1ELNS_22AmdBufferCoherenceEnumE0EiEELi0EEEvRS1Z_RT_NSF_IiXT0_EEE.uses_flat_scratch, .L_ZNK2ck32ThreadwiseTensorSliceTransfer_v4INS_9f8_fnuz_tEDF16_KNS_16TensorDescriptorINS_5TupleIJNS_5EmbedINS3_IJNS_17integral_constantIiLi16EEENS5_IiLi32EEES6_EEENS3_IJS6_NS5_IiLi256EEENS5_IiLi1EEEEEELb0EEENS_3XorINS3_IJS7_S6_EEELb1EEENS_11PassThroughIS6_EENS_7UnMergeINS3_IJS6_SA_EEELb0EEENSG_IS7_EESH_SH_NS_21Merge_v3_division_modINS3_IJS7_SA_EEEEESH_NSM_INS3_IJS6_S6_EEEEENSI_INS3_IJSA_NS5_IiLi2EEES6_EEELb0EEEEEENS3_IJNS_8SequenceIJLi0EEEENSV_IJLi2ELi1EEEENSV_IJLi3EEEENSV_IJLi5EEEENSV_IJLi4EEEENSV_IJLi6EEEENSV_IJLi7EEEENSV_IJLi9ELi8EEEENSV_IJLi10EEEENSV_IJLi11ELi13EEEENSV_IJLi12EEEEEEENS3_IJNSV_IJLi1ELi2ELi3EEEENSV_IJLi4ELi5EEEES11_NSV_IJLi7ELi8EEEENSV_IJLi9EEEES14_NSV_IJLi11EEEES16_NSV_IJLi13EEEENSV_IJLi14EEEENSV_IJLi15ELi16ELi17EEEEEEENSV_IJLi15ELi16ELi17ELi14EEEENS5_IlLl8192EEEEEKNS2_INS3_IJNS4_INS3_IJSA_SA_SA_NS5_IiLi128EEEEEENS3_IJS1L_S1L_S1L_SA_EEELb0EEEEEENS3_IJSW_EEENS3_IJNSV_IJLi1ELi2ELi3ELi4EEEEEEES1R_NS5_IlLl128EEEEENSV_IJLi1ELi1ELi1ELi128EEEENSV_IJLi0ELi1ELi2ELi3EEEELi3ELi16ELi16ELb0EE3RunINS3_IJNS5_IiLi0EEES20_S20_S20_EEES21_NS_13DynamicBufferILNS_16AddressSpaceEnumE2ES1_S1I_Lb1ELNS_22AmdBufferCoherenceEnumE0EiEENS_12StaticBufferILS23_4EDF16_Li128ELb1EEEEEvRS1K_RKT_RKT1_RS1V_RKT0_RT2_.uses_flat_scratch)
	.set .L_ZNK2ck31BlockwiseGemmXdlops_pipeline_v1ILNS_26BlockGemmPipelineSchedulerE1ELi64EDF16_NS_9f8_fnuz_tEDF16_fNS_16TensorDescriptorINS_5TupleIJNS_5EmbedINS4_IJNS_17integral_constantIiLi32EEES7_NS6_IiLi8EEEEEENS4_IJS8_NS6_IiLi256EEENS6_IiLi1EEEEEELb0EEENS_3XorINS4_IJS7_S7_EEELb1EEENS_11PassThroughIS8_EENS_7UnMergeINS4_IJS7_SB_EEELb0EEENSH_IS7_EESI_SM_NS_21Merge_v3_division_modISK_EESI_EEENS4_IJNS_8SequenceIJLi0EEEENSQ_IJLi2ELi1EEEENSQ_IJLi3EEEENSQ_IJLi5EEEENSQ_IJLi4EEEENSQ_IJLi6EEEENSQ_IJLi7EEEENSQ_IJLi9ELi8EEEENSQ_IJLi10EEEEEEENS4_IJNSQ_IJLi1ELi2ELi3EEEENSQ_IJLi4ELi5EEEESW_NSQ_IJLi7ELi8EEEENSQ_IJLi9EEEESZ_NSQ_IJLi11EEEENSQ_IJLi12EEEENSQ_IJLi13EEEEEEENSQ_IJLi11ELi12ELi13EEEENS6_IlLl8192EEEEENS3_INS4_IJNS5_INS4_IJNS6_IiLi16EEES7_S1C_EEENS4_IJS1C_SA_SB_EEELb0EEENSE_INS4_IJS7_S1C_EEELb1EEENSH_IS1C_EENSJ_INS4_IJS1C_SB_EEELb0EEESM_S1I_S1I_SO_S1I_EEES10_S18_S19_S1A_EENS3_INS4_IJSD_SG_SI_SL_SM_SI_SM_SO_SI_NSN_INS4_IJS7_S8_EEEEENSJ_INS4_IJNS6_IiLi2EEESB_S1C_EEELb0EEEEEENS4_IJSR_SS_ST_SU_SV_SW_SX_SY_SZ_NSQ_IJLi11ELi13EEEES16_EEENS4_IJS11_S12_SW_S13_S14_SZ_S15_S16_S17_NSQ_IJLi14EEEENSQ_IJLi15ELi16ELi17EEEEEEENSQ_IJLi15ELi16ELi17ELi14EEEES1A_EENS3_INS4_IJS1F_S1H_S1I_S1K_SM_S1I_S1I_SO_S1I_NSN_INS4_IJS1C_S1C_EEEEENSJ_INS4_IJSB_S1P_S1C_EEELb0EEEEEES1U_S1X_S1Y_S1A_EELi8ELi16ELi32ELi32ELi256ELi16ELi16ELi2ELi1ELi16ELb1EE3RunILb1ELNS_10TailNumberE10ENS3_INS4_IJNS5_INS4_IJiiEEENS4_IJiSB_EEELb0EEENSJ_IS29_Lb0EEENSH_IiEEEEENS4_IJSR_NSQ_IJLi2EEEENSQ_IJLi1EEEEEEENS4_IJNSQ_IJLi1ELi2EEEENSQ_IJLi3ELi4EEEESU_EEENSQ_IJLi3ELi5ELi4EEEElEES1B_NS_35ThreadGroupTensorSliceTransfer_v4r1INS_15ThisThreadBlockILi64EEENS_16tensor_operation12element_wise11PassThroughES2S_LNS_25InMemoryDataOperationEnumE0ENSQ_IJLi32ELi32ELi8EEEENSQ_IJLi32ELi2ELi1EEEENSQ_IJLi1ELi0ELi2EEEEDF16_DF16_RKS2M_KS1B_S2W_NSQ_IJLi0ELi1ELi2EEEELi2ELi2ELi8ELi8ELi1ELi1ELb0ELb1ELi1EiEENS_13DynamicBufferILNS_16AddressSpaceEnumE1EKDF16_lLb1ELNS_22AmdBufferCoherenceEnumE0EiEENS32_ILS33_2EDF16_S1A_Lb1ELS35_0EiEENS4_IJiiiEEES2M_S1M_NS2N_IS2P_S2S_S2S_LS2T_0ENSQ_IJLi16ELi32ELi16EEEENSQ_IJLi16ELi4ELi1EEEES2W_S2_S2_S2Y_KS1M_S2W_S30_Li2ELi2ELi16ELi16ELi1ELi1ELb0ELb1ELi1EiEENS32_ILS33_1EKS2_lLb1ELS35_0EiEENS32_ILS33_2ES2_S1A_Lb1ELS35_0EiEES38_NS_25StaticBufferTupleOfVectorILS33_4EfLi2ELi8ELb1ELb0EEEEEvRKT1_RKT2_RT3_RKT4_RT5_RKT6_RKT7_RKT8_RT9_RKT10_RT11_RKT12_RT13_i.has_dyn_sized_stack, or(0, .L_ZN2ck35ThreadGroupTensorSliceTransfer_v4r1INS_15ThisThreadBlockILi64EEENS_16tensor_operation12element_wise11PassThroughES5_LNS_25InMemoryDataOperationEnumE0ENS_8SequenceIJLi32ELi32ELi8EEEENS7_IJLi32ELi2ELi1EEEENS7_IJLi1ELi0ELi2EEEEDF16_DF16_RKNS_16TensorDescriptorINS_5TupleIJNS_5EmbedINSC_IJiiEEENSC_IJiNS_17integral_constantIiLi1EEEEEELb0EEENS_7UnMergeISE_Lb0EEENS_11PassThroughIiEEEEENSC_IJNS7_IJLi0EEEENS7_IJLi2EEEENS7_IJLi1EEEEEEENSC_IJNS7_IJLi1ELi2EEEENS7_IJLi3ELi4EEEENS7_IJLi5EEEEEEENS7_IJLi3ELi5ELi4EEEElEEKNSB_INSC_IJNSD_INSC_IJNSF_IiLi32EEES10_NSF_IiLi8EEEEEENSC_IJS11_NSF_IiLi256EEESG_EEELb0EEENS_3XorINSC_IJS10_S10_EEELb1EEENSL_IS11_EENSJ_INSC_IJS10_SG_EEELb0EEENSL_IS10_EES19_S1C_NS_21Merge_v3_division_modIS1A_EES19_EEENSC_IJSO_NS7_IJLi2ELi1EEEENS7_IJLi3EEEESU_NS7_IJLi4EEEENS7_IJLi6EEEENS7_IJLi7EEEENS7_IJLi9ELi8EEEENS7_IJLi10EEEEEEENSC_IJNS7_IJLi1ELi2ELi3EEEENS7_IJLi4ELi5EEEES1J_NS7_IJLi7ELi8EEEENS7_IJLi9EEEES1M_NS7_IJLi11EEEENS7_IJLi12EEEENS7_IJLi13EEEEEEENS7_IJLi11ELi12ELi13EEEENSF_IlLl8192EEEEESA_NS7_IJLi0ELi1ELi2EEEELi2ELi2ELi8ELi8ELi1ELi1ELb0ELb1ELi1EiE8RunWriteINS_13DynamicBufferILNS_16AddressSpaceEnumE2EDF16_S1X_Lb1ELNS_22AmdBufferCoherenceEnumE0EiEELi0EEEvRS1Z_RT_NSF_IiXT0_EEE.has_dyn_sized_stack, .L_ZNK2ck32ThreadwiseTensorSliceTransfer_v4INS_9f8_fnuz_tEDF16_KNS_16TensorDescriptorINS_5TupleIJNS_5EmbedINS3_IJNS_17integral_constantIiLi16EEENS5_IiLi32EEES6_EEENS3_IJS6_NS5_IiLi256EEENS5_IiLi1EEEEEELb0EEENS_3XorINS3_IJS7_S6_EEELb1EEENS_11PassThroughIS6_EENS_7UnMergeINS3_IJS6_SA_EEELb0EEENSG_IS7_EESH_SH_NS_21Merge_v3_division_modINS3_IJS7_SA_EEEEESH_NSM_INS3_IJS6_S6_EEEEENSI_INS3_IJSA_NS5_IiLi2EEES6_EEELb0EEEEEENS3_IJNS_8SequenceIJLi0EEEENSV_IJLi2ELi1EEEENSV_IJLi3EEEENSV_IJLi5EEEENSV_IJLi4EEEENSV_IJLi6EEEENSV_IJLi7EEEENSV_IJLi9ELi8EEEENSV_IJLi10EEEENSV_IJLi11ELi13EEEENSV_IJLi12EEEEEEENS3_IJNSV_IJLi1ELi2ELi3EEEENSV_IJLi4ELi5EEEES11_NSV_IJLi7ELi8EEEENSV_IJLi9EEEES14_NSV_IJLi11EEEES16_NSV_IJLi13EEEENSV_IJLi14EEEENSV_IJLi15ELi16ELi17EEEEEEENSV_IJLi15ELi16ELi17ELi14EEEENS5_IlLl8192EEEEEKNS2_INS3_IJNS4_INS3_IJSA_SA_SA_NS5_IiLi128EEEEEENS3_IJS1L_S1L_S1L_SA_EEELb0EEEEEENS3_IJSW_EEENS3_IJNSV_IJLi1ELi2ELi3ELi4EEEEEEES1R_NS5_IlLl128EEEEENSV_IJLi1ELi1ELi1ELi128EEEENSV_IJLi0ELi1ELi2ELi3EEEELi3ELi16ELi16ELb0EE3RunINS3_IJNS5_IiLi0EEES20_S20_S20_EEES21_NS_13DynamicBufferILNS_16AddressSpaceEnumE2ES1_S1I_Lb1ELNS_22AmdBufferCoherenceEnumE0EiEENS_12StaticBufferILS23_4EDF16_Li128ELb1EEEEEvRS1K_RKT_RKT1_RS1V_RKT0_RT2_.has_dyn_sized_stack)
	.set .L_ZNK2ck31BlockwiseGemmXdlops_pipeline_v1ILNS_26BlockGemmPipelineSchedulerE1ELi64EDF16_NS_9f8_fnuz_tEDF16_fNS_16TensorDescriptorINS_5TupleIJNS_5EmbedINS4_IJNS_17integral_constantIiLi32EEES7_NS6_IiLi8EEEEEENS4_IJS8_NS6_IiLi256EEENS6_IiLi1EEEEEELb0EEENS_3XorINS4_IJS7_S7_EEELb1EEENS_11PassThroughIS8_EENS_7UnMergeINS4_IJS7_SB_EEELb0EEENSH_IS7_EESI_SM_NS_21Merge_v3_division_modISK_EESI_EEENS4_IJNS_8SequenceIJLi0EEEENSQ_IJLi2ELi1EEEENSQ_IJLi3EEEENSQ_IJLi5EEEENSQ_IJLi4EEEENSQ_IJLi6EEEENSQ_IJLi7EEEENSQ_IJLi9ELi8EEEENSQ_IJLi10EEEEEEENS4_IJNSQ_IJLi1ELi2ELi3EEEENSQ_IJLi4ELi5EEEESW_NSQ_IJLi7ELi8EEEENSQ_IJLi9EEEESZ_NSQ_IJLi11EEEENSQ_IJLi12EEEENSQ_IJLi13EEEEEEENSQ_IJLi11ELi12ELi13EEEENS6_IlLl8192EEEEENS3_INS4_IJNS5_INS4_IJNS6_IiLi16EEES7_S1C_EEENS4_IJS1C_SA_SB_EEELb0EEENSE_INS4_IJS7_S1C_EEELb1EEENSH_IS1C_EENSJ_INS4_IJS1C_SB_EEELb0EEESM_S1I_S1I_SO_S1I_EEES10_S18_S19_S1A_EENS3_INS4_IJSD_SG_SI_SL_SM_SI_SM_SO_SI_NSN_INS4_IJS7_S8_EEEEENSJ_INS4_IJNS6_IiLi2EEESB_S1C_EEELb0EEEEEENS4_IJSR_SS_ST_SU_SV_SW_SX_SY_SZ_NSQ_IJLi11ELi13EEEES16_EEENS4_IJS11_S12_SW_S13_S14_SZ_S15_S16_S17_NSQ_IJLi14EEEENSQ_IJLi15ELi16ELi17EEEEEEENSQ_IJLi15ELi16ELi17ELi14EEEES1A_EENS3_INS4_IJS1F_S1H_S1I_S1K_SM_S1I_S1I_SO_S1I_NSN_INS4_IJS1C_S1C_EEEEENSJ_INS4_IJSB_S1P_S1C_EEELb0EEEEEES1U_S1X_S1Y_S1A_EELi8ELi16ELi32ELi32ELi256ELi16ELi16ELi2ELi1ELi16ELb1EE3RunILb1ELNS_10TailNumberE10ENS3_INS4_IJNS5_INS4_IJiiEEENS4_IJiSB_EEELb0EEENSJ_IS29_Lb0EEENSH_IiEEEEENS4_IJSR_NSQ_IJLi2EEEENSQ_IJLi1EEEEEEENS4_IJNSQ_IJLi1ELi2EEEENSQ_IJLi3ELi4EEEESU_EEENSQ_IJLi3ELi5ELi4EEEElEES1B_NS_35ThreadGroupTensorSliceTransfer_v4r1INS_15ThisThreadBlockILi64EEENS_16tensor_operation12element_wise11PassThroughES2S_LNS_25InMemoryDataOperationEnumE0ENSQ_IJLi32ELi32ELi8EEEENSQ_IJLi32ELi2ELi1EEEENSQ_IJLi1ELi0ELi2EEEEDF16_DF16_RKS2M_KS1B_S2W_NSQ_IJLi0ELi1ELi2EEEELi2ELi2ELi8ELi8ELi1ELi1ELb0ELb1ELi1EiEENS_13DynamicBufferILNS_16AddressSpaceEnumE1EKDF16_lLb1ELNS_22AmdBufferCoherenceEnumE0EiEENS32_ILS33_2EDF16_S1A_Lb1ELS35_0EiEENS4_IJiiiEEES2M_S1M_NS2N_IS2P_S2S_S2S_LS2T_0ENSQ_IJLi16ELi32ELi16EEEENSQ_IJLi16ELi4ELi1EEEES2W_S2_S2_S2Y_KS1M_S2W_S30_Li2ELi2ELi16ELi16ELi1ELi1ELb0ELb1ELi1EiEENS32_ILS33_1EKS2_lLb1ELS35_0EiEENS32_ILS33_2ES2_S1A_Lb1ELS35_0EiEES38_NS_25StaticBufferTupleOfVectorILS33_4EfLi2ELi8ELb1ELb0EEEEEvRKT1_RKT2_RT3_RKT4_RT5_RKT6_RKT7_RKT8_RT9_RKT10_RT11_RKT12_RT13_i.has_recursion, or(0, .L_ZN2ck35ThreadGroupTensorSliceTransfer_v4r1INS_15ThisThreadBlockILi64EEENS_16tensor_operation12element_wise11PassThroughES5_LNS_25InMemoryDataOperationEnumE0ENS_8SequenceIJLi32ELi32ELi8EEEENS7_IJLi32ELi2ELi1EEEENS7_IJLi1ELi0ELi2EEEEDF16_DF16_RKNS_16TensorDescriptorINS_5TupleIJNS_5EmbedINSC_IJiiEEENSC_IJiNS_17integral_constantIiLi1EEEEEELb0EEENS_7UnMergeISE_Lb0EEENS_11PassThroughIiEEEEENSC_IJNS7_IJLi0EEEENS7_IJLi2EEEENS7_IJLi1EEEEEEENSC_IJNS7_IJLi1ELi2EEEENS7_IJLi3ELi4EEEENS7_IJLi5EEEEEEENS7_IJLi3ELi5ELi4EEEElEEKNSB_INSC_IJNSD_INSC_IJNSF_IiLi32EEES10_NSF_IiLi8EEEEEENSC_IJS11_NSF_IiLi256EEESG_EEELb0EEENS_3XorINSC_IJS10_S10_EEELb1EEENSL_IS11_EENSJ_INSC_IJS10_SG_EEELb0EEENSL_IS10_EES19_S1C_NS_21Merge_v3_division_modIS1A_EES19_EEENSC_IJSO_NS7_IJLi2ELi1EEEENS7_IJLi3EEEESU_NS7_IJLi4EEEENS7_IJLi6EEEENS7_IJLi7EEEENS7_IJLi9ELi8EEEENS7_IJLi10EEEEEEENSC_IJNS7_IJLi1ELi2ELi3EEEENS7_IJLi4ELi5EEEES1J_NS7_IJLi7ELi8EEEENS7_IJLi9EEEES1M_NS7_IJLi11EEEENS7_IJLi12EEEENS7_IJLi13EEEEEEENS7_IJLi11ELi12ELi13EEEENSF_IlLl8192EEEEESA_NS7_IJLi0ELi1ELi2EEEELi2ELi2ELi8ELi8ELi1ELi1ELb0ELb1ELi1EiE8RunWriteINS_13DynamicBufferILNS_16AddressSpaceEnumE2EDF16_S1X_Lb1ELNS_22AmdBufferCoherenceEnumE0EiEELi0EEEvRS1Z_RT_NSF_IiXT0_EEE.has_recursion, .L_ZNK2ck32ThreadwiseTensorSliceTransfer_v4INS_9f8_fnuz_tEDF16_KNS_16TensorDescriptorINS_5TupleIJNS_5EmbedINS3_IJNS_17integral_constantIiLi16EEENS5_IiLi32EEES6_EEENS3_IJS6_NS5_IiLi256EEENS5_IiLi1EEEEEELb0EEENS_3XorINS3_IJS7_S6_EEELb1EEENS_11PassThroughIS6_EENS_7UnMergeINS3_IJS6_SA_EEELb0EEENSG_IS7_EESH_SH_NS_21Merge_v3_division_modINS3_IJS7_SA_EEEEESH_NSM_INS3_IJS6_S6_EEEEENSI_INS3_IJSA_NS5_IiLi2EEES6_EEELb0EEEEEENS3_IJNS_8SequenceIJLi0EEEENSV_IJLi2ELi1EEEENSV_IJLi3EEEENSV_IJLi5EEEENSV_IJLi4EEEENSV_IJLi6EEEENSV_IJLi7EEEENSV_IJLi9ELi8EEEENSV_IJLi10EEEENSV_IJLi11ELi13EEEENSV_IJLi12EEEEEEENS3_IJNSV_IJLi1ELi2ELi3EEEENSV_IJLi4ELi5EEEES11_NSV_IJLi7ELi8EEEENSV_IJLi9EEEES14_NSV_IJLi11EEEES16_NSV_IJLi13EEEENSV_IJLi14EEEENSV_IJLi15ELi16ELi17EEEEEEENSV_IJLi15ELi16ELi17ELi14EEEENS5_IlLl8192EEEEEKNS2_INS3_IJNS4_INS3_IJSA_SA_SA_NS5_IiLi128EEEEEENS3_IJS1L_S1L_S1L_SA_EEELb0EEEEEENS3_IJSW_EEENS3_IJNSV_IJLi1ELi2ELi3ELi4EEEEEEES1R_NS5_IlLl128EEEEENSV_IJLi1ELi1ELi1ELi128EEEENSV_IJLi0ELi1ELi2ELi3EEEELi3ELi16ELi16ELb0EE3RunINS3_IJNS5_IiLi0EEES20_S20_S20_EEES21_NS_13DynamicBufferILNS_16AddressSpaceEnumE2ES1_S1I_Lb1ELNS_22AmdBufferCoherenceEnumE0EiEENS_12StaticBufferILS23_4EDF16_Li128ELb1EEEEEvRS1K_RKT_RKT1_RS1V_RKT0_RT2_.has_recursion)
	.set .L_ZNK2ck31BlockwiseGemmXdlops_pipeline_v1ILNS_26BlockGemmPipelineSchedulerE1ELi64EDF16_NS_9f8_fnuz_tEDF16_fNS_16TensorDescriptorINS_5TupleIJNS_5EmbedINS4_IJNS_17integral_constantIiLi32EEES7_NS6_IiLi8EEEEEENS4_IJS8_NS6_IiLi256EEENS6_IiLi1EEEEEELb0EEENS_3XorINS4_IJS7_S7_EEELb1EEENS_11PassThroughIS8_EENS_7UnMergeINS4_IJS7_SB_EEELb0EEENSH_IS7_EESI_SM_NS_21Merge_v3_division_modISK_EESI_EEENS4_IJNS_8SequenceIJLi0EEEENSQ_IJLi2ELi1EEEENSQ_IJLi3EEEENSQ_IJLi5EEEENSQ_IJLi4EEEENSQ_IJLi6EEEENSQ_IJLi7EEEENSQ_IJLi9ELi8EEEENSQ_IJLi10EEEEEEENS4_IJNSQ_IJLi1ELi2ELi3EEEENSQ_IJLi4ELi5EEEESW_NSQ_IJLi7ELi8EEEENSQ_IJLi9EEEESZ_NSQ_IJLi11EEEENSQ_IJLi12EEEENSQ_IJLi13EEEEEEENSQ_IJLi11ELi12ELi13EEEENS6_IlLl8192EEEEENS3_INS4_IJNS5_INS4_IJNS6_IiLi16EEES7_S1C_EEENS4_IJS1C_SA_SB_EEELb0EEENSE_INS4_IJS7_S1C_EEELb1EEENSH_IS1C_EENSJ_INS4_IJS1C_SB_EEELb0EEESM_S1I_S1I_SO_S1I_EEES10_S18_S19_S1A_EENS3_INS4_IJSD_SG_SI_SL_SM_SI_SM_SO_SI_NSN_INS4_IJS7_S8_EEEEENSJ_INS4_IJNS6_IiLi2EEESB_S1C_EEELb0EEEEEENS4_IJSR_SS_ST_SU_SV_SW_SX_SY_SZ_NSQ_IJLi11ELi13EEEES16_EEENS4_IJS11_S12_SW_S13_S14_SZ_S15_S16_S17_NSQ_IJLi14EEEENSQ_IJLi15ELi16ELi17EEEEEEENSQ_IJLi15ELi16ELi17ELi14EEEES1A_EENS3_INS4_IJS1F_S1H_S1I_S1K_SM_S1I_S1I_SO_S1I_NSN_INS4_IJS1C_S1C_EEEEENSJ_INS4_IJSB_S1P_S1C_EEELb0EEEEEES1U_S1X_S1Y_S1A_EELi8ELi16ELi32ELi32ELi256ELi16ELi16ELi2ELi1ELi16ELb1EE3RunILb1ELNS_10TailNumberE10ENS3_INS4_IJNS5_INS4_IJiiEEENS4_IJiSB_EEELb0EEENSJ_IS29_Lb0EEENSH_IiEEEEENS4_IJSR_NSQ_IJLi2EEEENSQ_IJLi1EEEEEEENS4_IJNSQ_IJLi1ELi2EEEENSQ_IJLi3ELi4EEEESU_EEENSQ_IJLi3ELi5ELi4EEEElEES1B_NS_35ThreadGroupTensorSliceTransfer_v4r1INS_15ThisThreadBlockILi64EEENS_16tensor_operation12element_wise11PassThroughES2S_LNS_25InMemoryDataOperationEnumE0ENSQ_IJLi32ELi32ELi8EEEENSQ_IJLi32ELi2ELi1EEEENSQ_IJLi1ELi0ELi2EEEEDF16_DF16_RKS2M_KS1B_S2W_NSQ_IJLi0ELi1ELi2EEEELi2ELi2ELi8ELi8ELi1ELi1ELb0ELb1ELi1EiEENS_13DynamicBufferILNS_16AddressSpaceEnumE1EKDF16_lLb1ELNS_22AmdBufferCoherenceEnumE0EiEENS32_ILS33_2EDF16_S1A_Lb1ELS35_0EiEENS4_IJiiiEEES2M_S1M_NS2N_IS2P_S2S_S2S_LS2T_0ENSQ_IJLi16ELi32ELi16EEEENSQ_IJLi16ELi4ELi1EEEES2W_S2_S2_S2Y_KS1M_S2W_S30_Li2ELi2ELi16ELi16ELi1ELi1ELb0ELb1ELi1EiEENS32_ILS33_1EKS2_lLb1ELS35_0EiEENS32_ILS33_2ES2_S1A_Lb1ELS35_0EiEES38_NS_25StaticBufferTupleOfVectorILS33_4EfLi2ELi8ELb1ELb0EEEEEvRKT1_RKT2_RT3_RKT4_RT5_RKT6_RKT7_RKT8_RT9_RKT10_RT11_RKT12_RT13_i.has_indirect_call, or(0, .L_ZN2ck35ThreadGroupTensorSliceTransfer_v4r1INS_15ThisThreadBlockILi64EEENS_16tensor_operation12element_wise11PassThroughES5_LNS_25InMemoryDataOperationEnumE0ENS_8SequenceIJLi32ELi32ELi8EEEENS7_IJLi32ELi2ELi1EEEENS7_IJLi1ELi0ELi2EEEEDF16_DF16_RKNS_16TensorDescriptorINS_5TupleIJNS_5EmbedINSC_IJiiEEENSC_IJiNS_17integral_constantIiLi1EEEEEELb0EEENS_7UnMergeISE_Lb0EEENS_11PassThroughIiEEEEENSC_IJNS7_IJLi0EEEENS7_IJLi2EEEENS7_IJLi1EEEEEEENSC_IJNS7_IJLi1ELi2EEEENS7_IJLi3ELi4EEEENS7_IJLi5EEEEEEENS7_IJLi3ELi5ELi4EEEElEEKNSB_INSC_IJNSD_INSC_IJNSF_IiLi32EEES10_NSF_IiLi8EEEEEENSC_IJS11_NSF_IiLi256EEESG_EEELb0EEENS_3XorINSC_IJS10_S10_EEELb1EEENSL_IS11_EENSJ_INSC_IJS10_SG_EEELb0EEENSL_IS10_EES19_S1C_NS_21Merge_v3_division_modIS1A_EES19_EEENSC_IJSO_NS7_IJLi2ELi1EEEENS7_IJLi3EEEESU_NS7_IJLi4EEEENS7_IJLi6EEEENS7_IJLi7EEEENS7_IJLi9ELi8EEEENS7_IJLi10EEEEEEENSC_IJNS7_IJLi1ELi2ELi3EEEENS7_IJLi4ELi5EEEES1J_NS7_IJLi7ELi8EEEENS7_IJLi9EEEES1M_NS7_IJLi11EEEENS7_IJLi12EEEENS7_IJLi13EEEEEEENS7_IJLi11ELi12ELi13EEEENSF_IlLl8192EEEEESA_NS7_IJLi0ELi1ELi2EEEELi2ELi2ELi8ELi8ELi1ELi1ELb0ELb1ELi1EiE8RunWriteINS_13DynamicBufferILNS_16AddressSpaceEnumE2EDF16_S1X_Lb1ELNS_22AmdBufferCoherenceEnumE0EiEELi0EEEvRS1Z_RT_NSF_IiXT0_EEE.has_indirect_call, .L_ZNK2ck32ThreadwiseTensorSliceTransfer_v4INS_9f8_fnuz_tEDF16_KNS_16TensorDescriptorINS_5TupleIJNS_5EmbedINS3_IJNS_17integral_constantIiLi16EEENS5_IiLi32EEES6_EEENS3_IJS6_NS5_IiLi256EEENS5_IiLi1EEEEEELb0EEENS_3XorINS3_IJS7_S6_EEELb1EEENS_11PassThroughIS6_EENS_7UnMergeINS3_IJS6_SA_EEELb0EEENSG_IS7_EESH_SH_NS_21Merge_v3_division_modINS3_IJS7_SA_EEEEESH_NSM_INS3_IJS6_S6_EEEEENSI_INS3_IJSA_NS5_IiLi2EEES6_EEELb0EEEEEENS3_IJNS_8SequenceIJLi0EEEENSV_IJLi2ELi1EEEENSV_IJLi3EEEENSV_IJLi5EEEENSV_IJLi4EEEENSV_IJLi6EEEENSV_IJLi7EEEENSV_IJLi9ELi8EEEENSV_IJLi10EEEENSV_IJLi11ELi13EEEENSV_IJLi12EEEEEEENS3_IJNSV_IJLi1ELi2ELi3EEEENSV_IJLi4ELi5EEEES11_NSV_IJLi7ELi8EEEENSV_IJLi9EEEES14_NSV_IJLi11EEEES16_NSV_IJLi13EEEENSV_IJLi14EEEENSV_IJLi15ELi16ELi17EEEEEEENSV_IJLi15ELi16ELi17ELi14EEEENS5_IlLl8192EEEEEKNS2_INS3_IJNS4_INS3_IJSA_SA_SA_NS5_IiLi128EEEEEENS3_IJS1L_S1L_S1L_SA_EEELb0EEEEEENS3_IJSW_EEENS3_IJNSV_IJLi1ELi2ELi3ELi4EEEEEEES1R_NS5_IlLl128EEEEENSV_IJLi1ELi1ELi1ELi128EEEENSV_IJLi0ELi1ELi2ELi3EEEELi3ELi16ELi16ELb0EE3RunINS3_IJNS5_IiLi0EEES20_S20_S20_EEES21_NS_13DynamicBufferILNS_16AddressSpaceEnumE2ES1_S1I_Lb1ELNS_22AmdBufferCoherenceEnumE0EiEENS_12StaticBufferILS23_4EDF16_Li128ELb1EEEEEvRS1K_RKT_RKT1_RS1V_RKT0_RT2_.has_indirect_call)
	.section	.AMDGPU.csdata,"",@progbits
; Function info:
; codeLenInByte = 109400
; TotalNumSgprs: 36
; NumVgprs: 248
; ScratchSize: 272
; MemoryBound: 0
	.section	.text._ZN2ck27kernel_gemm_xdl_cshuffle_v3INS_28GridwiseGemm_xdl_cshuffle_v3INS_13tensor_layout4gemm8RowMajorENS3_11ColumnMajorES4_DF16_NS_9f8_fnuz_tEfDF16_DF16_NS_16tensor_operation12element_wise11PassThroughES9_S9_LNS7_6device18GemmSpecializationE0ELi64ELi32ELi32ELi256ELi8ELi16ELi16ELi16ELi2ELi1ENS_8SequenceIJLi32ELi2ELi1EEEENSC_IJLi1ELi0ELi2EEEESE_Li2ELi8ELi8ELb0ELi0ENSC_IJLi16ELi4ELi1EEEESE_SE_Li2ELi16ELi16ELb0ELi0ELi1ELi1ENSC_IJLi1ELi16ELi1ELi4EEEELi4ELNS_26BlockGemmPipelineSchedulerE1ELNS_24BlockGemmPipelineVersionE0EDF16_DF16_Lb0ELb0ELb0ELi0ELb0EEELb1ELNS_25InMemoryDataOperationEnumE1ELi2ELNS_10TailNumberE10EEEvNT_8ArgumentE,"axG",@progbits,_ZN2ck27kernel_gemm_xdl_cshuffle_v3INS_28GridwiseGemm_xdl_cshuffle_v3INS_13tensor_layout4gemm8RowMajorENS3_11ColumnMajorES4_DF16_NS_9f8_fnuz_tEfDF16_DF16_NS_16tensor_operation12element_wise11PassThroughES9_S9_LNS7_6device18GemmSpecializationE0ELi64ELi32ELi32ELi256ELi8ELi16ELi16ELi16ELi2ELi1ENS_8SequenceIJLi32ELi2ELi1EEEENSC_IJLi1ELi0ELi2EEEESE_Li2ELi8ELi8ELb0ELi0ENSC_IJLi16ELi4ELi1EEEESE_SE_Li2ELi16ELi16ELb0ELi0ELi1ELi1ENSC_IJLi1ELi16ELi1ELi4EEEELi4ELNS_26BlockGemmPipelineSchedulerE1ELNS_24BlockGemmPipelineVersionE0EDF16_DF16_Lb0ELb0ELb0ELi0ELb0EEELb1ELNS_25InMemoryDataOperationEnumE1ELi2ELNS_10TailNumberE10EEEvNT_8ArgumentE,comdat
	.protected	_ZN2ck27kernel_gemm_xdl_cshuffle_v3INS_28GridwiseGemm_xdl_cshuffle_v3INS_13tensor_layout4gemm8RowMajorENS3_11ColumnMajorES4_DF16_NS_9f8_fnuz_tEfDF16_DF16_NS_16tensor_operation12element_wise11PassThroughES9_S9_LNS7_6device18GemmSpecializationE0ELi64ELi32ELi32ELi256ELi8ELi16ELi16ELi16ELi2ELi1ENS_8SequenceIJLi32ELi2ELi1EEEENSC_IJLi1ELi0ELi2EEEESE_Li2ELi8ELi8ELb0ELi0ENSC_IJLi16ELi4ELi1EEEESE_SE_Li2ELi16ELi16ELb0ELi0ELi1ELi1ENSC_IJLi1ELi16ELi1ELi4EEEELi4ELNS_26BlockGemmPipelineSchedulerE1ELNS_24BlockGemmPipelineVersionE0EDF16_DF16_Lb0ELb0ELb0ELi0ELb0EEELb1ELNS_25InMemoryDataOperationEnumE1ELi2ELNS_10TailNumberE10EEEvNT_8ArgumentE ; -- Begin function _ZN2ck27kernel_gemm_xdl_cshuffle_v3INS_28GridwiseGemm_xdl_cshuffle_v3INS_13tensor_layout4gemm8RowMajorENS3_11ColumnMajorES4_DF16_NS_9f8_fnuz_tEfDF16_DF16_NS_16tensor_operation12element_wise11PassThroughES9_S9_LNS7_6device18GemmSpecializationE0ELi64ELi32ELi32ELi256ELi8ELi16ELi16ELi16ELi2ELi1ENS_8SequenceIJLi32ELi2ELi1EEEENSC_IJLi1ELi0ELi2EEEESE_Li2ELi8ELi8ELb0ELi0ENSC_IJLi16ELi4ELi1EEEESE_SE_Li2ELi16ELi16ELb0ELi0ELi1ELi1ENSC_IJLi1ELi16ELi1ELi4EEEELi4ELNS_26BlockGemmPipelineSchedulerE1ELNS_24BlockGemmPipelineVersionE0EDF16_DF16_Lb0ELb0ELb0ELi0ELb0EEELb1ELNS_25InMemoryDataOperationEnumE1ELi2ELNS_10TailNumberE10EEEvNT_8ArgumentE
	.globl	_ZN2ck27kernel_gemm_xdl_cshuffle_v3INS_28GridwiseGemm_xdl_cshuffle_v3INS_13tensor_layout4gemm8RowMajorENS3_11ColumnMajorES4_DF16_NS_9f8_fnuz_tEfDF16_DF16_NS_16tensor_operation12element_wise11PassThroughES9_S9_LNS7_6device18GemmSpecializationE0ELi64ELi32ELi32ELi256ELi8ELi16ELi16ELi16ELi2ELi1ENS_8SequenceIJLi32ELi2ELi1EEEENSC_IJLi1ELi0ELi2EEEESE_Li2ELi8ELi8ELb0ELi0ENSC_IJLi16ELi4ELi1EEEESE_SE_Li2ELi16ELi16ELb0ELi0ELi1ELi1ENSC_IJLi1ELi16ELi1ELi4EEEELi4ELNS_26BlockGemmPipelineSchedulerE1ELNS_24BlockGemmPipelineVersionE0EDF16_DF16_Lb0ELb0ELb0ELi0ELb0EEELb1ELNS_25InMemoryDataOperationEnumE1ELi2ELNS_10TailNumberE10EEEvNT_8ArgumentE
	.p2align	8
	.type	_ZN2ck27kernel_gemm_xdl_cshuffle_v3INS_28GridwiseGemm_xdl_cshuffle_v3INS_13tensor_layout4gemm8RowMajorENS3_11ColumnMajorES4_DF16_NS_9f8_fnuz_tEfDF16_DF16_NS_16tensor_operation12element_wise11PassThroughES9_S9_LNS7_6device18GemmSpecializationE0ELi64ELi32ELi32ELi256ELi8ELi16ELi16ELi16ELi2ELi1ENS_8SequenceIJLi32ELi2ELi1EEEENSC_IJLi1ELi0ELi2EEEESE_Li2ELi8ELi8ELb0ELi0ENSC_IJLi16ELi4ELi1EEEESE_SE_Li2ELi16ELi16ELb0ELi0ELi1ELi1ENSC_IJLi1ELi16ELi1ELi4EEEELi4ELNS_26BlockGemmPipelineSchedulerE1ELNS_24BlockGemmPipelineVersionE0EDF16_DF16_Lb0ELb0ELb0ELi0ELb0EEELb1ELNS_25InMemoryDataOperationEnumE1ELi2ELNS_10TailNumberE10EEEvNT_8ArgumentE,@function
_ZN2ck27kernel_gemm_xdl_cshuffle_v3INS_28GridwiseGemm_xdl_cshuffle_v3INS_13tensor_layout4gemm8RowMajorENS3_11ColumnMajorES4_DF16_NS_9f8_fnuz_tEfDF16_DF16_NS_16tensor_operation12element_wise11PassThroughES9_S9_LNS7_6device18GemmSpecializationE0ELi64ELi32ELi32ELi256ELi8ELi16ELi16ELi16ELi2ELi1ENS_8SequenceIJLi32ELi2ELi1EEEENSC_IJLi1ELi0ELi2EEEESE_Li2ELi8ELi8ELb0ELi0ENSC_IJLi16ELi4ELi1EEEESE_SE_Li2ELi16ELi16ELb0ELi0ELi1ELi1ENSC_IJLi1ELi16ELi1ELi4EEEELi4ELNS_26BlockGemmPipelineSchedulerE1ELNS_24BlockGemmPipelineVersionE0EDF16_DF16_Lb0ELb0ELb0ELi0ELb0EEELb1ELNS_25InMemoryDataOperationEnumE1ELi2ELNS_10TailNumberE10EEEvNT_8ArgumentE: ; @_ZN2ck27kernel_gemm_xdl_cshuffle_v3INS_28GridwiseGemm_xdl_cshuffle_v3INS_13tensor_layout4gemm8RowMajorENS3_11ColumnMajorES4_DF16_NS_9f8_fnuz_tEfDF16_DF16_NS_16tensor_operation12element_wise11PassThroughES9_S9_LNS7_6device18GemmSpecializationE0ELi64ELi32ELi32ELi256ELi8ELi16ELi16ELi16ELi2ELi1ENS_8SequenceIJLi32ELi2ELi1EEEENSC_IJLi1ELi0ELi2EEEESE_Li2ELi8ELi8ELb0ELi0ENSC_IJLi16ELi4ELi1EEEESE_SE_Li2ELi16ELi16ELb0ELi0ELi1ELi1ENSC_IJLi1ELi16ELi1ELi4EEEELi4ELNS_26BlockGemmPipelineSchedulerE1ELNS_24BlockGemmPipelineVersionE0EDF16_DF16_Lb0ELb0ELb0ELi0ELb0EEELb1ELNS_25InMemoryDataOperationEnumE1ELi2ELNS_10TailNumberE10EEEvNT_8ArgumentE
; %bb.0:
	s_clause 0x5
	s_load_b96 s[24:26], s[0:1], 0x20
	s_load_b96 s[8:10], s[0:1], 0x60
	s_load_b128 s[16:19], s[0:1], 0x10
	s_load_b32 s23, s[0:1], 0x34
	s_load_b64 s[12:13], s[0:1], 0x3c
	s_load_b128 s[4:7], s[0:1], 0x50
	s_lshr_b32 s22, ttmp7, 16
	v_mov_b32_e32 v153, v0
	s_mov_b32 s30, ttmp9
	s_mov_b64 s[2:3], 0
	s_movk_i32 s32, 0x780
	s_wait_kmcnt 0x0
	s_cmp_gt_i32 s26, 1
	s_cselect_b32 s0, -1, 0
	s_bitcmp1_b32 s10, 0
	s_cselect_b32 s1, -1, 0
	s_delay_alu instid0(SALU_CYCLE_1) | instskip(NEXT) | instid1(SALU_CYCLE_1)
	s_and_b32 s0, s0, s1
	s_and_not1_b32 vcc_lo, exec_lo, s0
	s_cbranch_vccnz .LBB8_2
; %bb.1:
	s_mul_i32 s0, s16, s22
	s_delay_alu instid0(SALU_CYCLE_1) | instskip(NEXT) | instid1(SALU_CYCLE_1)
	s_mul_i32 s2, s0, s17
	s_ashr_i32 s3, s2, 31
.LBB8_2:
	s_add_co_i32 s1, s26, -1
	s_mov_b32 s0, 0
	s_mul_i32 s11, s1, s23
	s_mov_b32 s10, s19
	s_sub_co_i32 s14, s18, s11
	s_cmp_lt_u32 s22, s1
	s_mov_b32 s11, s0
	s_cselect_b32 s14, s23, s14
	s_add_co_i32 s1, s16, -1
	v_dual_mov_b32 v0, 0 :: v_dual_mov_b32 v1, s16
	v_dual_mov_b32 v2, s14 :: v_dual_mov_b32 v3, s19
	v_mov_b32_e32 v4, 8
	s_mul_u64 s[10:11], s[0:1], s[10:11]
	s_ashr_i32 s15, s14, 31
	s_ashr_i32 s21, s11, 31
	s_mov_b32 s20, s11
	s_mul_i32 s18, s16, s12
	s_wait_alu 0xfffe
	s_add_nc_u64 s[10:11], s[20:21], s[14:15]
	s_lshl_b32 s18, s18, 3
	s_clause 0x1
	scratch_store_b96 off, v[1:3], off offset:1792
	scratch_store_b32 off, v0, off offset:1804
	v_mov_b32_e32 v3, s12
	v_dual_mov_b32 v5, v4 :: v_dual_mov_b32 v6, s16
	s_mov_b32 s26, s24
	s_mov_b32 s27, s0
	s_add_co_i32 s21, s17, -1
	s_mov_b32 s20, s0
	s_wait_alu 0xfffe
	v_dual_mov_b32 v7, s18 :: v_dual_mov_b32 v8, s10
	s_mul_u64 s[26:27], s[20:21], s[26:27]
	v_mov_b32_e32 v9, s11
	s_mul_i32 s20, s17, s13
	s_ashr_i32 s29, s27, 31
	s_mov_b32 s28, s27
	s_clause 0x3
	scratch_store_b96 off, v[3:5], off offset:1808
	scratch_store_b8 off, v0, off offset:1820
	scratch_store_b64 off, v[6:7], off offset:1824
	scratch_store_b64 off, v[8:9], off offset:1832
	s_lshl_b32 s20, s20, 4
	v_mov_b32_e32 v5, 16
	s_add_nc_u64 s[14:15], s[28:29], s[14:15]
	v_mov_b32_e32 v1, s17
	v_dual_mov_b32 v3, s24 :: v_dual_mov_b32 v4, s13
	s_wait_alu 0xfffe
	v_dual_mov_b32 v6, v5 :: v_dual_mov_b32 v7, s14
	v_mov_b32_e32 v8, s15
	s_clause 0x1
	scratch_store_b96 off, v[1:3], off offset:1840
	scratch_store_b32 off, v0, off offset:1852
	v_mov_b32_e32 v2, s20
	s_mov_b32 s18, 4
	s_cmp_lt_u32 s1, 32
	s_clause 0x3
	scratch_store_b96 off, v[4:6], off offset:1856
	scratch_store_b8 off, v0, off offset:1868
	scratch_store_b64 off, v[1:2], off offset:1872
	scratch_store_b64 off, v[7:8], off offset:1880
	s_cbranch_scc1 .LBB8_6
; %bb.3:
	s_cmp_lt_u32 s21, 32
	s_mov_b32 s20, 0
	s_cbranch_scc1 .LBB8_10
; %bb.4:
	s_add_co_i32 s13, s16, 31
	s_add_co_i32 s20, s17, 31
	s_wait_alu 0xfffe
	s_ashr_i32 s21, s13, 31
	s_ashr_i32 s26, s20, 31
	s_wait_alu 0xfffe
	s_lshr_b32 s21, s21, 27
	s_lshr_b32 s26, s26, 27
	s_wait_alu 0xfffe
	s_add_co_i32 s13, s13, s21
	s_add_co_i32 s21, s20, s26
	s_wait_alu 0xfffe
	s_ashr_i32 s20, s13, 5
	s_ashr_i32 s13, s21, 5
	;; [unrolled: 1-line block ×3, first 2 shown]
	s_wait_alu 0xfffe
	s_mul_i32 s21, s13, s20
	s_wait_alu 0xfffe
	s_add_co_i32 s26, s21, 7
	s_delay_alu instid0(SALU_CYCLE_1) | instskip(NEXT) | instid1(SALU_CYCLE_1)
	s_ashr_i32 s27, s26, 31
	s_lshr_b32 s27, s27, 29
	s_delay_alu instid0(SALU_CYCLE_1)
	s_add_co_i32 s31, s26, s27
	s_lshr_b32 s26, s28, 29
	s_and_b32 s27, s31, -8
	s_add_co_i32 s29, s30, s26
	s_sub_co_i32 s26, s21, s27
	s_and_b32 s21, s29, -8
	s_add_co_i32 s26, s26, 8
	s_wait_alu 0xfffe
	s_sub_co_i32 s27, s30, s21
	s_ashr_i32 s28, s31, 3
	s_cmp_gt_i32 s27, s26
	s_cbranch_scc1 .LBB8_7
; %bb.5:
	s_mul_i32 s21, s28, s27
	s_ashr_i32 s29, s29, 3
	s_cbranch_execz .LBB8_8
	s_branch .LBB8_9
.LBB8_6:
	s_mov_b32 s13, s0
	s_branch .LBB8_11
.LBB8_7:
                                        ; implicit-def: $sgpr21
	s_ashr_i32 s29, s29, 3
.LBB8_8:
	s_add_co_i32 s21, s28, -1
	s_wait_alu 0xfffe
	s_mul_i32 s21, s21, s27
	s_wait_alu 0xfffe
	s_add_co_i32 s21, s26, s21
.LBB8_9:
	s_abs_i32 s26, s13
	s_wait_alu 0xfffe
	s_add_co_i32 s21, s21, s29
	s_cvt_f32_u32 s27, s26
	s_sub_co_i32 s28, 0, s26
	s_wait_alu 0xfffe
	s_abs_i32 s29, s21
	v_rcp_iflag_f32_e32 v1, s27
	s_delay_alu instid0(TRANS32_DEP_1) | instskip(SKIP_2) | instid1(SALU_CYCLE_2)
	v_readfirstlane_b32 s27, v1
	s_mul_f32 s27, s27, 0x4f7ffffe
	s_wait_alu 0xfffe
	s_cvt_u32_f32 s27, s27
	s_wait_alu 0xfffe
	s_delay_alu instid0(SALU_CYCLE_2) | instskip(NEXT) | instid1(SALU_CYCLE_1)
	s_mul_i32 s28, s28, s27
	s_mul_hi_u32 s28, s27, s28
	s_delay_alu instid0(SALU_CYCLE_1)
	s_add_co_i32 s27, s27, s28
	s_xor_b32 s28, s21, s13
	s_wait_alu 0xfffe
	s_mul_hi_u32 s27, s29, s27
	s_ashr_i32 s28, s28, 31
	s_wait_alu 0xfffe
	s_mul_i32 s30, s27, s26
	s_delay_alu instid0(SALU_CYCLE_1)
	s_sub_co_i32 s29, s29, s30
	s_add_co_i32 s30, s27, 1
	s_sub_co_i32 s31, s29, s26
	s_cmp_ge_u32 s29, s26
	s_cselect_b32 s27, s30, s27
	s_cselect_b32 s29, s31, s29
	s_wait_alu 0xfffe
	s_add_co_i32 s30, s27, 1
	s_cmp_ge_u32 s29, s26
	s_cselect_b32 s26, s30, s27
	s_lshr_b32 s27, s20, 30
	s_wait_alu 0xfffe
	s_xor_b32 s26, s26, s28
	s_add_co_i32 s27, s20, s27
	s_wait_alu 0xfffe
	s_sub_co_i32 s26, s26, s28
	s_and_b32 s27, s27, -4
	s_wait_alu 0xfffe
	s_mul_i32 s28, s26, s13
	s_sub_co_i32 s20, s20, s27
	s_sub_co_i32 s21, s21, s28
	s_cmp_ge_i32 s26, s27
	s_wait_alu 0xfffe
	s_cselect_b32 s27, s20, 4
	s_ashr_i32 s29, s26, 31
	s_wait_alu 0xfffe
	s_abs_i32 s20, s27
	s_lshr_b32 s29, s29, 30
	s_wait_alu 0xfffe
	s_cvt_f32_u32 s28, s20
	s_add_co_i32 s29, s26, s29
	s_sub_co_i32 s30, 0, s20
	s_and_b32 s29, s29, -4
	v_rcp_iflag_f32_e32 v1, s28
	s_sub_co_i32 s29, s26, s29
	s_wait_alu 0xfffe
	s_mul_i32 s13, s29, s13
	s_wait_alu 0xfffe
	s_add_co_i32 s13, s13, s21
	s_delay_alu instid0(TRANS32_DEP_1) | instskip(SKIP_2) | instid1(SALU_CYCLE_2)
	v_readfirstlane_b32 s28, v1
	s_mul_f32 s28, s28, 0x4f7ffffe
	s_wait_alu 0xfffe
	s_cvt_u32_f32 s28, s28
	s_wait_alu 0xfffe
	s_delay_alu instid0(SALU_CYCLE_2) | instskip(NEXT) | instid1(SALU_CYCLE_1)
	s_mul_i32 s30, s30, s28
	s_mul_hi_u32 s21, s28, s30
	s_abs_i32 s30, s13
	s_wait_alu 0xfffe
	s_add_co_i32 s28, s28, s21
	s_wait_alu 0xfffe
	s_mul_hi_u32 s21, s30, s28
	s_xor_b32 s28, s13, s27
	s_wait_alu 0xfffe
	s_mul_i32 s31, s21, s20
	s_ashr_i32 s28, s28, 31
	s_sub_co_i32 s30, s30, s31
	s_add_co_i32 s31, s21, 1
	s_sub_co_i32 s33, s30, s20
	s_cmp_ge_u32 s30, s20
	s_cselect_b32 s21, s31, s21
	s_cselect_b32 s30, s33, s30
	s_wait_alu 0xfffe
	s_add_co_i32 s31, s21, 1
	s_cmp_ge_u32 s30, s20
	s_cselect_b32 s20, s31, s21
	s_wait_alu 0xfffe
	s_xor_b32 s20, s20, s28
	s_wait_alu 0xfffe
	s_sub_co_i32 s20, s20, s28
	s_wait_alu 0xfffe
	s_mul_i32 s21, s20, s27
	s_wait_alu 0xfffe
	s_sub_co_i32 s13, s13, s21
	s_wait_alu 0xfffe
	s_add_co_i32 s13, s13, s26
	s_wait_alu 0xfffe
	s_sub_co_i32 s30, s13, s29
.LBB8_10:
	s_delay_alu instid0(SALU_CYCLE_1)
	s_mov_b32 s13, s30
	s_wait_alu 0xfffe
	s_mov_b32 s30, s20
.LBB8_11:
	s_lshl_b64 s[2:3], s[2:3], 1
	v_lshrrev_b32_e32 v20, 1, v153
	s_add_nc_u64 s[20:21], s[8:9], s[2:3]
	s_mul_i32 s8, s23, s22
	s_mov_b32 s2, s25
	s_mov_b32 s3, s0
	s_ashr_i32 s9, s8, 31
	s_mul_u64 s[22:23], s[0:1], s[2:3]
	s_mov_b32 s1, s0
	s_mov_b32 s2, s0
	s_delay_alu instid0(SALU_CYCLE_1)
	v_dual_mov_b32 v7, s3 :: v_dual_mov_b32 v6, s2
	v_dual_mov_b32 v5, s1 :: v_dual_mov_b32 v4, s0
	s_add_nc_u64 s[2:3], s[6:7], s[8:9]
	v_and_b32_e32 v11, 31, v153
	v_and_b32_e32 v12, 16, v20
	s_wait_alu 0xfffe
	s_lshl_b32 s13, s13, 5
	v_dual_mov_b32 v19, s3 :: v_dual_mov_b32 v16, s0
	v_mov_b32_e32 v18, s2
	s_wait_alu 0xfffe
	v_or_b32_e32 v1, s13, v12
	v_dual_mov_b32 v17, s1 :: v_dual_lshlrev_b32 v10, 3, v11
	v_mov_b32_e32 v17, v11
	s_clause 0x1f
	scratch_store_b128 off, v[4:7], off offset:240
	scratch_store_b128 off, v[4:7], off offset:224
	;; [unrolled: 1-line block ×15, first 2 shown]
	scratch_store_b128 off, v[4:7], off
	scratch_store_b8 off, v0, off offset:400
	scratch_store_b128 off, v[4:7], off offset:384
	scratch_store_b128 off, v[4:7], off offset:368
	;; [unrolled: 1-line block ×7, first 2 shown]
	scratch_store_b16 off, v0, off offset:256
	scratch_store_b128 off, v[4:7], off offset:272
	scratch_store_b128 off, v[4:7], off offset:416
	;; [unrolled: 1-line block ×7, first 2 shown]
	s_clause 0x1
	scratch_store_b128 off, v[4:7], off offset:512
	scratch_store_b128 off, v[4:7], off offset:528
	v_mad_co_u64_u32 v[8:9], null, v1, s19, v[10:11]
	v_mov_b32_e32 v9, v1
	v_xor_b32_e32 v3, v12, v11
	v_lshlrev_b32_e32 v2, 8, v12
	v_dual_mov_b32 v18, s0 :: v_dual_mov_b32 v19, v12
	v_dual_mov_b32 v13, v0 :: v_dual_mov_b32 v14, v12
	s_delay_alu instid0(VALU_DEP_3)
	v_lshl_or_b32 v2, v3, 3, v2
	v_mov_b32_e32 v15, v11
	s_clause 0x8
	scratch_store_b128 off, v[4:7], off offset:544
	scratch_store_b128 off, v[4:7], off offset:560
	;; [unrolled: 1-line block ×9, first 2 shown]
	v_dual_mov_b32 v18, v12 :: v_dual_mov_b32 v19, s0
	s_clause 0x14
	scratch_store_b16 off, v0, off offset:672
	scratch_store_b128 off, v[8:11], off offset:688
	scratch_store_b128 off, v[0:3], off offset:704
	;; [unrolled: 1-line block ×12, first 2 shown]
	scratch_store_b16 off, v0, off offset:912
	scratch_store_b128 off, v[4:7], off offset:928
	scratch_store_b128 off, v[4:7], off offset:944
	;; [unrolled: 1-line block ×7, first 2 shown]
	v_and_b32_e32 v11, 15, v153
	v_and_b32_e32 v12, 24, v20
	s_lshl_b32 s22, s30, 5
	v_dual_mov_b32 v19, s3 :: v_dual_and_b32 v2, 8, v20
	v_mov_b32_e32 v18, s2
	s_delay_alu instid0(VALU_DEP_3)
	v_or_b32_e32 v1, s22, v12
	v_lshlrev_b32_e32 v10, 4, v11
	s_lshl_b64 s[34:35], s[8:9], 1
	s_getpc_b64 s[6:7]
	s_sext_i32_i16 s7, s7
	s_add_co_u32 s6, s6, __const._ZN2ck28GridwiseGemm_xdl_cshuffle_v3INS_13tensor_layout4gemm8RowMajorENS2_11ColumnMajorES3_DF16_NS_9f8_fnuz_tEfDF16_DF16_NS_16tensor_operation12element_wise11PassThroughES8_S8_LNS6_6device18GemmSpecializationE0ELi64ELi32ELi32ELi256ELi8ELi16ELi16ELi16ELi2ELi1ENS_8SequenceIJLi32ELi2ELi1EEEENSB_IJLi1ELi0ELi2EEEESD_Li2ELi8ELi8ELb0ELi0ENSB_IJLi16ELi4ELi1EEEESD_SD_Li2ELi16ELi16ELb0ELi0ELi1ELi1ENSB_IJLi1ELi16ELi1ELi4EEEELi4ELNS_26BlockGemmPipelineSchedulerE1ELNS_24BlockGemmPipelineVersionE0EDF16_DF16_Lb0ELb0ELb0ELi0ELb0EE3RunIKNS_16TensorDescriptorINS_5TupleIJNS_5EmbedINSL_IJiiEEENSL_IJiNS_17integral_constantIiLi1EEEEEELb0EEENS_7UnMergeISN_Lb0EEENS_11PassThroughIiEEEEENSL_IJNSB_IJLi0EEEENSB_IJLi2EEEENSB_IJLi1EEEEEEENSL_IJNSB_IJLi1ELi2EEEENSB_IJLi3ELi4EEEENSB_IJLi5EEEEEEENSB_IJLi3ELi5ELi4EEEElEES17_KNSK_INSL_IJSR_NS_8RightPadIiiLb0EEES19_NSS_INSL_IJiNSO_IiLi32EEEEEELb0EEES1C_EEENSL_IJSX_SZ_SY_NSB_IJLi3EEEENSB_IJLi4EEEEEEENSL_IJS11_S1E_S1F_NSB_IJLi5ELi6EEEENSB_IJLi7ELi8EEEEEEENSB_IJLi5ELi6ELi7ELi8EEEElEELb1ELNS_25InMemoryDataOperationEnumE1ELNS_10TailNumberE10EEEvPKDF16_PKS5_PDF16_PvRKNSI_7ProblemERKT_RKT0_RKT1_.a_block_slice_copy_step@rel32@lo+8
	s_add_co_ci_u32 s7, s7, __const._ZN2ck28GridwiseGemm_xdl_cshuffle_v3INS_13tensor_layout4gemm8RowMajorENS2_11ColumnMajorES3_DF16_NS_9f8_fnuz_tEfDF16_DF16_NS_16tensor_operation12element_wise11PassThroughES8_S8_LNS6_6device18GemmSpecializationE0ELi64ELi32ELi32ELi256ELi8ELi16ELi16ELi16ELi2ELi1ENS_8SequenceIJLi32ELi2ELi1EEEENSB_IJLi1ELi0ELi2EEEESD_Li2ELi8ELi8ELb0ELi0ENSB_IJLi16ELi4ELi1EEEESD_SD_Li2ELi16ELi16ELb0ELi0ELi1ELi1ENSB_IJLi1ELi16ELi1ELi4EEEELi4ELNS_26BlockGemmPipelineSchedulerE1ELNS_24BlockGemmPipelineVersionE0EDF16_DF16_Lb0ELb0ELb0ELi0ELb0EE3RunIKNS_16TensorDescriptorINS_5TupleIJNS_5EmbedINSL_IJiiEEENSL_IJiNS_17integral_constantIiLi1EEEEEELb0EEENS_7UnMergeISN_Lb0EEENS_11PassThroughIiEEEEENSL_IJNSB_IJLi0EEEENSB_IJLi2EEEENSB_IJLi1EEEEEEENSL_IJNSB_IJLi1ELi2EEEENSB_IJLi3ELi4EEEENSB_IJLi5EEEEEEENSB_IJLi3ELi5ELi4EEEElEES17_KNSK_INSL_IJSR_NS_8RightPadIiiLb0EEES19_NSS_INSL_IJiNSO_IiLi32EEEEEELb0EEES1C_EEENSL_IJSX_SZ_SY_NSB_IJLi3EEEENSB_IJLi4EEEEEEENSL_IJS11_S1E_S1F_NSB_IJLi5ELi6EEEENSB_IJLi7ELi8EEEEEEENSB_IJLi5ELi6ELi7ELi8EEEElEELb1ELNS_25InMemoryDataOperationEnumE1ELNS_10TailNumberE10EEEvPKDF16_PKS5_PDF16_PvRKNSI_7ProblemERKT_RKT0_RKT1_.a_block_slice_copy_step@rel32@hi+16
	s_getpc_b64 s[8:9]
	s_sext_i32_i16 s9, s9
	s_add_co_u32 s8, s8, __const._ZN2ck28GridwiseGemm_xdl_cshuffle_v3INS_13tensor_layout4gemm8RowMajorENS2_11ColumnMajorES3_DF16_NS_9f8_fnuz_tEfDF16_DF16_NS_16tensor_operation12element_wise11PassThroughES8_S8_LNS6_6device18GemmSpecializationE0ELi64ELi32ELi32ELi256ELi8ELi16ELi16ELi16ELi2ELi1ENS_8SequenceIJLi32ELi2ELi1EEEENSB_IJLi1ELi0ELi2EEEESD_Li2ELi8ELi8ELb0ELi0ENSB_IJLi16ELi4ELi1EEEESD_SD_Li2ELi16ELi16ELb0ELi0ELi1ELi1ENSB_IJLi1ELi16ELi1ELi4EEEELi4ELNS_26BlockGemmPipelineSchedulerE1ELNS_24BlockGemmPipelineVersionE0EDF16_DF16_Lb0ELb0ELb0ELi0ELb0EE3RunIKNS_16TensorDescriptorINS_5TupleIJNS_5EmbedINSL_IJiiEEENSL_IJiNS_17integral_constantIiLi1EEEEEELb0EEENS_7UnMergeISN_Lb0EEENS_11PassThroughIiEEEEENSL_IJNSB_IJLi0EEEENSB_IJLi2EEEENSB_IJLi1EEEEEEENSL_IJNSB_IJLi1ELi2EEEENSB_IJLi3ELi4EEEENSB_IJLi5EEEEEEENSB_IJLi3ELi5ELi4EEEElEES17_KNSK_INSL_IJSR_NS_8RightPadIiiLb0EEES19_NSS_INSL_IJiNSO_IiLi32EEEEEELb0EEES1C_EEENSL_IJSX_SZ_SY_NSB_IJLi3EEEENSB_IJLi4EEEEEEENSL_IJS11_S1E_S1F_NSB_IJLi5ELi6EEEENSB_IJLi7ELi8EEEEEEENSB_IJLi5ELi6ELi7ELi8EEEElEELb1ELNS_25InMemoryDataOperationEnumE1ELNS_10TailNumberE10EEEvPKDF16_PKS5_PDF16_PvRKNSI_7ProblemERKT_RKT0_RKT1_.b_block_slice_copy_step@rel32@lo+8
	s_add_co_ci_u32 s9, s9, __const._ZN2ck28GridwiseGemm_xdl_cshuffle_v3INS_13tensor_layout4gemm8RowMajorENS2_11ColumnMajorES3_DF16_NS_9f8_fnuz_tEfDF16_DF16_NS_16tensor_operation12element_wise11PassThroughES8_S8_LNS6_6device18GemmSpecializationE0ELi64ELi32ELi32ELi256ELi8ELi16ELi16ELi16ELi2ELi1ENS_8SequenceIJLi32ELi2ELi1EEEENSB_IJLi1ELi0ELi2EEEESD_Li2ELi8ELi8ELb0ELi0ENSB_IJLi16ELi4ELi1EEEESD_SD_Li2ELi16ELi16ELb0ELi0ELi1ELi1ENSB_IJLi1ELi16ELi1ELi4EEEELi4ELNS_26BlockGemmPipelineSchedulerE1ELNS_24BlockGemmPipelineVersionE0EDF16_DF16_Lb0ELb0ELb0ELi0ELb0EE3RunIKNS_16TensorDescriptorINS_5TupleIJNS_5EmbedINSL_IJiiEEENSL_IJiNS_17integral_constantIiLi1EEEEEELb0EEENS_7UnMergeISN_Lb0EEENS_11PassThroughIiEEEEENSL_IJNSB_IJLi0EEEENSB_IJLi2EEEENSB_IJLi1EEEEEEENSL_IJNSB_IJLi1ELi2EEEENSB_IJLi3ELi4EEEENSB_IJLi5EEEEEEENSB_IJLi3ELi5ELi4EEEElEES17_KNSK_INSL_IJSR_NS_8RightPadIiiLb0EEES19_NSS_INSL_IJiNSO_IiLi32EEEEEELb0EEES1C_EEENSL_IJSX_SZ_SY_NSB_IJLi3EEEENSB_IJLi4EEEEEEENSL_IJS11_S1E_S1F_NSB_IJLi5ELi6EEEENSB_IJLi7ELi8EEEEEEENSB_IJLi5ELi6ELi7ELi8EEEElEELb1ELNS_25InMemoryDataOperationEnumE1ELNS_10TailNumberE10EEEvPKDF16_PKS5_PDF16_PvRKNSI_7ProblemERKT_RKT0_RKT1_.b_block_slice_copy_step@rel32@hi+16
	s_clause 0x3
	scratch_store_b128 off, v[4:7], off offset:1040
	scratch_store_b8 off, v0, off offset:1056
	scratch_store_b128 off, v[4:7], off offset:1184
	scratch_store_b128 off, v[4:7], off offset:1168
	v_mad_co_u64_u32 v[8:9], null, v1, s24, v[10:11]
	v_mov_b32_e32 v9, v1
	s_clause 0x7
	scratch_store_b128 off, v[4:7], off offset:1152
	scratch_store_b128 off, v[4:7], off offset:1136
	;; [unrolled: 1-line block ×6, first 2 shown]
	scratch_store_b16 off, v0, off offset:1200
	scratch_store_b128 off, v[8:11], off offset:1216
	s_load_b64 s[6:7], s[6:7], 0x0
	s_load_b64 s[8:9], s[8:9], 0x0
	v_xor_b32_e32 v3, v2, v11
	v_dual_mov_b32 v17, s1 :: v_dual_lshlrev_b32 v2, 8, v12
	v_dual_mov_b32 v16, s0 :: v_dual_mov_b32 v17, v11
	v_dual_mov_b32 v18, s0 :: v_dual_mov_b32 v19, v12
	s_delay_alu instid0(VALU_DEP_3)
	v_lshl_or_b32 v2, v3, 4, v2
	s_mov_b64 s[28:29], src_shared_base
	v_lshlrev_b32_e32 v154, 3, v153
	v_dual_mov_b32 v14, v12 :: v_dual_mov_b32 v15, v11
	s_clause 0x1
	scratch_store_b128 off, v[0:3], off offset:1232
	scratch_store_b128 off, v[16:19], off offset:1264
	s_wait_alu 0xfffe
	v_dual_mov_b32 v18, v12 :: v_dual_mov_b32 v1, s29
	v_dual_mov_b32 v19, s0 :: v_dual_mov_b32 v2, 0x4000
	v_dual_mov_b32 v3, s29 :: v_dual_and_b32 v8, 0x80, v154
	s_clause 0x5
	scratch_store_b128 off, v[12:15], off offset:1248
	scratch_store_b128 off, v[16:19], off offset:1280
	scratch_store_b64 off, v[0:1], off offset:1312
	scratch_store_b16 off, v0, off offset:1322
	scratch_store_b64 off, v[2:3], off offset:1328
	scratch_store_b8 off, v0, off offset:1337
	s_wait_kmcnt 0x0
	v_dual_mov_b32 v1, s6 :: v_dual_mov_b32 v2, s7
	v_dual_mov_b32 v10, s9 :: v_dual_lshlrev_b32 v3, 8, v11
	v_lshrrev_b32_e32 v13, 3, v8
	v_mov_b32_e32 v9, s8
	s_clause 0x7
	scratch_store_b32 off, v0, off offset:1352
	scratch_store_b64 off, v[1:2], off offset:1344
	scratch_store_b32 off, v0, off offset:1364
	scratch_store_b64 off, v[9:10], off offset:1356
	scratch_store_b128 off, v[4:7], off offset:1424
	scratch_store_b128 off, v[4:7], off offset:1408
	;; [unrolled: 1-line block ×4, first 2 shown]
	v_lshrrev_b32_e32 v7, 4, v8
	v_dual_mov_b32 v12, v11 :: v_dual_mov_b32 v15, v13
	v_lshrrev_b32_e32 v10, 5, v153
	v_dual_mov_b32 v14, s0 :: v_dual_mov_b32 v1, v11
	s_delay_alu instid0(VALU_DEP_4) | instskip(NEXT) | instid1(VALU_DEP_4)
	v_xor_b32_e32 v27, v7, v11
	v_mov_b32_e32 v23, v15
	v_dual_mov_b32 v31, s3 :: v_dual_mov_b32 v24, v0
	v_dual_mov_b32 v23, s0 :: v_dual_mov_b32 v30, s2
	v_lshl_or_b32 v4, v10, 4, v11
	v_mov_b32_e32 v29, s1
	v_dual_mov_b32 v28, s0 :: v_dual_lshlrev_b32 v5, 4, v27
	v_mov_b32_e32 v29, v7
	v_or_b32_e32 v17, v11, v13
	v_mov_b32_e32 v35, v31
	v_dual_mov_b32 v21, v13 :: v_dual_mov_b32 v20, v12
	v_dual_mov_b32 v25, v11 :: v_dual_mov_b32 v34, v30
	v_mov_b32_e32 v21, s0
	v_lshl_or_b32 v26, v4, 8, v5
	v_dual_mov_b32 v34, s0 :: v_dual_mov_b32 v5, v0
	v_dual_mov_b32 v32, v28 :: v_dual_mov_b32 v33, v29
	v_mov_b32_e32 v31, s0
	s_ashr_i32 s0, s12, 31
	v_mov_b32_e32 v22, v14
	s_wait_alu 0xfffe
	s_lshr_b32 s0, s0, 27
	v_lshl_or_b32 v16, v17, 3, v3
	v_dual_mov_b32 v18, v11 :: v_dual_mov_b32 v19, v0
	v_mov_b32_e32 v22, v8
	v_mov_b32_e32 v6, v4
	;; [unrolled: 1-line block ×3, first 2 shown]
	s_add_nc_u64 s[4:5], s[4:5], s[34:35]
	v_mov_b32_e32 v35, v4
	v_mov_b32_e32 v9, v0
	s_wait_alu 0xfffe
	s_add_co_i32 s0, s12, s0
	v_dual_mov_b32 v2, v0 :: v_dual_mov_b32 v3, v13
	s_mov_b64 s[26:27], src_private_base
	s_wait_alu 0xfffe
	s_ashr_i32 s6, s0, 5
	s_clause 0xd
	scratch_store_b128 off, v[16:19], off offset:1440
	scratch_store_b128 off, v[12:15], off offset:1456
	;; [unrolled: 1-line block ×14, first 2 shown]
	v_dual_mov_b32 v0, 0x560 :: v_dual_mov_b32 v1, s27
	v_mov_b32_e32 v2, 0x700
	s_clause 0x1
	scratch_store_b128 off, v[4:7], off offset:1664
	scratch_store_b128 off, v[32:35], off offset:1680
	v_dual_mov_b32 v3, s27 :: v_dual_mov_b32 v4, 0
	v_dual_mov_b32 v5, s27 :: v_dual_mov_b32 v12, 0x540
	v_mov_b32_e32 v6, s4
	s_clause 0x1
	scratch_store_b128 off, v[28:31], off offset:1696
	scratch_store_b128 off, v[8:11], off offset:1712
	v_dual_mov_b32 v7, s5 :: v_dual_mov_b32 v14, 0x730
	v_dual_mov_b32 v8, s10 :: v_dual_mov_b32 v9, s11
	v_mov_b32_e32 v16, 0x310
	v_dual_mov_b32 v10, 0x520 :: v_dual_mov_b32 v11, s27
	v_dual_mov_b32 v18, s2 :: v_dual_mov_b32 v13, s27
	;; [unrolled: 1-line block ×6, first 2 shown]
	s_wait_alu 0xfffe
	v_dual_mov_b32 v28, s6 :: v_dual_mov_b32 v23, s27
	v_mov_b32_e32 v25, s27
	v_mov_b32_e32 v27, s27
	s_getpc_b64 s[0:1]
	s_wait_alu 0xfffe
	s_sext_i32_i16 s1, s1
	s_add_co_u32 s0, s0, _ZNK2ck31BlockwiseGemmXdlops_pipeline_v1ILNS_26BlockGemmPipelineSchedulerE1ELi64EDF16_NS_9f8_fnuz_tEDF16_fNS_16TensorDescriptorINS_5TupleIJNS_5EmbedINS4_IJNS_17integral_constantIiLi32EEES7_NS6_IiLi8EEEEEENS4_IJS8_NS6_IiLi256EEENS6_IiLi1EEEEEELb0EEENS_3XorINS4_IJS7_S7_EEELb1EEENS_11PassThroughIS8_EENS_7UnMergeINS4_IJS7_SB_EEELb0EEENSH_IS7_EESI_SM_NS_21Merge_v3_division_modISK_EESI_EEENS4_IJNS_8SequenceIJLi0EEEENSQ_IJLi2ELi1EEEENSQ_IJLi3EEEENSQ_IJLi5EEEENSQ_IJLi4EEEENSQ_IJLi6EEEENSQ_IJLi7EEEENSQ_IJLi9ELi8EEEENSQ_IJLi10EEEEEEENS4_IJNSQ_IJLi1ELi2ELi3EEEENSQ_IJLi4ELi5EEEESW_NSQ_IJLi7ELi8EEEENSQ_IJLi9EEEESZ_NSQ_IJLi11EEEENSQ_IJLi12EEEENSQ_IJLi13EEEEEEENSQ_IJLi11ELi12ELi13EEEENS6_IlLl8192EEEEENS3_INS4_IJNS5_INS4_IJNS6_IiLi16EEES7_S1C_EEENS4_IJS1C_SA_SB_EEELb0EEENSE_INS4_IJS7_S1C_EEELb1EEENSH_IS1C_EENSJ_INS4_IJS1C_SB_EEELb0EEESM_S1I_S1I_SO_S1I_EEES10_S18_S19_S1A_EENS3_INS4_IJSD_SG_SI_SL_SM_SI_SM_SO_SI_NSN_INS4_IJS7_S8_EEEEENSJ_INS4_IJNS6_IiLi2EEESB_S1C_EEELb0EEEEEENS4_IJSR_SS_ST_SU_SV_SW_SX_SY_SZ_NSQ_IJLi11ELi13EEEES16_EEENS4_IJS11_S12_SW_S13_S14_SZ_S15_S16_S17_NSQ_IJLi14EEEENSQ_IJLi15ELi16ELi17EEEEEEENSQ_IJLi15ELi16ELi17ELi14EEEES1A_EENS3_INS4_IJS1F_S1H_S1I_S1K_SM_S1I_S1I_SO_S1I_NSN_INS4_IJS1C_S1C_EEEEENSJ_INS4_IJSB_S1P_S1C_EEELb0EEEEEES1U_S1X_S1Y_S1A_EELi8ELi16ELi32ELi32ELi256ELi16ELi16ELi2ELi1ELi16ELb1EE3RunILb1ELNS_10TailNumberE10ENS3_INS4_IJNS5_INS4_IJiiEEENS4_IJiSB_EEELb0EEENSJ_IS29_Lb0EEENSH_IiEEEEENS4_IJSR_NSQ_IJLi2EEEENSQ_IJLi1EEEEEEENS4_IJNSQ_IJLi1ELi2EEEENSQ_IJLi3ELi4EEEESU_EEENSQ_IJLi3ELi5ELi4EEEElEES1B_NS_35ThreadGroupTensorSliceTransfer_v4r1INS_15ThisThreadBlockILi64EEENS_16tensor_operation12element_wise11PassThroughES2S_LNS_25InMemoryDataOperationEnumE0ENSQ_IJLi32ELi32ELi8EEEENSQ_IJLi32ELi2ELi1EEEENSQ_IJLi1ELi0ELi2EEEEDF16_DF16_RKS2M_KS1B_S2W_NSQ_IJLi0ELi1ELi2EEEELi2ELi2ELi8ELi8ELi1ELi1ELb0ELb1ELi1EiEENS_13DynamicBufferILNS_16AddressSpaceEnumE1EKDF16_lLb1ELNS_22AmdBufferCoherenceEnumE0EiEENS32_ILS33_2EDF16_S1A_Lb1ELS35_0EiEENS4_IJiiiEEES2M_S1M_NS2N_IS2P_S2S_S2S_LS2T_0ENSQ_IJLi16ELi32ELi16EEEENSQ_IJLi16ELi4ELi1EEEES2W_S2_S2_S2Y_KS1M_S2W_S30_Li2ELi2ELi16ELi16ELi1ELi1ELb0ELb1ELi1EiEENS32_ILS33_1EKS2_lLb1ELS35_0EiEENS32_ILS33_2ES2_S1A_Lb1ELS35_0EiEES38_NS_25StaticBufferTupleOfVectorILS33_4EfLi2ELi8ELb1ELb0EEEEEvRKT1_RKT2_RT3_RKT4_RT5_RKT6_RKT7_RKT8_RT9_RKT10_RT11_RKT12_RT13_i@rel32@lo+12
	s_wait_alu 0xfffe
	s_add_co_ci_u32 s1, s1, _ZNK2ck31BlockwiseGemmXdlops_pipeline_v1ILNS_26BlockGemmPipelineSchedulerE1ELi64EDF16_NS_9f8_fnuz_tEDF16_fNS_16TensorDescriptorINS_5TupleIJNS_5EmbedINS4_IJNS_17integral_constantIiLi32EEES7_NS6_IiLi8EEEEEENS4_IJS8_NS6_IiLi256EEENS6_IiLi1EEEEEELb0EEENS_3XorINS4_IJS7_S7_EEELb1EEENS_11PassThroughIS8_EENS_7UnMergeINS4_IJS7_SB_EEELb0EEENSH_IS7_EESI_SM_NS_21Merge_v3_division_modISK_EESI_EEENS4_IJNS_8SequenceIJLi0EEEENSQ_IJLi2ELi1EEEENSQ_IJLi3EEEENSQ_IJLi5EEEENSQ_IJLi4EEEENSQ_IJLi6EEEENSQ_IJLi7EEEENSQ_IJLi9ELi8EEEENSQ_IJLi10EEEEEEENS4_IJNSQ_IJLi1ELi2ELi3EEEENSQ_IJLi4ELi5EEEESW_NSQ_IJLi7ELi8EEEENSQ_IJLi9EEEESZ_NSQ_IJLi11EEEENSQ_IJLi12EEEENSQ_IJLi13EEEEEEENSQ_IJLi11ELi12ELi13EEEENS6_IlLl8192EEEEENS3_INS4_IJNS5_INS4_IJNS6_IiLi16EEES7_S1C_EEENS4_IJS1C_SA_SB_EEELb0EEENSE_INS4_IJS7_S1C_EEELb1EEENSH_IS1C_EENSJ_INS4_IJS1C_SB_EEELb0EEESM_S1I_S1I_SO_S1I_EEES10_S18_S19_S1A_EENS3_INS4_IJSD_SG_SI_SL_SM_SI_SM_SO_SI_NSN_INS4_IJS7_S8_EEEEENSJ_INS4_IJNS6_IiLi2EEESB_S1C_EEELb0EEEEEENS4_IJSR_SS_ST_SU_SV_SW_SX_SY_SZ_NSQ_IJLi11ELi13EEEES16_EEENS4_IJS11_S12_SW_S13_S14_SZ_S15_S16_S17_NSQ_IJLi14EEEENSQ_IJLi15ELi16ELi17EEEEEEENSQ_IJLi15ELi16ELi17ELi14EEEES1A_EENS3_INS4_IJS1F_S1H_S1I_S1K_SM_S1I_S1I_SO_S1I_NSN_INS4_IJS1C_S1C_EEEEENSJ_INS4_IJSB_S1P_S1C_EEELb0EEEEEES1U_S1X_S1Y_S1A_EELi8ELi16ELi32ELi32ELi256ELi16ELi16ELi2ELi1ELi16ELb1EE3RunILb1ELNS_10TailNumberE10ENS3_INS4_IJNS5_INS4_IJiiEEENS4_IJiSB_EEELb0EEENSJ_IS29_Lb0EEENSH_IiEEEEENS4_IJSR_NSQ_IJLi2EEEENSQ_IJLi1EEEEEEENS4_IJNSQ_IJLi1ELi2EEEENSQ_IJLi3ELi4EEEESU_EEENSQ_IJLi3ELi5ELi4EEEElEES1B_NS_35ThreadGroupTensorSliceTransfer_v4r1INS_15ThisThreadBlockILi64EEENS_16tensor_operation12element_wise11PassThroughES2S_LNS_25InMemoryDataOperationEnumE0ENSQ_IJLi32ELi32ELi8EEEENSQ_IJLi32ELi2ELi1EEEENSQ_IJLi1ELi0ELi2EEEEDF16_DF16_RKS2M_KS1B_S2W_NSQ_IJLi0ELi1ELi2EEEELi2ELi2ELi8ELi8ELi1ELi1ELb0ELb1ELi1EiEENS_13DynamicBufferILNS_16AddressSpaceEnumE1EKDF16_lLb1ELNS_22AmdBufferCoherenceEnumE0EiEENS32_ILS33_2EDF16_S1A_Lb1ELS35_0EiEENS4_IJiiiEEES2M_S1M_NS2N_IS2P_S2S_S2S_LS2T_0ENSQ_IJLi16ELi32ELi16EEEENSQ_IJLi16ELi4ELi1EEEES2W_S2_S2_S2Y_KS1M_S2W_S30_Li2ELi2ELi16ELi16ELi1ELi1ELb0ELb1ELi1EiEENS32_ILS33_1EKS2_lLb1ELS35_0EiEENS32_ILS33_2ES2_S1A_Lb1ELS35_0EiEES38_NS_25StaticBufferTupleOfVectorILS33_4EfLi2ELi8ELb1ELb0EEEEEvRKT1_RKT2_RT3_RKT4_RT5_RKT6_RKT7_RKT8_RT9_RKT10_RT11_RKT12_RT13_i@rel32@hi+24
	s_wait_alu 0xfffe
	s_swappc_b64 s[30:31], s[0:1]
	s_wait_dscnt 0x0
	s_barrier_signal -1
	s_barrier_wait -1
	s_clause 0x1
	scratch_load_b128 v[0:3], off, off offset:1728
	scratch_load_b128 v[4:7], off, off offset:1744
	v_and_b32_e32 v10, 24, v154
	v_lshl_or_b32 v8, v153, 6, v153
	v_lshrrev_b32_e32 v9, 2, v153
	s_delay_alu instid0(VALU_DEP_3) | instskip(NEXT) | instid1(VALU_DEP_3)
	v_lshlrev_b32_e32 v13, 1, v10
	v_and_b32_e32 v8, 0x3f0, v8
	s_wait_loadcnt 0x1
	v_cvt_f16_f32_e32 v0, v0
	v_cvt_f16_f32_e32 v11, v2
	s_wait_loadcnt 0x0
	v_cvt_f16_f32_e32 v2, v4
	v_cvt_f16_f32_e32 v4, v6
	;; [unrolled: 1-line block ×6, first 2 shown]
	s_delay_alu instid0(VALU_DEP_4) | instskip(NEXT) | instid1(VALU_DEP_4)
	v_pack_b32_f16 v3, v4, v6
	v_pack_b32_f16 v2, v2, v5
	s_delay_alu instid0(VALU_DEP_4) | instskip(NEXT) | instid1(VALU_DEP_4)
	v_pack_b32_f16 v1, v11, v7
	v_pack_b32_f16 v0, v0, v12
	v_or_b32_e32 v4, s22, v10
	v_or_b32_e32 v10, s13, v9
	v_lshl_or_b32 v9, v9, 6, v13
	ds_store_b128 v8, v[0:3]
	s_wait_dscnt 0x0
	s_barrier_signal -1
	s_barrier_wait -1
	ds_load_b64 v[0:1], v9
	v_mul_lo_u32 v2, v10, s25
	v_cmp_gt_i32_e32 vcc_lo, s17, v4
	v_cmp_gt_i32_e64 s0, s16, v10
	s_and_b32 s1, s0, vcc_lo
	v_add_lshl_u32 v11, v2, v4, 1
	s_wait_alu 0xfffe
	v_cndmask_b32_e64 v3, 0x80000000, 0, s1
	s_add_co_i32 s1, s17, s23
	s_mov_b32 s23, 0x31004000
	s_wait_alu 0xfffe
	s_lshl_b32 s22, s1, 1
	v_add_nc_u32_e32 v2, v3, v11
	v_or_b32_e32 v3, 4, v4
	s_wait_dscnt 0x0
	s_clause 0x1
	buffer_atomic_pk_add_f16 v0, v2, s[20:23], null offen
	buffer_atomic_pk_add_f16 v1, v2, s[20:23], s18 offen
	ds_load_b64 v[0:1], v9 offset:8
	v_cmp_gt_i32_e64 s1, s17, v3
	s_and_b32 s0, s0, s1
	s_wait_alu 0xfffe
	v_cndmask_b32_e64 v2, 0x80000000, 0, s0
	s_delay_alu instid0(VALU_DEP_1)
	v_add_nc_u32_e32 v2, v11, v2
	s_wait_dscnt 0x0
	s_clause 0x1
	buffer_atomic_pk_add_f16 v0, v2, s[20:23], null offen offset:8
	buffer_atomic_pk_add_f16 v1, v2, s[20:23], s18 offen offset:8
	s_wait_dscnt 0x0
	s_barrier_signal -1
	s_barrier_wait -1
	s_clause 0x1
	scratch_load_b128 v[0:3], off, off offset:1760
	scratch_load_b128 v[4:7], off, off offset:1776
	s_wait_loadcnt 0x1
	v_cvt_f16_f32_e32 v0, v0
	v_cvt_f16_f32_e32 v12, v2
	s_wait_loadcnt 0x0
	v_cvt_f16_f32_e32 v2, v4
	v_cvt_f16_f32_e32 v4, v6
	;; [unrolled: 1-line block ×6, first 2 shown]
	s_delay_alu instid0(VALU_DEP_4) | instskip(NEXT) | instid1(VALU_DEP_4)
	v_pack_b32_f16 v3, v4, v6
	v_pack_b32_f16 v2, v2, v5
	s_delay_alu instid0(VALU_DEP_4) | instskip(NEXT) | instid1(VALU_DEP_4)
	v_pack_b32_f16 v1, v12, v7
	v_pack_b32_f16 v0, v0, v13
	v_or_b32_e32 v4, 16, v10
	ds_store_b128 v8, v[0:3]
	s_wait_dscnt 0x0
	s_barrier_signal -1
	s_barrier_wait -1
	ds_load_b64 v[0:1], v9
	v_cmp_gt_i32_e64 s0, s16, v4
	v_lshl_add_u32 v2, s25, 5, v11
	s_and_b32 s2, vcc_lo, s0
	s_and_b32 s0, s0, s1
	s_wait_alu 0xfffe
	v_cndmask_b32_e64 v3, 0x80000000, 0, s2
	s_delay_alu instid0(VALU_DEP_1)
	v_add_nc_u32_e32 v3, v3, v2
	s_wait_dscnt 0x0
	s_clause 0x1
	buffer_atomic_pk_add_f16 v0, v3, s[20:23], null offen
	buffer_atomic_pk_add_f16 v1, v3, s[20:23], s18 offen
	ds_load_b64 v[0:1], v9 offset:8
	v_cndmask_b32_e64 v3, 0x80000000, 0, s0
	s_delay_alu instid0(VALU_DEP_1)
	v_add_nc_u32_e32 v2, v2, v3
	s_wait_dscnt 0x0
	s_clause 0x1
	buffer_atomic_pk_add_f16 v0, v2, s[20:23], null offen offset:8
	buffer_atomic_pk_add_f16 v1, v2, s[20:23], s18 offen offset:8
	s_endpgm
	.section	.rodata,"a",@progbits
	.p2align	6, 0x0
	.amdhsa_kernel _ZN2ck27kernel_gemm_xdl_cshuffle_v3INS_28GridwiseGemm_xdl_cshuffle_v3INS_13tensor_layout4gemm8RowMajorENS3_11ColumnMajorES4_DF16_NS_9f8_fnuz_tEfDF16_DF16_NS_16tensor_operation12element_wise11PassThroughES9_S9_LNS7_6device18GemmSpecializationE0ELi64ELi32ELi32ELi256ELi8ELi16ELi16ELi16ELi2ELi1ENS_8SequenceIJLi32ELi2ELi1EEEENSC_IJLi1ELi0ELi2EEEESE_Li2ELi8ELi8ELb0ELi0ENSC_IJLi16ELi4ELi1EEEESE_SE_Li2ELi16ELi16ELb0ELi0ELi1ELi1ENSC_IJLi1ELi16ELi1ELi4EEEELi4ELNS_26BlockGemmPipelineSchedulerE1ELNS_24BlockGemmPipelineVersionE0EDF16_DF16_Lb0ELb0ELb0ELi0ELb0EEELb1ELNS_25InMemoryDataOperationEnumE1ELi2ELNS_10TailNumberE10EEEvNT_8ArgumentE
		.amdhsa_group_segment_fixed_size 24576
		.amdhsa_private_segment_fixed_size 2192
		.amdhsa_kernarg_size 112
		.amdhsa_user_sgpr_count 2
		.amdhsa_user_sgpr_dispatch_ptr 0
		.amdhsa_user_sgpr_queue_ptr 0
		.amdhsa_user_sgpr_kernarg_segment_ptr 1
		.amdhsa_user_sgpr_dispatch_id 0
		.amdhsa_user_sgpr_private_segment_size 0
		.amdhsa_wavefront_size32 1
		.amdhsa_uses_dynamic_stack 0
		.amdhsa_enable_private_segment 1
		.amdhsa_system_sgpr_workgroup_id_x 1
		.amdhsa_system_sgpr_workgroup_id_y 0
		.amdhsa_system_sgpr_workgroup_id_z 1
		.amdhsa_system_sgpr_workgroup_info 0
		.amdhsa_system_vgpr_workitem_id 0
		.amdhsa_next_free_vgpr 248
		.amdhsa_next_free_sgpr 36
		.amdhsa_reserve_vcc 1
		.amdhsa_float_round_mode_32 0
		.amdhsa_float_round_mode_16_64 0
		.amdhsa_float_denorm_mode_32 3
		.amdhsa_float_denorm_mode_16_64 3
		.amdhsa_fp16_overflow 0
		.amdhsa_workgroup_processor_mode 1
		.amdhsa_memory_ordered 1
		.amdhsa_forward_progress 1
		.amdhsa_inst_pref_size 32
		.amdhsa_round_robin_scheduling 0
		.amdhsa_exception_fp_ieee_invalid_op 0
		.amdhsa_exception_fp_denorm_src 0
		.amdhsa_exception_fp_ieee_div_zero 0
		.amdhsa_exception_fp_ieee_overflow 0
		.amdhsa_exception_fp_ieee_underflow 0
		.amdhsa_exception_fp_ieee_inexact 0
		.amdhsa_exception_int_div_zero 0
	.end_amdhsa_kernel
	.section	.text._ZN2ck27kernel_gemm_xdl_cshuffle_v3INS_28GridwiseGemm_xdl_cshuffle_v3INS_13tensor_layout4gemm8RowMajorENS3_11ColumnMajorES4_DF16_NS_9f8_fnuz_tEfDF16_DF16_NS_16tensor_operation12element_wise11PassThroughES9_S9_LNS7_6device18GemmSpecializationE0ELi64ELi32ELi32ELi256ELi8ELi16ELi16ELi16ELi2ELi1ENS_8SequenceIJLi32ELi2ELi1EEEENSC_IJLi1ELi0ELi2EEEESE_Li2ELi8ELi8ELb0ELi0ENSC_IJLi16ELi4ELi1EEEESE_SE_Li2ELi16ELi16ELb0ELi0ELi1ELi1ENSC_IJLi1ELi16ELi1ELi4EEEELi4ELNS_26BlockGemmPipelineSchedulerE1ELNS_24BlockGemmPipelineVersionE0EDF16_DF16_Lb0ELb0ELb0ELi0ELb0EEELb1ELNS_25InMemoryDataOperationEnumE1ELi2ELNS_10TailNumberE10EEEvNT_8ArgumentE,"axG",@progbits,_ZN2ck27kernel_gemm_xdl_cshuffle_v3INS_28GridwiseGemm_xdl_cshuffle_v3INS_13tensor_layout4gemm8RowMajorENS3_11ColumnMajorES4_DF16_NS_9f8_fnuz_tEfDF16_DF16_NS_16tensor_operation12element_wise11PassThroughES9_S9_LNS7_6device18GemmSpecializationE0ELi64ELi32ELi32ELi256ELi8ELi16ELi16ELi16ELi2ELi1ENS_8SequenceIJLi32ELi2ELi1EEEENSC_IJLi1ELi0ELi2EEEESE_Li2ELi8ELi8ELb0ELi0ENSC_IJLi16ELi4ELi1EEEESE_SE_Li2ELi16ELi16ELb0ELi0ELi1ELi1ENSC_IJLi1ELi16ELi1ELi4EEEELi4ELNS_26BlockGemmPipelineSchedulerE1ELNS_24BlockGemmPipelineVersionE0EDF16_DF16_Lb0ELb0ELb0ELi0ELb0EEELb1ELNS_25InMemoryDataOperationEnumE1ELi2ELNS_10TailNumberE10EEEvNT_8ArgumentE,comdat
.Lfunc_end8:
	.size	_ZN2ck27kernel_gemm_xdl_cshuffle_v3INS_28GridwiseGemm_xdl_cshuffle_v3INS_13tensor_layout4gemm8RowMajorENS3_11ColumnMajorES4_DF16_NS_9f8_fnuz_tEfDF16_DF16_NS_16tensor_operation12element_wise11PassThroughES9_S9_LNS7_6device18GemmSpecializationE0ELi64ELi32ELi32ELi256ELi8ELi16ELi16ELi16ELi2ELi1ENS_8SequenceIJLi32ELi2ELi1EEEENSC_IJLi1ELi0ELi2EEEESE_Li2ELi8ELi8ELb0ELi0ENSC_IJLi16ELi4ELi1EEEESE_SE_Li2ELi16ELi16ELb0ELi0ELi1ELi1ENSC_IJLi1ELi16ELi1ELi4EEEELi4ELNS_26BlockGemmPipelineSchedulerE1ELNS_24BlockGemmPipelineVersionE0EDF16_DF16_Lb0ELb0ELb0ELi0ELb0EEELb1ELNS_25InMemoryDataOperationEnumE1ELi2ELNS_10TailNumberE10EEEvNT_8ArgumentE, .Lfunc_end8-_ZN2ck27kernel_gemm_xdl_cshuffle_v3INS_28GridwiseGemm_xdl_cshuffle_v3INS_13tensor_layout4gemm8RowMajorENS3_11ColumnMajorES4_DF16_NS_9f8_fnuz_tEfDF16_DF16_NS_16tensor_operation12element_wise11PassThroughES9_S9_LNS7_6device18GemmSpecializationE0ELi64ELi32ELi32ELi256ELi8ELi16ELi16ELi16ELi2ELi1ENS_8SequenceIJLi32ELi2ELi1EEEENSC_IJLi1ELi0ELi2EEEESE_Li2ELi8ELi8ELb0ELi0ENSC_IJLi16ELi4ELi1EEEESE_SE_Li2ELi16ELi16ELb0ELi0ELi1ELi1ENSC_IJLi1ELi16ELi1ELi4EEEELi4ELNS_26BlockGemmPipelineSchedulerE1ELNS_24BlockGemmPipelineVersionE0EDF16_DF16_Lb0ELb0ELb0ELi0ELb0EEELb1ELNS_25InMemoryDataOperationEnumE1ELi2ELNS_10TailNumberE10EEEvNT_8ArgumentE
                                        ; -- End function
	.set _ZN2ck27kernel_gemm_xdl_cshuffle_v3INS_28GridwiseGemm_xdl_cshuffle_v3INS_13tensor_layout4gemm8RowMajorENS3_11ColumnMajorES4_DF16_NS_9f8_fnuz_tEfDF16_DF16_NS_16tensor_operation12element_wise11PassThroughES9_S9_LNS7_6device18GemmSpecializationE0ELi64ELi32ELi32ELi256ELi8ELi16ELi16ELi16ELi2ELi1ENS_8SequenceIJLi32ELi2ELi1EEEENSC_IJLi1ELi0ELi2EEEESE_Li2ELi8ELi8ELb0ELi0ENSC_IJLi16ELi4ELi1EEEESE_SE_Li2ELi16ELi16ELb0ELi0ELi1ELi1ENSC_IJLi1ELi16ELi1ELi4EEEELi4ELNS_26BlockGemmPipelineSchedulerE1ELNS_24BlockGemmPipelineVersionE0EDF16_DF16_Lb0ELb0ELb0ELi0ELb0EEELb1ELNS_25InMemoryDataOperationEnumE1ELi2ELNS_10TailNumberE10EEEvNT_8ArgumentE.num_vgpr, max(155, .L_ZNK2ck31BlockwiseGemmXdlops_pipeline_v1ILNS_26BlockGemmPipelineSchedulerE1ELi64EDF16_NS_9f8_fnuz_tEDF16_fNS_16TensorDescriptorINS_5TupleIJNS_5EmbedINS4_IJNS_17integral_constantIiLi32EEES7_NS6_IiLi8EEEEEENS4_IJS8_NS6_IiLi256EEENS6_IiLi1EEEEEELb0EEENS_3XorINS4_IJS7_S7_EEELb1EEENS_11PassThroughIS8_EENS_7UnMergeINS4_IJS7_SB_EEELb0EEENSH_IS7_EESI_SM_NS_21Merge_v3_division_modISK_EESI_EEENS4_IJNS_8SequenceIJLi0EEEENSQ_IJLi2ELi1EEEENSQ_IJLi3EEEENSQ_IJLi5EEEENSQ_IJLi4EEEENSQ_IJLi6EEEENSQ_IJLi7EEEENSQ_IJLi9ELi8EEEENSQ_IJLi10EEEEEEENS4_IJNSQ_IJLi1ELi2ELi3EEEENSQ_IJLi4ELi5EEEESW_NSQ_IJLi7ELi8EEEENSQ_IJLi9EEEESZ_NSQ_IJLi11EEEENSQ_IJLi12EEEENSQ_IJLi13EEEEEEENSQ_IJLi11ELi12ELi13EEEENS6_IlLl8192EEEEENS3_INS4_IJNS5_INS4_IJNS6_IiLi16EEES7_S1C_EEENS4_IJS1C_SA_SB_EEELb0EEENSE_INS4_IJS7_S1C_EEELb1EEENSH_IS1C_EENSJ_INS4_IJS1C_SB_EEELb0EEESM_S1I_S1I_SO_S1I_EEES10_S18_S19_S1A_EENS3_INS4_IJSD_SG_SI_SL_SM_SI_SM_SO_SI_NSN_INS4_IJS7_S8_EEEEENSJ_INS4_IJNS6_IiLi2EEESB_S1C_EEELb0EEEEEENS4_IJSR_SS_ST_SU_SV_SW_SX_SY_SZ_NSQ_IJLi11ELi13EEEES16_EEENS4_IJS11_S12_SW_S13_S14_SZ_S15_S16_S17_NSQ_IJLi14EEEENSQ_IJLi15ELi16ELi17EEEEEEENSQ_IJLi15ELi16ELi17ELi14EEEES1A_EENS3_INS4_IJS1F_S1H_S1I_S1K_SM_S1I_S1I_SO_S1I_NSN_INS4_IJS1C_S1C_EEEEENSJ_INS4_IJSB_S1P_S1C_EEELb0EEEEEES1U_S1X_S1Y_S1A_EELi8ELi16ELi32ELi32ELi256ELi16ELi16ELi2ELi1ELi16ELb1EE3RunILb1ELNS_10TailNumberE10ENS3_INS4_IJNS5_INS4_IJiiEEENS4_IJiSB_EEELb0EEENSJ_IS29_Lb0EEENSH_IiEEEEENS4_IJSR_NSQ_IJLi2EEEENSQ_IJLi1EEEEEEENS4_IJNSQ_IJLi1ELi2EEEENSQ_IJLi3ELi4EEEESU_EEENSQ_IJLi3ELi5ELi4EEEElEES1B_NS_35ThreadGroupTensorSliceTransfer_v4r1INS_15ThisThreadBlockILi64EEENS_16tensor_operation12element_wise11PassThroughES2S_LNS_25InMemoryDataOperationEnumE0ENSQ_IJLi32ELi32ELi8EEEENSQ_IJLi32ELi2ELi1EEEENSQ_IJLi1ELi0ELi2EEEEDF16_DF16_RKS2M_KS1B_S2W_NSQ_IJLi0ELi1ELi2EEEELi2ELi2ELi8ELi8ELi1ELi1ELb0ELb1ELi1EiEENS_13DynamicBufferILNS_16AddressSpaceEnumE1EKDF16_lLb1ELNS_22AmdBufferCoherenceEnumE0EiEENS32_ILS33_2EDF16_S1A_Lb1ELS35_0EiEENS4_IJiiiEEES2M_S1M_NS2N_IS2P_S2S_S2S_LS2T_0ENSQ_IJLi16ELi32ELi16EEEENSQ_IJLi16ELi4ELi1EEEES2W_S2_S2_S2Y_KS1M_S2W_S30_Li2ELi2ELi16ELi16ELi1ELi1ELb0ELb1ELi1EiEENS32_ILS33_1EKS2_lLb1ELS35_0EiEENS32_ILS33_2ES2_S1A_Lb1ELS35_0EiEES38_NS_25StaticBufferTupleOfVectorILS33_4EfLi2ELi8ELb1ELb0EEEEEvRKT1_RKT2_RT3_RKT4_RT5_RKT6_RKT7_RKT8_RT9_RKT10_RT11_RKT12_RT13_i.num_vgpr)
	.set _ZN2ck27kernel_gemm_xdl_cshuffle_v3INS_28GridwiseGemm_xdl_cshuffle_v3INS_13tensor_layout4gemm8RowMajorENS3_11ColumnMajorES4_DF16_NS_9f8_fnuz_tEfDF16_DF16_NS_16tensor_operation12element_wise11PassThroughES9_S9_LNS7_6device18GemmSpecializationE0ELi64ELi32ELi32ELi256ELi8ELi16ELi16ELi16ELi2ELi1ENS_8SequenceIJLi32ELi2ELi1EEEENSC_IJLi1ELi0ELi2EEEESE_Li2ELi8ELi8ELb0ELi0ENSC_IJLi16ELi4ELi1EEEESE_SE_Li2ELi16ELi16ELb0ELi0ELi1ELi1ENSC_IJLi1ELi16ELi1ELi4EEEELi4ELNS_26BlockGemmPipelineSchedulerE1ELNS_24BlockGemmPipelineVersionE0EDF16_DF16_Lb0ELb0ELb0ELi0ELb0EEELb1ELNS_25InMemoryDataOperationEnumE1ELi2ELNS_10TailNumberE10EEEvNT_8ArgumentE.num_agpr, max(0, .L_ZNK2ck31BlockwiseGemmXdlops_pipeline_v1ILNS_26BlockGemmPipelineSchedulerE1ELi64EDF16_NS_9f8_fnuz_tEDF16_fNS_16TensorDescriptorINS_5TupleIJNS_5EmbedINS4_IJNS_17integral_constantIiLi32EEES7_NS6_IiLi8EEEEEENS4_IJS8_NS6_IiLi256EEENS6_IiLi1EEEEEELb0EEENS_3XorINS4_IJS7_S7_EEELb1EEENS_11PassThroughIS8_EENS_7UnMergeINS4_IJS7_SB_EEELb0EEENSH_IS7_EESI_SM_NS_21Merge_v3_division_modISK_EESI_EEENS4_IJNS_8SequenceIJLi0EEEENSQ_IJLi2ELi1EEEENSQ_IJLi3EEEENSQ_IJLi5EEEENSQ_IJLi4EEEENSQ_IJLi6EEEENSQ_IJLi7EEEENSQ_IJLi9ELi8EEEENSQ_IJLi10EEEEEEENS4_IJNSQ_IJLi1ELi2ELi3EEEENSQ_IJLi4ELi5EEEESW_NSQ_IJLi7ELi8EEEENSQ_IJLi9EEEESZ_NSQ_IJLi11EEEENSQ_IJLi12EEEENSQ_IJLi13EEEEEEENSQ_IJLi11ELi12ELi13EEEENS6_IlLl8192EEEEENS3_INS4_IJNS5_INS4_IJNS6_IiLi16EEES7_S1C_EEENS4_IJS1C_SA_SB_EEELb0EEENSE_INS4_IJS7_S1C_EEELb1EEENSH_IS1C_EENSJ_INS4_IJS1C_SB_EEELb0EEESM_S1I_S1I_SO_S1I_EEES10_S18_S19_S1A_EENS3_INS4_IJSD_SG_SI_SL_SM_SI_SM_SO_SI_NSN_INS4_IJS7_S8_EEEEENSJ_INS4_IJNS6_IiLi2EEESB_S1C_EEELb0EEEEEENS4_IJSR_SS_ST_SU_SV_SW_SX_SY_SZ_NSQ_IJLi11ELi13EEEES16_EEENS4_IJS11_S12_SW_S13_S14_SZ_S15_S16_S17_NSQ_IJLi14EEEENSQ_IJLi15ELi16ELi17EEEEEEENSQ_IJLi15ELi16ELi17ELi14EEEES1A_EENS3_INS4_IJS1F_S1H_S1I_S1K_SM_S1I_S1I_SO_S1I_NSN_INS4_IJS1C_S1C_EEEEENSJ_INS4_IJSB_S1P_S1C_EEELb0EEEEEES1U_S1X_S1Y_S1A_EELi8ELi16ELi32ELi32ELi256ELi16ELi16ELi2ELi1ELi16ELb1EE3RunILb1ELNS_10TailNumberE10ENS3_INS4_IJNS5_INS4_IJiiEEENS4_IJiSB_EEELb0EEENSJ_IS29_Lb0EEENSH_IiEEEEENS4_IJSR_NSQ_IJLi2EEEENSQ_IJLi1EEEEEEENS4_IJNSQ_IJLi1ELi2EEEENSQ_IJLi3ELi4EEEESU_EEENSQ_IJLi3ELi5ELi4EEEElEES1B_NS_35ThreadGroupTensorSliceTransfer_v4r1INS_15ThisThreadBlockILi64EEENS_16tensor_operation12element_wise11PassThroughES2S_LNS_25InMemoryDataOperationEnumE0ENSQ_IJLi32ELi32ELi8EEEENSQ_IJLi32ELi2ELi1EEEENSQ_IJLi1ELi0ELi2EEEEDF16_DF16_RKS2M_KS1B_S2W_NSQ_IJLi0ELi1ELi2EEEELi2ELi2ELi8ELi8ELi1ELi1ELb0ELb1ELi1EiEENS_13DynamicBufferILNS_16AddressSpaceEnumE1EKDF16_lLb1ELNS_22AmdBufferCoherenceEnumE0EiEENS32_ILS33_2EDF16_S1A_Lb1ELS35_0EiEENS4_IJiiiEEES2M_S1M_NS2N_IS2P_S2S_S2S_LS2T_0ENSQ_IJLi16ELi32ELi16EEEENSQ_IJLi16ELi4ELi1EEEES2W_S2_S2_S2Y_KS1M_S2W_S30_Li2ELi2ELi16ELi16ELi1ELi1ELb0ELb1ELi1EiEENS32_ILS33_1EKS2_lLb1ELS35_0EiEENS32_ILS33_2ES2_S1A_Lb1ELS35_0EiEES38_NS_25StaticBufferTupleOfVectorILS33_4EfLi2ELi8ELb1ELb0EEEEEvRKT1_RKT2_RT3_RKT4_RT5_RKT6_RKT7_RKT8_RT9_RKT10_RT11_RKT12_RT13_i.num_agpr)
	.set _ZN2ck27kernel_gemm_xdl_cshuffle_v3INS_28GridwiseGemm_xdl_cshuffle_v3INS_13tensor_layout4gemm8RowMajorENS3_11ColumnMajorES4_DF16_NS_9f8_fnuz_tEfDF16_DF16_NS_16tensor_operation12element_wise11PassThroughES9_S9_LNS7_6device18GemmSpecializationE0ELi64ELi32ELi32ELi256ELi8ELi16ELi16ELi16ELi2ELi1ENS_8SequenceIJLi32ELi2ELi1EEEENSC_IJLi1ELi0ELi2EEEESE_Li2ELi8ELi8ELb0ELi0ENSC_IJLi16ELi4ELi1EEEESE_SE_Li2ELi16ELi16ELb0ELi0ELi1ELi1ENSC_IJLi1ELi16ELi1ELi4EEEELi4ELNS_26BlockGemmPipelineSchedulerE1ELNS_24BlockGemmPipelineVersionE0EDF16_DF16_Lb0ELb0ELb0ELi0ELb0EEELb1ELNS_25InMemoryDataOperationEnumE1ELi2ELNS_10TailNumberE10EEEvNT_8ArgumentE.numbered_sgpr, max(36, .L_ZNK2ck31BlockwiseGemmXdlops_pipeline_v1ILNS_26BlockGemmPipelineSchedulerE1ELi64EDF16_NS_9f8_fnuz_tEDF16_fNS_16TensorDescriptorINS_5TupleIJNS_5EmbedINS4_IJNS_17integral_constantIiLi32EEES7_NS6_IiLi8EEEEEENS4_IJS8_NS6_IiLi256EEENS6_IiLi1EEEEEELb0EEENS_3XorINS4_IJS7_S7_EEELb1EEENS_11PassThroughIS8_EENS_7UnMergeINS4_IJS7_SB_EEELb0EEENSH_IS7_EESI_SM_NS_21Merge_v3_division_modISK_EESI_EEENS4_IJNS_8SequenceIJLi0EEEENSQ_IJLi2ELi1EEEENSQ_IJLi3EEEENSQ_IJLi5EEEENSQ_IJLi4EEEENSQ_IJLi6EEEENSQ_IJLi7EEEENSQ_IJLi9ELi8EEEENSQ_IJLi10EEEEEEENS4_IJNSQ_IJLi1ELi2ELi3EEEENSQ_IJLi4ELi5EEEESW_NSQ_IJLi7ELi8EEEENSQ_IJLi9EEEESZ_NSQ_IJLi11EEEENSQ_IJLi12EEEENSQ_IJLi13EEEEEEENSQ_IJLi11ELi12ELi13EEEENS6_IlLl8192EEEEENS3_INS4_IJNS5_INS4_IJNS6_IiLi16EEES7_S1C_EEENS4_IJS1C_SA_SB_EEELb0EEENSE_INS4_IJS7_S1C_EEELb1EEENSH_IS1C_EENSJ_INS4_IJS1C_SB_EEELb0EEESM_S1I_S1I_SO_S1I_EEES10_S18_S19_S1A_EENS3_INS4_IJSD_SG_SI_SL_SM_SI_SM_SO_SI_NSN_INS4_IJS7_S8_EEEEENSJ_INS4_IJNS6_IiLi2EEESB_S1C_EEELb0EEEEEENS4_IJSR_SS_ST_SU_SV_SW_SX_SY_SZ_NSQ_IJLi11ELi13EEEES16_EEENS4_IJS11_S12_SW_S13_S14_SZ_S15_S16_S17_NSQ_IJLi14EEEENSQ_IJLi15ELi16ELi17EEEEEEENSQ_IJLi15ELi16ELi17ELi14EEEES1A_EENS3_INS4_IJS1F_S1H_S1I_S1K_SM_S1I_S1I_SO_S1I_NSN_INS4_IJS1C_S1C_EEEEENSJ_INS4_IJSB_S1P_S1C_EEELb0EEEEEES1U_S1X_S1Y_S1A_EELi8ELi16ELi32ELi32ELi256ELi16ELi16ELi2ELi1ELi16ELb1EE3RunILb1ELNS_10TailNumberE10ENS3_INS4_IJNS5_INS4_IJiiEEENS4_IJiSB_EEELb0EEENSJ_IS29_Lb0EEENSH_IiEEEEENS4_IJSR_NSQ_IJLi2EEEENSQ_IJLi1EEEEEEENS4_IJNSQ_IJLi1ELi2EEEENSQ_IJLi3ELi4EEEESU_EEENSQ_IJLi3ELi5ELi4EEEElEES1B_NS_35ThreadGroupTensorSliceTransfer_v4r1INS_15ThisThreadBlockILi64EEENS_16tensor_operation12element_wise11PassThroughES2S_LNS_25InMemoryDataOperationEnumE0ENSQ_IJLi32ELi32ELi8EEEENSQ_IJLi32ELi2ELi1EEEENSQ_IJLi1ELi0ELi2EEEEDF16_DF16_RKS2M_KS1B_S2W_NSQ_IJLi0ELi1ELi2EEEELi2ELi2ELi8ELi8ELi1ELi1ELb0ELb1ELi1EiEENS_13DynamicBufferILNS_16AddressSpaceEnumE1EKDF16_lLb1ELNS_22AmdBufferCoherenceEnumE0EiEENS32_ILS33_2EDF16_S1A_Lb1ELS35_0EiEENS4_IJiiiEEES2M_S1M_NS2N_IS2P_S2S_S2S_LS2T_0ENSQ_IJLi16ELi32ELi16EEEENSQ_IJLi16ELi4ELi1EEEES2W_S2_S2_S2Y_KS1M_S2W_S30_Li2ELi2ELi16ELi16ELi1ELi1ELb0ELb1ELi1EiEENS32_ILS33_1EKS2_lLb1ELS35_0EiEENS32_ILS33_2ES2_S1A_Lb1ELS35_0EiEES38_NS_25StaticBufferTupleOfVectorILS33_4EfLi2ELi8ELb1ELb0EEEEEvRKT1_RKT2_RT3_RKT4_RT5_RKT6_RKT7_RKT8_RT9_RKT10_RT11_RKT12_RT13_i.numbered_sgpr)
	.set _ZN2ck27kernel_gemm_xdl_cshuffle_v3INS_28GridwiseGemm_xdl_cshuffle_v3INS_13tensor_layout4gemm8RowMajorENS3_11ColumnMajorES4_DF16_NS_9f8_fnuz_tEfDF16_DF16_NS_16tensor_operation12element_wise11PassThroughES9_S9_LNS7_6device18GemmSpecializationE0ELi64ELi32ELi32ELi256ELi8ELi16ELi16ELi16ELi2ELi1ENS_8SequenceIJLi32ELi2ELi1EEEENSC_IJLi1ELi0ELi2EEEESE_Li2ELi8ELi8ELb0ELi0ENSC_IJLi16ELi4ELi1EEEESE_SE_Li2ELi16ELi16ELb0ELi0ELi1ELi1ENSC_IJLi1ELi16ELi1ELi4EEEELi4ELNS_26BlockGemmPipelineSchedulerE1ELNS_24BlockGemmPipelineVersionE0EDF16_DF16_Lb0ELb0ELb0ELi0ELb0EEELb1ELNS_25InMemoryDataOperationEnumE1ELi2ELNS_10TailNumberE10EEEvNT_8ArgumentE.num_named_barrier, max(0, .L_ZNK2ck31BlockwiseGemmXdlops_pipeline_v1ILNS_26BlockGemmPipelineSchedulerE1ELi64EDF16_NS_9f8_fnuz_tEDF16_fNS_16TensorDescriptorINS_5TupleIJNS_5EmbedINS4_IJNS_17integral_constantIiLi32EEES7_NS6_IiLi8EEEEEENS4_IJS8_NS6_IiLi256EEENS6_IiLi1EEEEEELb0EEENS_3XorINS4_IJS7_S7_EEELb1EEENS_11PassThroughIS8_EENS_7UnMergeINS4_IJS7_SB_EEELb0EEENSH_IS7_EESI_SM_NS_21Merge_v3_division_modISK_EESI_EEENS4_IJNS_8SequenceIJLi0EEEENSQ_IJLi2ELi1EEEENSQ_IJLi3EEEENSQ_IJLi5EEEENSQ_IJLi4EEEENSQ_IJLi6EEEENSQ_IJLi7EEEENSQ_IJLi9ELi8EEEENSQ_IJLi10EEEEEEENS4_IJNSQ_IJLi1ELi2ELi3EEEENSQ_IJLi4ELi5EEEESW_NSQ_IJLi7ELi8EEEENSQ_IJLi9EEEESZ_NSQ_IJLi11EEEENSQ_IJLi12EEEENSQ_IJLi13EEEEEEENSQ_IJLi11ELi12ELi13EEEENS6_IlLl8192EEEEENS3_INS4_IJNS5_INS4_IJNS6_IiLi16EEES7_S1C_EEENS4_IJS1C_SA_SB_EEELb0EEENSE_INS4_IJS7_S1C_EEELb1EEENSH_IS1C_EENSJ_INS4_IJS1C_SB_EEELb0EEESM_S1I_S1I_SO_S1I_EEES10_S18_S19_S1A_EENS3_INS4_IJSD_SG_SI_SL_SM_SI_SM_SO_SI_NSN_INS4_IJS7_S8_EEEEENSJ_INS4_IJNS6_IiLi2EEESB_S1C_EEELb0EEEEEENS4_IJSR_SS_ST_SU_SV_SW_SX_SY_SZ_NSQ_IJLi11ELi13EEEES16_EEENS4_IJS11_S12_SW_S13_S14_SZ_S15_S16_S17_NSQ_IJLi14EEEENSQ_IJLi15ELi16ELi17EEEEEEENSQ_IJLi15ELi16ELi17ELi14EEEES1A_EENS3_INS4_IJS1F_S1H_S1I_S1K_SM_S1I_S1I_SO_S1I_NSN_INS4_IJS1C_S1C_EEEEENSJ_INS4_IJSB_S1P_S1C_EEELb0EEEEEES1U_S1X_S1Y_S1A_EELi8ELi16ELi32ELi32ELi256ELi16ELi16ELi2ELi1ELi16ELb1EE3RunILb1ELNS_10TailNumberE10ENS3_INS4_IJNS5_INS4_IJiiEEENS4_IJiSB_EEELb0EEENSJ_IS29_Lb0EEENSH_IiEEEEENS4_IJSR_NSQ_IJLi2EEEENSQ_IJLi1EEEEEEENS4_IJNSQ_IJLi1ELi2EEEENSQ_IJLi3ELi4EEEESU_EEENSQ_IJLi3ELi5ELi4EEEElEES1B_NS_35ThreadGroupTensorSliceTransfer_v4r1INS_15ThisThreadBlockILi64EEENS_16tensor_operation12element_wise11PassThroughES2S_LNS_25InMemoryDataOperationEnumE0ENSQ_IJLi32ELi32ELi8EEEENSQ_IJLi32ELi2ELi1EEEENSQ_IJLi1ELi0ELi2EEEEDF16_DF16_RKS2M_KS1B_S2W_NSQ_IJLi0ELi1ELi2EEEELi2ELi2ELi8ELi8ELi1ELi1ELb0ELb1ELi1EiEENS_13DynamicBufferILNS_16AddressSpaceEnumE1EKDF16_lLb1ELNS_22AmdBufferCoherenceEnumE0EiEENS32_ILS33_2EDF16_S1A_Lb1ELS35_0EiEENS4_IJiiiEEES2M_S1M_NS2N_IS2P_S2S_S2S_LS2T_0ENSQ_IJLi16ELi32ELi16EEEENSQ_IJLi16ELi4ELi1EEEES2W_S2_S2_S2Y_KS1M_S2W_S30_Li2ELi2ELi16ELi16ELi1ELi1ELb0ELb1ELi1EiEENS32_ILS33_1EKS2_lLb1ELS35_0EiEENS32_ILS33_2ES2_S1A_Lb1ELS35_0EiEES38_NS_25StaticBufferTupleOfVectorILS33_4EfLi2ELi8ELb1ELb0EEEEEvRKT1_RKT2_RT3_RKT4_RT5_RKT6_RKT7_RKT8_RT9_RKT10_RT11_RKT12_RT13_i.num_named_barrier)
	.set _ZN2ck27kernel_gemm_xdl_cshuffle_v3INS_28GridwiseGemm_xdl_cshuffle_v3INS_13tensor_layout4gemm8RowMajorENS3_11ColumnMajorES4_DF16_NS_9f8_fnuz_tEfDF16_DF16_NS_16tensor_operation12element_wise11PassThroughES9_S9_LNS7_6device18GemmSpecializationE0ELi64ELi32ELi32ELi256ELi8ELi16ELi16ELi16ELi2ELi1ENS_8SequenceIJLi32ELi2ELi1EEEENSC_IJLi1ELi0ELi2EEEESE_Li2ELi8ELi8ELb0ELi0ENSC_IJLi16ELi4ELi1EEEESE_SE_Li2ELi16ELi16ELb0ELi0ELi1ELi1ENSC_IJLi1ELi16ELi1ELi4EEEELi4ELNS_26BlockGemmPipelineSchedulerE1ELNS_24BlockGemmPipelineVersionE0EDF16_DF16_Lb0ELb0ELb0ELi0ELb0EEELb1ELNS_25InMemoryDataOperationEnumE1ELi2ELNS_10TailNumberE10EEEvNT_8ArgumentE.private_seg_size, 1920+max(.L_ZNK2ck31BlockwiseGemmXdlops_pipeline_v1ILNS_26BlockGemmPipelineSchedulerE1ELi64EDF16_NS_9f8_fnuz_tEDF16_fNS_16TensorDescriptorINS_5TupleIJNS_5EmbedINS4_IJNS_17integral_constantIiLi32EEES7_NS6_IiLi8EEEEEENS4_IJS8_NS6_IiLi256EEENS6_IiLi1EEEEEELb0EEENS_3XorINS4_IJS7_S7_EEELb1EEENS_11PassThroughIS8_EENS_7UnMergeINS4_IJS7_SB_EEELb0EEENSH_IS7_EESI_SM_NS_21Merge_v3_division_modISK_EESI_EEENS4_IJNS_8SequenceIJLi0EEEENSQ_IJLi2ELi1EEEENSQ_IJLi3EEEENSQ_IJLi5EEEENSQ_IJLi4EEEENSQ_IJLi6EEEENSQ_IJLi7EEEENSQ_IJLi9ELi8EEEENSQ_IJLi10EEEEEEENS4_IJNSQ_IJLi1ELi2ELi3EEEENSQ_IJLi4ELi5EEEESW_NSQ_IJLi7ELi8EEEENSQ_IJLi9EEEESZ_NSQ_IJLi11EEEENSQ_IJLi12EEEENSQ_IJLi13EEEEEEENSQ_IJLi11ELi12ELi13EEEENS6_IlLl8192EEEEENS3_INS4_IJNS5_INS4_IJNS6_IiLi16EEES7_S1C_EEENS4_IJS1C_SA_SB_EEELb0EEENSE_INS4_IJS7_S1C_EEELb1EEENSH_IS1C_EENSJ_INS4_IJS1C_SB_EEELb0EEESM_S1I_S1I_SO_S1I_EEES10_S18_S19_S1A_EENS3_INS4_IJSD_SG_SI_SL_SM_SI_SM_SO_SI_NSN_INS4_IJS7_S8_EEEEENSJ_INS4_IJNS6_IiLi2EEESB_S1C_EEELb0EEEEEENS4_IJSR_SS_ST_SU_SV_SW_SX_SY_SZ_NSQ_IJLi11ELi13EEEES16_EEENS4_IJS11_S12_SW_S13_S14_SZ_S15_S16_S17_NSQ_IJLi14EEEENSQ_IJLi15ELi16ELi17EEEEEEENSQ_IJLi15ELi16ELi17ELi14EEEES1A_EENS3_INS4_IJS1F_S1H_S1I_S1K_SM_S1I_S1I_SO_S1I_NSN_INS4_IJS1C_S1C_EEEEENSJ_INS4_IJSB_S1P_S1C_EEELb0EEEEEES1U_S1X_S1Y_S1A_EELi8ELi16ELi32ELi32ELi256ELi16ELi16ELi2ELi1ELi16ELb1EE3RunILb1ELNS_10TailNumberE10ENS3_INS4_IJNS5_INS4_IJiiEEENS4_IJiSB_EEELb0EEENSJ_IS29_Lb0EEENSH_IiEEEEENS4_IJSR_NSQ_IJLi2EEEENSQ_IJLi1EEEEEEENS4_IJNSQ_IJLi1ELi2EEEENSQ_IJLi3ELi4EEEESU_EEENSQ_IJLi3ELi5ELi4EEEElEES1B_NS_35ThreadGroupTensorSliceTransfer_v4r1INS_15ThisThreadBlockILi64EEENS_16tensor_operation12element_wise11PassThroughES2S_LNS_25InMemoryDataOperationEnumE0ENSQ_IJLi32ELi32ELi8EEEENSQ_IJLi32ELi2ELi1EEEENSQ_IJLi1ELi0ELi2EEEEDF16_DF16_RKS2M_KS1B_S2W_NSQ_IJLi0ELi1ELi2EEEELi2ELi2ELi8ELi8ELi1ELi1ELb0ELb1ELi1EiEENS_13DynamicBufferILNS_16AddressSpaceEnumE1EKDF16_lLb1ELNS_22AmdBufferCoherenceEnumE0EiEENS32_ILS33_2EDF16_S1A_Lb1ELS35_0EiEENS4_IJiiiEEES2M_S1M_NS2N_IS2P_S2S_S2S_LS2T_0ENSQ_IJLi16ELi32ELi16EEEENSQ_IJLi16ELi4ELi1EEEES2W_S2_S2_S2Y_KS1M_S2W_S30_Li2ELi2ELi16ELi16ELi1ELi1ELb0ELb1ELi1EiEENS32_ILS33_1EKS2_lLb1ELS35_0EiEENS32_ILS33_2ES2_S1A_Lb1ELS35_0EiEES38_NS_25StaticBufferTupleOfVectorILS33_4EfLi2ELi8ELb1ELb0EEEEEvRKT1_RKT2_RT3_RKT4_RT5_RKT6_RKT7_RKT8_RT9_RKT10_RT11_RKT12_RT13_i.private_seg_size)
	.set _ZN2ck27kernel_gemm_xdl_cshuffle_v3INS_28GridwiseGemm_xdl_cshuffle_v3INS_13tensor_layout4gemm8RowMajorENS3_11ColumnMajorES4_DF16_NS_9f8_fnuz_tEfDF16_DF16_NS_16tensor_operation12element_wise11PassThroughES9_S9_LNS7_6device18GemmSpecializationE0ELi64ELi32ELi32ELi256ELi8ELi16ELi16ELi16ELi2ELi1ENS_8SequenceIJLi32ELi2ELi1EEEENSC_IJLi1ELi0ELi2EEEESE_Li2ELi8ELi8ELb0ELi0ENSC_IJLi16ELi4ELi1EEEESE_SE_Li2ELi16ELi16ELb0ELi0ELi1ELi1ENSC_IJLi1ELi16ELi1ELi4EEEELi4ELNS_26BlockGemmPipelineSchedulerE1ELNS_24BlockGemmPipelineVersionE0EDF16_DF16_Lb0ELb0ELb0ELi0ELb0EEELb1ELNS_25InMemoryDataOperationEnumE1ELi2ELNS_10TailNumberE10EEEvNT_8ArgumentE.uses_vcc, or(1, .L_ZNK2ck31BlockwiseGemmXdlops_pipeline_v1ILNS_26BlockGemmPipelineSchedulerE1ELi64EDF16_NS_9f8_fnuz_tEDF16_fNS_16TensorDescriptorINS_5TupleIJNS_5EmbedINS4_IJNS_17integral_constantIiLi32EEES7_NS6_IiLi8EEEEEENS4_IJS8_NS6_IiLi256EEENS6_IiLi1EEEEEELb0EEENS_3XorINS4_IJS7_S7_EEELb1EEENS_11PassThroughIS8_EENS_7UnMergeINS4_IJS7_SB_EEELb0EEENSH_IS7_EESI_SM_NS_21Merge_v3_division_modISK_EESI_EEENS4_IJNS_8SequenceIJLi0EEEENSQ_IJLi2ELi1EEEENSQ_IJLi3EEEENSQ_IJLi5EEEENSQ_IJLi4EEEENSQ_IJLi6EEEENSQ_IJLi7EEEENSQ_IJLi9ELi8EEEENSQ_IJLi10EEEEEEENS4_IJNSQ_IJLi1ELi2ELi3EEEENSQ_IJLi4ELi5EEEESW_NSQ_IJLi7ELi8EEEENSQ_IJLi9EEEESZ_NSQ_IJLi11EEEENSQ_IJLi12EEEENSQ_IJLi13EEEEEEENSQ_IJLi11ELi12ELi13EEEENS6_IlLl8192EEEEENS3_INS4_IJNS5_INS4_IJNS6_IiLi16EEES7_S1C_EEENS4_IJS1C_SA_SB_EEELb0EEENSE_INS4_IJS7_S1C_EEELb1EEENSH_IS1C_EENSJ_INS4_IJS1C_SB_EEELb0EEESM_S1I_S1I_SO_S1I_EEES10_S18_S19_S1A_EENS3_INS4_IJSD_SG_SI_SL_SM_SI_SM_SO_SI_NSN_INS4_IJS7_S8_EEEEENSJ_INS4_IJNS6_IiLi2EEESB_S1C_EEELb0EEEEEENS4_IJSR_SS_ST_SU_SV_SW_SX_SY_SZ_NSQ_IJLi11ELi13EEEES16_EEENS4_IJS11_S12_SW_S13_S14_SZ_S15_S16_S17_NSQ_IJLi14EEEENSQ_IJLi15ELi16ELi17EEEEEEENSQ_IJLi15ELi16ELi17ELi14EEEES1A_EENS3_INS4_IJS1F_S1H_S1I_S1K_SM_S1I_S1I_SO_S1I_NSN_INS4_IJS1C_S1C_EEEEENSJ_INS4_IJSB_S1P_S1C_EEELb0EEEEEES1U_S1X_S1Y_S1A_EELi8ELi16ELi32ELi32ELi256ELi16ELi16ELi2ELi1ELi16ELb1EE3RunILb1ELNS_10TailNumberE10ENS3_INS4_IJNS5_INS4_IJiiEEENS4_IJiSB_EEELb0EEENSJ_IS29_Lb0EEENSH_IiEEEEENS4_IJSR_NSQ_IJLi2EEEENSQ_IJLi1EEEEEEENS4_IJNSQ_IJLi1ELi2EEEENSQ_IJLi3ELi4EEEESU_EEENSQ_IJLi3ELi5ELi4EEEElEES1B_NS_35ThreadGroupTensorSliceTransfer_v4r1INS_15ThisThreadBlockILi64EEENS_16tensor_operation12element_wise11PassThroughES2S_LNS_25InMemoryDataOperationEnumE0ENSQ_IJLi32ELi32ELi8EEEENSQ_IJLi32ELi2ELi1EEEENSQ_IJLi1ELi0ELi2EEEEDF16_DF16_RKS2M_KS1B_S2W_NSQ_IJLi0ELi1ELi2EEEELi2ELi2ELi8ELi8ELi1ELi1ELb0ELb1ELi1EiEENS_13DynamicBufferILNS_16AddressSpaceEnumE1EKDF16_lLb1ELNS_22AmdBufferCoherenceEnumE0EiEENS32_ILS33_2EDF16_S1A_Lb1ELS35_0EiEENS4_IJiiiEEES2M_S1M_NS2N_IS2P_S2S_S2S_LS2T_0ENSQ_IJLi16ELi32ELi16EEEENSQ_IJLi16ELi4ELi1EEEES2W_S2_S2_S2Y_KS1M_S2W_S30_Li2ELi2ELi16ELi16ELi1ELi1ELb0ELb1ELi1EiEENS32_ILS33_1EKS2_lLb1ELS35_0EiEENS32_ILS33_2ES2_S1A_Lb1ELS35_0EiEES38_NS_25StaticBufferTupleOfVectorILS33_4EfLi2ELi8ELb1ELb0EEEEEvRKT1_RKT2_RT3_RKT4_RT5_RKT6_RKT7_RKT8_RT9_RKT10_RT11_RKT12_RT13_i.uses_vcc)
	.set _ZN2ck27kernel_gemm_xdl_cshuffle_v3INS_28GridwiseGemm_xdl_cshuffle_v3INS_13tensor_layout4gemm8RowMajorENS3_11ColumnMajorES4_DF16_NS_9f8_fnuz_tEfDF16_DF16_NS_16tensor_operation12element_wise11PassThroughES9_S9_LNS7_6device18GemmSpecializationE0ELi64ELi32ELi32ELi256ELi8ELi16ELi16ELi16ELi2ELi1ENS_8SequenceIJLi32ELi2ELi1EEEENSC_IJLi1ELi0ELi2EEEESE_Li2ELi8ELi8ELb0ELi0ENSC_IJLi16ELi4ELi1EEEESE_SE_Li2ELi16ELi16ELb0ELi0ELi1ELi1ENSC_IJLi1ELi16ELi1ELi4EEEELi4ELNS_26BlockGemmPipelineSchedulerE1ELNS_24BlockGemmPipelineVersionE0EDF16_DF16_Lb0ELb0ELb0ELi0ELb0EEELb1ELNS_25InMemoryDataOperationEnumE1ELi2ELNS_10TailNumberE10EEEvNT_8ArgumentE.uses_flat_scratch, or(1, .L_ZNK2ck31BlockwiseGemmXdlops_pipeline_v1ILNS_26BlockGemmPipelineSchedulerE1ELi64EDF16_NS_9f8_fnuz_tEDF16_fNS_16TensorDescriptorINS_5TupleIJNS_5EmbedINS4_IJNS_17integral_constantIiLi32EEES7_NS6_IiLi8EEEEEENS4_IJS8_NS6_IiLi256EEENS6_IiLi1EEEEEELb0EEENS_3XorINS4_IJS7_S7_EEELb1EEENS_11PassThroughIS8_EENS_7UnMergeINS4_IJS7_SB_EEELb0EEENSH_IS7_EESI_SM_NS_21Merge_v3_division_modISK_EESI_EEENS4_IJNS_8SequenceIJLi0EEEENSQ_IJLi2ELi1EEEENSQ_IJLi3EEEENSQ_IJLi5EEEENSQ_IJLi4EEEENSQ_IJLi6EEEENSQ_IJLi7EEEENSQ_IJLi9ELi8EEEENSQ_IJLi10EEEEEEENS4_IJNSQ_IJLi1ELi2ELi3EEEENSQ_IJLi4ELi5EEEESW_NSQ_IJLi7ELi8EEEENSQ_IJLi9EEEESZ_NSQ_IJLi11EEEENSQ_IJLi12EEEENSQ_IJLi13EEEEEEENSQ_IJLi11ELi12ELi13EEEENS6_IlLl8192EEEEENS3_INS4_IJNS5_INS4_IJNS6_IiLi16EEES7_S1C_EEENS4_IJS1C_SA_SB_EEELb0EEENSE_INS4_IJS7_S1C_EEELb1EEENSH_IS1C_EENSJ_INS4_IJS1C_SB_EEELb0EEESM_S1I_S1I_SO_S1I_EEES10_S18_S19_S1A_EENS3_INS4_IJSD_SG_SI_SL_SM_SI_SM_SO_SI_NSN_INS4_IJS7_S8_EEEEENSJ_INS4_IJNS6_IiLi2EEESB_S1C_EEELb0EEEEEENS4_IJSR_SS_ST_SU_SV_SW_SX_SY_SZ_NSQ_IJLi11ELi13EEEES16_EEENS4_IJS11_S12_SW_S13_S14_SZ_S15_S16_S17_NSQ_IJLi14EEEENSQ_IJLi15ELi16ELi17EEEEEEENSQ_IJLi15ELi16ELi17ELi14EEEES1A_EENS3_INS4_IJS1F_S1H_S1I_S1K_SM_S1I_S1I_SO_S1I_NSN_INS4_IJS1C_S1C_EEEEENSJ_INS4_IJSB_S1P_S1C_EEELb0EEEEEES1U_S1X_S1Y_S1A_EELi8ELi16ELi32ELi32ELi256ELi16ELi16ELi2ELi1ELi16ELb1EE3RunILb1ELNS_10TailNumberE10ENS3_INS4_IJNS5_INS4_IJiiEEENS4_IJiSB_EEELb0EEENSJ_IS29_Lb0EEENSH_IiEEEEENS4_IJSR_NSQ_IJLi2EEEENSQ_IJLi1EEEEEEENS4_IJNSQ_IJLi1ELi2EEEENSQ_IJLi3ELi4EEEESU_EEENSQ_IJLi3ELi5ELi4EEEElEES1B_NS_35ThreadGroupTensorSliceTransfer_v4r1INS_15ThisThreadBlockILi64EEENS_16tensor_operation12element_wise11PassThroughES2S_LNS_25InMemoryDataOperationEnumE0ENSQ_IJLi32ELi32ELi8EEEENSQ_IJLi32ELi2ELi1EEEENSQ_IJLi1ELi0ELi2EEEEDF16_DF16_RKS2M_KS1B_S2W_NSQ_IJLi0ELi1ELi2EEEELi2ELi2ELi8ELi8ELi1ELi1ELb0ELb1ELi1EiEENS_13DynamicBufferILNS_16AddressSpaceEnumE1EKDF16_lLb1ELNS_22AmdBufferCoherenceEnumE0EiEENS32_ILS33_2EDF16_S1A_Lb1ELS35_0EiEENS4_IJiiiEEES2M_S1M_NS2N_IS2P_S2S_S2S_LS2T_0ENSQ_IJLi16ELi32ELi16EEEENSQ_IJLi16ELi4ELi1EEEES2W_S2_S2_S2Y_KS1M_S2W_S30_Li2ELi2ELi16ELi16ELi1ELi1ELb0ELb1ELi1EiEENS32_ILS33_1EKS2_lLb1ELS35_0EiEENS32_ILS33_2ES2_S1A_Lb1ELS35_0EiEES38_NS_25StaticBufferTupleOfVectorILS33_4EfLi2ELi8ELb1ELb0EEEEEvRKT1_RKT2_RT3_RKT4_RT5_RKT6_RKT7_RKT8_RT9_RKT10_RT11_RKT12_RT13_i.uses_flat_scratch)
	.set _ZN2ck27kernel_gemm_xdl_cshuffle_v3INS_28GridwiseGemm_xdl_cshuffle_v3INS_13tensor_layout4gemm8RowMajorENS3_11ColumnMajorES4_DF16_NS_9f8_fnuz_tEfDF16_DF16_NS_16tensor_operation12element_wise11PassThroughES9_S9_LNS7_6device18GemmSpecializationE0ELi64ELi32ELi32ELi256ELi8ELi16ELi16ELi16ELi2ELi1ENS_8SequenceIJLi32ELi2ELi1EEEENSC_IJLi1ELi0ELi2EEEESE_Li2ELi8ELi8ELb0ELi0ENSC_IJLi16ELi4ELi1EEEESE_SE_Li2ELi16ELi16ELb0ELi0ELi1ELi1ENSC_IJLi1ELi16ELi1ELi4EEEELi4ELNS_26BlockGemmPipelineSchedulerE1ELNS_24BlockGemmPipelineVersionE0EDF16_DF16_Lb0ELb0ELb0ELi0ELb0EEELb1ELNS_25InMemoryDataOperationEnumE1ELi2ELNS_10TailNumberE10EEEvNT_8ArgumentE.has_dyn_sized_stack, or(0, .L_ZNK2ck31BlockwiseGemmXdlops_pipeline_v1ILNS_26BlockGemmPipelineSchedulerE1ELi64EDF16_NS_9f8_fnuz_tEDF16_fNS_16TensorDescriptorINS_5TupleIJNS_5EmbedINS4_IJNS_17integral_constantIiLi32EEES7_NS6_IiLi8EEEEEENS4_IJS8_NS6_IiLi256EEENS6_IiLi1EEEEEELb0EEENS_3XorINS4_IJS7_S7_EEELb1EEENS_11PassThroughIS8_EENS_7UnMergeINS4_IJS7_SB_EEELb0EEENSH_IS7_EESI_SM_NS_21Merge_v3_division_modISK_EESI_EEENS4_IJNS_8SequenceIJLi0EEEENSQ_IJLi2ELi1EEEENSQ_IJLi3EEEENSQ_IJLi5EEEENSQ_IJLi4EEEENSQ_IJLi6EEEENSQ_IJLi7EEEENSQ_IJLi9ELi8EEEENSQ_IJLi10EEEEEEENS4_IJNSQ_IJLi1ELi2ELi3EEEENSQ_IJLi4ELi5EEEESW_NSQ_IJLi7ELi8EEEENSQ_IJLi9EEEESZ_NSQ_IJLi11EEEENSQ_IJLi12EEEENSQ_IJLi13EEEEEEENSQ_IJLi11ELi12ELi13EEEENS6_IlLl8192EEEEENS3_INS4_IJNS5_INS4_IJNS6_IiLi16EEES7_S1C_EEENS4_IJS1C_SA_SB_EEELb0EEENSE_INS4_IJS7_S1C_EEELb1EEENSH_IS1C_EENSJ_INS4_IJS1C_SB_EEELb0EEESM_S1I_S1I_SO_S1I_EEES10_S18_S19_S1A_EENS3_INS4_IJSD_SG_SI_SL_SM_SI_SM_SO_SI_NSN_INS4_IJS7_S8_EEEEENSJ_INS4_IJNS6_IiLi2EEESB_S1C_EEELb0EEEEEENS4_IJSR_SS_ST_SU_SV_SW_SX_SY_SZ_NSQ_IJLi11ELi13EEEES16_EEENS4_IJS11_S12_SW_S13_S14_SZ_S15_S16_S17_NSQ_IJLi14EEEENSQ_IJLi15ELi16ELi17EEEEEEENSQ_IJLi15ELi16ELi17ELi14EEEES1A_EENS3_INS4_IJS1F_S1H_S1I_S1K_SM_S1I_S1I_SO_S1I_NSN_INS4_IJS1C_S1C_EEEEENSJ_INS4_IJSB_S1P_S1C_EEELb0EEEEEES1U_S1X_S1Y_S1A_EELi8ELi16ELi32ELi32ELi256ELi16ELi16ELi2ELi1ELi16ELb1EE3RunILb1ELNS_10TailNumberE10ENS3_INS4_IJNS5_INS4_IJiiEEENS4_IJiSB_EEELb0EEENSJ_IS29_Lb0EEENSH_IiEEEEENS4_IJSR_NSQ_IJLi2EEEENSQ_IJLi1EEEEEEENS4_IJNSQ_IJLi1ELi2EEEENSQ_IJLi3ELi4EEEESU_EEENSQ_IJLi3ELi5ELi4EEEElEES1B_NS_35ThreadGroupTensorSliceTransfer_v4r1INS_15ThisThreadBlockILi64EEENS_16tensor_operation12element_wise11PassThroughES2S_LNS_25InMemoryDataOperationEnumE0ENSQ_IJLi32ELi32ELi8EEEENSQ_IJLi32ELi2ELi1EEEENSQ_IJLi1ELi0ELi2EEEEDF16_DF16_RKS2M_KS1B_S2W_NSQ_IJLi0ELi1ELi2EEEELi2ELi2ELi8ELi8ELi1ELi1ELb0ELb1ELi1EiEENS_13DynamicBufferILNS_16AddressSpaceEnumE1EKDF16_lLb1ELNS_22AmdBufferCoherenceEnumE0EiEENS32_ILS33_2EDF16_S1A_Lb1ELS35_0EiEENS4_IJiiiEEES2M_S1M_NS2N_IS2P_S2S_S2S_LS2T_0ENSQ_IJLi16ELi32ELi16EEEENSQ_IJLi16ELi4ELi1EEEES2W_S2_S2_S2Y_KS1M_S2W_S30_Li2ELi2ELi16ELi16ELi1ELi1ELb0ELb1ELi1EiEENS32_ILS33_1EKS2_lLb1ELS35_0EiEENS32_ILS33_2ES2_S1A_Lb1ELS35_0EiEES38_NS_25StaticBufferTupleOfVectorILS33_4EfLi2ELi8ELb1ELb0EEEEEvRKT1_RKT2_RT3_RKT4_RT5_RKT6_RKT7_RKT8_RT9_RKT10_RT11_RKT12_RT13_i.has_dyn_sized_stack)
	.set _ZN2ck27kernel_gemm_xdl_cshuffle_v3INS_28GridwiseGemm_xdl_cshuffle_v3INS_13tensor_layout4gemm8RowMajorENS3_11ColumnMajorES4_DF16_NS_9f8_fnuz_tEfDF16_DF16_NS_16tensor_operation12element_wise11PassThroughES9_S9_LNS7_6device18GemmSpecializationE0ELi64ELi32ELi32ELi256ELi8ELi16ELi16ELi16ELi2ELi1ENS_8SequenceIJLi32ELi2ELi1EEEENSC_IJLi1ELi0ELi2EEEESE_Li2ELi8ELi8ELb0ELi0ENSC_IJLi16ELi4ELi1EEEESE_SE_Li2ELi16ELi16ELb0ELi0ELi1ELi1ENSC_IJLi1ELi16ELi1ELi4EEEELi4ELNS_26BlockGemmPipelineSchedulerE1ELNS_24BlockGemmPipelineVersionE0EDF16_DF16_Lb0ELb0ELb0ELi0ELb0EEELb1ELNS_25InMemoryDataOperationEnumE1ELi2ELNS_10TailNumberE10EEEvNT_8ArgumentE.has_recursion, or(0, .L_ZNK2ck31BlockwiseGemmXdlops_pipeline_v1ILNS_26BlockGemmPipelineSchedulerE1ELi64EDF16_NS_9f8_fnuz_tEDF16_fNS_16TensorDescriptorINS_5TupleIJNS_5EmbedINS4_IJNS_17integral_constantIiLi32EEES7_NS6_IiLi8EEEEEENS4_IJS8_NS6_IiLi256EEENS6_IiLi1EEEEEELb0EEENS_3XorINS4_IJS7_S7_EEELb1EEENS_11PassThroughIS8_EENS_7UnMergeINS4_IJS7_SB_EEELb0EEENSH_IS7_EESI_SM_NS_21Merge_v3_division_modISK_EESI_EEENS4_IJNS_8SequenceIJLi0EEEENSQ_IJLi2ELi1EEEENSQ_IJLi3EEEENSQ_IJLi5EEEENSQ_IJLi4EEEENSQ_IJLi6EEEENSQ_IJLi7EEEENSQ_IJLi9ELi8EEEENSQ_IJLi10EEEEEEENS4_IJNSQ_IJLi1ELi2ELi3EEEENSQ_IJLi4ELi5EEEESW_NSQ_IJLi7ELi8EEEENSQ_IJLi9EEEESZ_NSQ_IJLi11EEEENSQ_IJLi12EEEENSQ_IJLi13EEEEEEENSQ_IJLi11ELi12ELi13EEEENS6_IlLl8192EEEEENS3_INS4_IJNS5_INS4_IJNS6_IiLi16EEES7_S1C_EEENS4_IJS1C_SA_SB_EEELb0EEENSE_INS4_IJS7_S1C_EEELb1EEENSH_IS1C_EENSJ_INS4_IJS1C_SB_EEELb0EEESM_S1I_S1I_SO_S1I_EEES10_S18_S19_S1A_EENS3_INS4_IJSD_SG_SI_SL_SM_SI_SM_SO_SI_NSN_INS4_IJS7_S8_EEEEENSJ_INS4_IJNS6_IiLi2EEESB_S1C_EEELb0EEEEEENS4_IJSR_SS_ST_SU_SV_SW_SX_SY_SZ_NSQ_IJLi11ELi13EEEES16_EEENS4_IJS11_S12_SW_S13_S14_SZ_S15_S16_S17_NSQ_IJLi14EEEENSQ_IJLi15ELi16ELi17EEEEEEENSQ_IJLi15ELi16ELi17ELi14EEEES1A_EENS3_INS4_IJS1F_S1H_S1I_S1K_SM_S1I_S1I_SO_S1I_NSN_INS4_IJS1C_S1C_EEEEENSJ_INS4_IJSB_S1P_S1C_EEELb0EEEEEES1U_S1X_S1Y_S1A_EELi8ELi16ELi32ELi32ELi256ELi16ELi16ELi2ELi1ELi16ELb1EE3RunILb1ELNS_10TailNumberE10ENS3_INS4_IJNS5_INS4_IJiiEEENS4_IJiSB_EEELb0EEENSJ_IS29_Lb0EEENSH_IiEEEEENS4_IJSR_NSQ_IJLi2EEEENSQ_IJLi1EEEEEEENS4_IJNSQ_IJLi1ELi2EEEENSQ_IJLi3ELi4EEEESU_EEENSQ_IJLi3ELi5ELi4EEEElEES1B_NS_35ThreadGroupTensorSliceTransfer_v4r1INS_15ThisThreadBlockILi64EEENS_16tensor_operation12element_wise11PassThroughES2S_LNS_25InMemoryDataOperationEnumE0ENSQ_IJLi32ELi32ELi8EEEENSQ_IJLi32ELi2ELi1EEEENSQ_IJLi1ELi0ELi2EEEEDF16_DF16_RKS2M_KS1B_S2W_NSQ_IJLi0ELi1ELi2EEEELi2ELi2ELi8ELi8ELi1ELi1ELb0ELb1ELi1EiEENS_13DynamicBufferILNS_16AddressSpaceEnumE1EKDF16_lLb1ELNS_22AmdBufferCoherenceEnumE0EiEENS32_ILS33_2EDF16_S1A_Lb1ELS35_0EiEENS4_IJiiiEEES2M_S1M_NS2N_IS2P_S2S_S2S_LS2T_0ENSQ_IJLi16ELi32ELi16EEEENSQ_IJLi16ELi4ELi1EEEES2W_S2_S2_S2Y_KS1M_S2W_S30_Li2ELi2ELi16ELi16ELi1ELi1ELb0ELb1ELi1EiEENS32_ILS33_1EKS2_lLb1ELS35_0EiEENS32_ILS33_2ES2_S1A_Lb1ELS35_0EiEES38_NS_25StaticBufferTupleOfVectorILS33_4EfLi2ELi8ELb1ELb0EEEEEvRKT1_RKT2_RT3_RKT4_RT5_RKT6_RKT7_RKT8_RT9_RKT10_RT11_RKT12_RT13_i.has_recursion)
	.set _ZN2ck27kernel_gemm_xdl_cshuffle_v3INS_28GridwiseGemm_xdl_cshuffle_v3INS_13tensor_layout4gemm8RowMajorENS3_11ColumnMajorES4_DF16_NS_9f8_fnuz_tEfDF16_DF16_NS_16tensor_operation12element_wise11PassThroughES9_S9_LNS7_6device18GemmSpecializationE0ELi64ELi32ELi32ELi256ELi8ELi16ELi16ELi16ELi2ELi1ENS_8SequenceIJLi32ELi2ELi1EEEENSC_IJLi1ELi0ELi2EEEESE_Li2ELi8ELi8ELb0ELi0ENSC_IJLi16ELi4ELi1EEEESE_SE_Li2ELi16ELi16ELb0ELi0ELi1ELi1ENSC_IJLi1ELi16ELi1ELi4EEEELi4ELNS_26BlockGemmPipelineSchedulerE1ELNS_24BlockGemmPipelineVersionE0EDF16_DF16_Lb0ELb0ELb0ELi0ELb0EEELb1ELNS_25InMemoryDataOperationEnumE1ELi2ELNS_10TailNumberE10EEEvNT_8ArgumentE.has_indirect_call, or(0, .L_ZNK2ck31BlockwiseGemmXdlops_pipeline_v1ILNS_26BlockGemmPipelineSchedulerE1ELi64EDF16_NS_9f8_fnuz_tEDF16_fNS_16TensorDescriptorINS_5TupleIJNS_5EmbedINS4_IJNS_17integral_constantIiLi32EEES7_NS6_IiLi8EEEEEENS4_IJS8_NS6_IiLi256EEENS6_IiLi1EEEEEELb0EEENS_3XorINS4_IJS7_S7_EEELb1EEENS_11PassThroughIS8_EENS_7UnMergeINS4_IJS7_SB_EEELb0EEENSH_IS7_EESI_SM_NS_21Merge_v3_division_modISK_EESI_EEENS4_IJNS_8SequenceIJLi0EEEENSQ_IJLi2ELi1EEEENSQ_IJLi3EEEENSQ_IJLi5EEEENSQ_IJLi4EEEENSQ_IJLi6EEEENSQ_IJLi7EEEENSQ_IJLi9ELi8EEEENSQ_IJLi10EEEEEEENS4_IJNSQ_IJLi1ELi2ELi3EEEENSQ_IJLi4ELi5EEEESW_NSQ_IJLi7ELi8EEEENSQ_IJLi9EEEESZ_NSQ_IJLi11EEEENSQ_IJLi12EEEENSQ_IJLi13EEEEEEENSQ_IJLi11ELi12ELi13EEEENS6_IlLl8192EEEEENS3_INS4_IJNS5_INS4_IJNS6_IiLi16EEES7_S1C_EEENS4_IJS1C_SA_SB_EEELb0EEENSE_INS4_IJS7_S1C_EEELb1EEENSH_IS1C_EENSJ_INS4_IJS1C_SB_EEELb0EEESM_S1I_S1I_SO_S1I_EEES10_S18_S19_S1A_EENS3_INS4_IJSD_SG_SI_SL_SM_SI_SM_SO_SI_NSN_INS4_IJS7_S8_EEEEENSJ_INS4_IJNS6_IiLi2EEESB_S1C_EEELb0EEEEEENS4_IJSR_SS_ST_SU_SV_SW_SX_SY_SZ_NSQ_IJLi11ELi13EEEES16_EEENS4_IJS11_S12_SW_S13_S14_SZ_S15_S16_S17_NSQ_IJLi14EEEENSQ_IJLi15ELi16ELi17EEEEEEENSQ_IJLi15ELi16ELi17ELi14EEEES1A_EENS3_INS4_IJS1F_S1H_S1I_S1K_SM_S1I_S1I_SO_S1I_NSN_INS4_IJS1C_S1C_EEEEENSJ_INS4_IJSB_S1P_S1C_EEELb0EEEEEES1U_S1X_S1Y_S1A_EELi8ELi16ELi32ELi32ELi256ELi16ELi16ELi2ELi1ELi16ELb1EE3RunILb1ELNS_10TailNumberE10ENS3_INS4_IJNS5_INS4_IJiiEEENS4_IJiSB_EEELb0EEENSJ_IS29_Lb0EEENSH_IiEEEEENS4_IJSR_NSQ_IJLi2EEEENSQ_IJLi1EEEEEEENS4_IJNSQ_IJLi1ELi2EEEENSQ_IJLi3ELi4EEEESU_EEENSQ_IJLi3ELi5ELi4EEEElEES1B_NS_35ThreadGroupTensorSliceTransfer_v4r1INS_15ThisThreadBlockILi64EEENS_16tensor_operation12element_wise11PassThroughES2S_LNS_25InMemoryDataOperationEnumE0ENSQ_IJLi32ELi32ELi8EEEENSQ_IJLi32ELi2ELi1EEEENSQ_IJLi1ELi0ELi2EEEEDF16_DF16_RKS2M_KS1B_S2W_NSQ_IJLi0ELi1ELi2EEEELi2ELi2ELi8ELi8ELi1ELi1ELb0ELb1ELi1EiEENS_13DynamicBufferILNS_16AddressSpaceEnumE1EKDF16_lLb1ELNS_22AmdBufferCoherenceEnumE0EiEENS32_ILS33_2EDF16_S1A_Lb1ELS35_0EiEENS4_IJiiiEEES2M_S1M_NS2N_IS2P_S2S_S2S_LS2T_0ENSQ_IJLi16ELi32ELi16EEEENSQ_IJLi16ELi4ELi1EEEES2W_S2_S2_S2Y_KS1M_S2W_S30_Li2ELi2ELi16ELi16ELi1ELi1ELb0ELb1ELi1EiEENS32_ILS33_1EKS2_lLb1ELS35_0EiEENS32_ILS33_2ES2_S1A_Lb1ELS35_0EiEES38_NS_25StaticBufferTupleOfVectorILS33_4EfLi2ELi8ELb1ELb0EEEEEvRKT1_RKT2_RT3_RKT4_RT5_RKT6_RKT7_RKT8_RT9_RKT10_RT11_RKT12_RT13_i.has_indirect_call)
	.section	.AMDGPU.csdata,"",@progbits
; Kernel info:
; codeLenInByte = 3996
; TotalNumSgprs: 38
; NumVgprs: 248
; ScratchSize: 2192
; MemoryBound: 0
; FloatMode: 240
; IeeeMode: 1
; LDSByteSize: 24576 bytes/workgroup (compile time only)
; SGPRBlocks: 0
; VGPRBlocks: 30
; NumSGPRsForWavesPerEU: 38
; NumVGPRsForWavesPerEU: 248
; Occupancy: 3
; WaveLimiterHint : 1
; COMPUTE_PGM_RSRC2:SCRATCH_EN: 1
; COMPUTE_PGM_RSRC2:USER_SGPR: 2
; COMPUTE_PGM_RSRC2:TRAP_HANDLER: 0
; COMPUTE_PGM_RSRC2:TGID_X_EN: 1
; COMPUTE_PGM_RSRC2:TGID_Y_EN: 0
; COMPUTE_PGM_RSRC2:TGID_Z_EN: 1
; COMPUTE_PGM_RSRC2:TIDIG_COMP_CNT: 0
	.section	.text._ZN2ck27kernel_gemm_xdl_cshuffle_v3INS_28GridwiseGemm_xdl_cshuffle_v3INS_13tensor_layout4gemm8RowMajorENS3_11ColumnMajorES4_DF16_NS_9f8_fnuz_tEfDF16_DF16_NS_16tensor_operation12element_wise11PassThroughES9_S9_LNS7_6device18GemmSpecializationE0ELi64ELi32ELi32ELi256ELi8ELi16ELi16ELi16ELi2ELi1ENS_8SequenceIJLi32ELi2ELi1EEEENSC_IJLi1ELi0ELi2EEEESE_Li2ELi8ELi8ELb0ELi0ENSC_IJLi16ELi4ELi1EEEESE_SE_Li2ELi16ELi16ELb0ELi0ELi1ELi1ENSC_IJLi1ELi16ELi1ELi4EEEELi4ELNS_26BlockGemmPipelineSchedulerE1ELNS_24BlockGemmPipelineVersionE0EDF16_DF16_Lb0ELb0ELb0ELi0ELb0EEELb1ELNS_25InMemoryDataOperationEnumE0ELi2ELNS_10TailNumberE10EEEvNT_8ArgumentE,"axG",@progbits,_ZN2ck27kernel_gemm_xdl_cshuffle_v3INS_28GridwiseGemm_xdl_cshuffle_v3INS_13tensor_layout4gemm8RowMajorENS3_11ColumnMajorES4_DF16_NS_9f8_fnuz_tEfDF16_DF16_NS_16tensor_operation12element_wise11PassThroughES9_S9_LNS7_6device18GemmSpecializationE0ELi64ELi32ELi32ELi256ELi8ELi16ELi16ELi16ELi2ELi1ENS_8SequenceIJLi32ELi2ELi1EEEENSC_IJLi1ELi0ELi2EEEESE_Li2ELi8ELi8ELb0ELi0ENSC_IJLi16ELi4ELi1EEEESE_SE_Li2ELi16ELi16ELb0ELi0ELi1ELi1ENSC_IJLi1ELi16ELi1ELi4EEEELi4ELNS_26BlockGemmPipelineSchedulerE1ELNS_24BlockGemmPipelineVersionE0EDF16_DF16_Lb0ELb0ELb0ELi0ELb0EEELb1ELNS_25InMemoryDataOperationEnumE0ELi2ELNS_10TailNumberE10EEEvNT_8ArgumentE,comdat
	.protected	_ZN2ck27kernel_gemm_xdl_cshuffle_v3INS_28GridwiseGemm_xdl_cshuffle_v3INS_13tensor_layout4gemm8RowMajorENS3_11ColumnMajorES4_DF16_NS_9f8_fnuz_tEfDF16_DF16_NS_16tensor_operation12element_wise11PassThroughES9_S9_LNS7_6device18GemmSpecializationE0ELi64ELi32ELi32ELi256ELi8ELi16ELi16ELi16ELi2ELi1ENS_8SequenceIJLi32ELi2ELi1EEEENSC_IJLi1ELi0ELi2EEEESE_Li2ELi8ELi8ELb0ELi0ENSC_IJLi16ELi4ELi1EEEESE_SE_Li2ELi16ELi16ELb0ELi0ELi1ELi1ENSC_IJLi1ELi16ELi1ELi4EEEELi4ELNS_26BlockGemmPipelineSchedulerE1ELNS_24BlockGemmPipelineVersionE0EDF16_DF16_Lb0ELb0ELb0ELi0ELb0EEELb1ELNS_25InMemoryDataOperationEnumE0ELi2ELNS_10TailNumberE10EEEvNT_8ArgumentE ; -- Begin function _ZN2ck27kernel_gemm_xdl_cshuffle_v3INS_28GridwiseGemm_xdl_cshuffle_v3INS_13tensor_layout4gemm8RowMajorENS3_11ColumnMajorES4_DF16_NS_9f8_fnuz_tEfDF16_DF16_NS_16tensor_operation12element_wise11PassThroughES9_S9_LNS7_6device18GemmSpecializationE0ELi64ELi32ELi32ELi256ELi8ELi16ELi16ELi16ELi2ELi1ENS_8SequenceIJLi32ELi2ELi1EEEENSC_IJLi1ELi0ELi2EEEESE_Li2ELi8ELi8ELb0ELi0ENSC_IJLi16ELi4ELi1EEEESE_SE_Li2ELi16ELi16ELb0ELi0ELi1ELi1ENSC_IJLi1ELi16ELi1ELi4EEEELi4ELNS_26BlockGemmPipelineSchedulerE1ELNS_24BlockGemmPipelineVersionE0EDF16_DF16_Lb0ELb0ELb0ELi0ELb0EEELb1ELNS_25InMemoryDataOperationEnumE0ELi2ELNS_10TailNumberE10EEEvNT_8ArgumentE
	.globl	_ZN2ck27kernel_gemm_xdl_cshuffle_v3INS_28GridwiseGemm_xdl_cshuffle_v3INS_13tensor_layout4gemm8RowMajorENS3_11ColumnMajorES4_DF16_NS_9f8_fnuz_tEfDF16_DF16_NS_16tensor_operation12element_wise11PassThroughES9_S9_LNS7_6device18GemmSpecializationE0ELi64ELi32ELi32ELi256ELi8ELi16ELi16ELi16ELi2ELi1ENS_8SequenceIJLi32ELi2ELi1EEEENSC_IJLi1ELi0ELi2EEEESE_Li2ELi8ELi8ELb0ELi0ENSC_IJLi16ELi4ELi1EEEESE_SE_Li2ELi16ELi16ELb0ELi0ELi1ELi1ENSC_IJLi1ELi16ELi1ELi4EEEELi4ELNS_26BlockGemmPipelineSchedulerE1ELNS_24BlockGemmPipelineVersionE0EDF16_DF16_Lb0ELb0ELb0ELi0ELb0EEELb1ELNS_25InMemoryDataOperationEnumE0ELi2ELNS_10TailNumberE10EEEvNT_8ArgumentE
	.p2align	8
	.type	_ZN2ck27kernel_gemm_xdl_cshuffle_v3INS_28GridwiseGemm_xdl_cshuffle_v3INS_13tensor_layout4gemm8RowMajorENS3_11ColumnMajorES4_DF16_NS_9f8_fnuz_tEfDF16_DF16_NS_16tensor_operation12element_wise11PassThroughES9_S9_LNS7_6device18GemmSpecializationE0ELi64ELi32ELi32ELi256ELi8ELi16ELi16ELi16ELi2ELi1ENS_8SequenceIJLi32ELi2ELi1EEEENSC_IJLi1ELi0ELi2EEEESE_Li2ELi8ELi8ELb0ELi0ENSC_IJLi16ELi4ELi1EEEESE_SE_Li2ELi16ELi16ELb0ELi0ELi1ELi1ENSC_IJLi1ELi16ELi1ELi4EEEELi4ELNS_26BlockGemmPipelineSchedulerE1ELNS_24BlockGemmPipelineVersionE0EDF16_DF16_Lb0ELb0ELb0ELi0ELb0EEELb1ELNS_25InMemoryDataOperationEnumE0ELi2ELNS_10TailNumberE10EEEvNT_8ArgumentE,@function
_ZN2ck27kernel_gemm_xdl_cshuffle_v3INS_28GridwiseGemm_xdl_cshuffle_v3INS_13tensor_layout4gemm8RowMajorENS3_11ColumnMajorES4_DF16_NS_9f8_fnuz_tEfDF16_DF16_NS_16tensor_operation12element_wise11PassThroughES9_S9_LNS7_6device18GemmSpecializationE0ELi64ELi32ELi32ELi256ELi8ELi16ELi16ELi16ELi2ELi1ENS_8SequenceIJLi32ELi2ELi1EEEENSC_IJLi1ELi0ELi2EEEESE_Li2ELi8ELi8ELb0ELi0ENSC_IJLi16ELi4ELi1EEEESE_SE_Li2ELi16ELi16ELb0ELi0ELi1ELi1ENSC_IJLi1ELi16ELi1ELi4EEEELi4ELNS_26BlockGemmPipelineSchedulerE1ELNS_24BlockGemmPipelineVersionE0EDF16_DF16_Lb0ELb0ELb0ELi0ELb0EEELb1ELNS_25InMemoryDataOperationEnumE0ELi2ELNS_10TailNumberE10EEEvNT_8ArgumentE: ; @_ZN2ck27kernel_gemm_xdl_cshuffle_v3INS_28GridwiseGemm_xdl_cshuffle_v3INS_13tensor_layout4gemm8RowMajorENS3_11ColumnMajorES4_DF16_NS_9f8_fnuz_tEfDF16_DF16_NS_16tensor_operation12element_wise11PassThroughES9_S9_LNS7_6device18GemmSpecializationE0ELi64ELi32ELi32ELi256ELi8ELi16ELi16ELi16ELi2ELi1ENS_8SequenceIJLi32ELi2ELi1EEEENSC_IJLi1ELi0ELi2EEEESE_Li2ELi8ELi8ELb0ELi0ENSC_IJLi16ELi4ELi1EEEESE_SE_Li2ELi16ELi16ELb0ELi0ELi1ELi1ENSC_IJLi1ELi16ELi1ELi4EEEELi4ELNS_26BlockGemmPipelineSchedulerE1ELNS_24BlockGemmPipelineVersionE0EDF16_DF16_Lb0ELb0ELb0ELi0ELb0EEELb1ELNS_25InMemoryDataOperationEnumE0ELi2ELNS_10TailNumberE10EEEvNT_8ArgumentE
; %bb.0:
	s_clause 0x5
	s_load_b96 s[24:26], s[0:1], 0x20
	s_load_b96 s[8:10], s[0:1], 0x60
	s_load_b128 s[16:19], s[0:1], 0x10
	s_load_b32 s23, s[0:1], 0x34
	s_load_b64 s[12:13], s[0:1], 0x3c
	s_load_b128 s[4:7], s[0:1], 0x50
	s_lshr_b32 s22, ttmp7, 16
	v_mov_b32_e32 v153, v0
	s_mov_b32 s30, ttmp9
	s_mov_b64 s[2:3], 0
	s_movk_i32 s32, 0x780
	s_wait_kmcnt 0x0
	s_cmp_gt_i32 s26, 1
	s_cselect_b32 s0, -1, 0
	s_bitcmp1_b32 s10, 0
	s_cselect_b32 s1, -1, 0
	s_delay_alu instid0(SALU_CYCLE_1) | instskip(NEXT) | instid1(SALU_CYCLE_1)
	s_and_b32 s0, s0, s1
	s_and_not1_b32 vcc_lo, exec_lo, s0
	s_cbranch_vccnz .LBB9_2
; %bb.1:
	s_mul_i32 s0, s16, s22
	s_delay_alu instid0(SALU_CYCLE_1) | instskip(NEXT) | instid1(SALU_CYCLE_1)
	s_mul_i32 s2, s0, s17
	s_ashr_i32 s3, s2, 31
.LBB9_2:
	s_add_co_i32 s1, s26, -1
	s_mov_b32 s0, 0
	s_mul_i32 s11, s1, s23
	s_mov_b32 s10, s19
	s_sub_co_i32 s14, s18, s11
	s_cmp_lt_u32 s22, s1
	s_mov_b32 s11, s0
	s_cselect_b32 s14, s23, s14
	s_add_co_i32 s1, s16, -1
	v_dual_mov_b32 v0, 0 :: v_dual_mov_b32 v1, s16
	v_dual_mov_b32 v2, s14 :: v_dual_mov_b32 v3, s19
	v_mov_b32_e32 v4, 8
	s_mul_u64 s[10:11], s[0:1], s[10:11]
	s_ashr_i32 s15, s14, 31
	s_ashr_i32 s21, s11, 31
	s_mov_b32 s20, s11
	s_mul_i32 s18, s16, s12
	s_wait_alu 0xfffe
	s_add_nc_u64 s[10:11], s[20:21], s[14:15]
	s_lshl_b32 s18, s18, 3
	s_clause 0x1
	scratch_store_b96 off, v[1:3], off offset:1792
	scratch_store_b32 off, v0, off offset:1804
	v_mov_b32_e32 v3, s12
	v_dual_mov_b32 v5, v4 :: v_dual_mov_b32 v6, s16
	s_mov_b32 s26, s24
	s_mov_b32 s27, s0
	s_add_co_i32 s21, s17, -1
	s_mov_b32 s20, s0
	s_wait_alu 0xfffe
	v_dual_mov_b32 v7, s18 :: v_dual_mov_b32 v8, s10
	v_mov_b32_e32 v9, s11
	s_mul_u64 s[26:27], s[20:21], s[26:27]
	s_mul_i32 s18, s17, s13
	s_clause 0x3
	scratch_store_b96 off, v[3:5], off offset:1808
	scratch_store_b8 off, v0, off offset:1820
	scratch_store_b64 off, v[6:7], off offset:1824
	scratch_store_b64 off, v[8:9], off offset:1832
	s_ashr_i32 s29, s27, 31
	s_mov_b32 s28, s27
	s_wait_alu 0xfffe
	s_lshl_b32 s18, s18, 4
	v_mov_b32_e32 v5, 16
	v_mov_b32_e32 v1, s17
	s_add_nc_u64 s[14:15], s[28:29], s[14:15]
	v_dual_mov_b32 v3, s24 :: v_dual_mov_b32 v4, s13
	s_wait_alu 0xfffe
	v_dual_mov_b32 v6, v5 :: v_dual_mov_b32 v7, s14
	v_mov_b32_e32 v8, s15
	s_clause 0x1
	scratch_store_b96 off, v[1:3], off offset:1840
	scratch_store_b32 off, v0, off offset:1852
	v_mov_b32_e32 v2, s18
	s_cmp_lt_u32 s1, 32
	s_clause 0x3
	scratch_store_b96 off, v[4:6], off offset:1856
	scratch_store_b8 off, v0, off offset:1868
	scratch_store_b64 off, v[1:2], off offset:1872
	scratch_store_b64 off, v[7:8], off offset:1880
	s_cbranch_scc1 .LBB9_6
; %bb.3:
	s_cmp_lt_u32 s21, 32
	s_mov_b32 s18, 0
	s_cbranch_scc1 .LBB9_10
; %bb.4:
	s_add_co_i32 s13, s16, 31
	s_add_co_i32 s18, s17, 31
	s_wait_alu 0xfffe
	s_ashr_i32 s20, s13, 31
	s_ashr_i32 s21, s18, 31
	s_lshr_b32 s20, s20, 27
	s_lshr_b32 s21, s21, 27
	s_add_co_i32 s13, s13, s20
	s_add_co_i32 s20, s18, s21
	s_wait_alu 0xfffe
	s_ashr_i32 s18, s13, 5
	s_ashr_i32 s13, s20, 5
	;; [unrolled: 1-line block ×3, first 2 shown]
	s_wait_alu 0xfffe
	s_mul_i32 s20, s13, s18
	s_delay_alu instid0(SALU_CYCLE_1) | instskip(NEXT) | instid1(SALU_CYCLE_1)
	s_add_co_i32 s21, s20, 7
	s_ashr_i32 s26, s21, 31
	s_delay_alu instid0(SALU_CYCLE_1) | instskip(NEXT) | instid1(SALU_CYCLE_1)
	s_lshr_b32 s26, s26, 29
	s_add_co_i32 s29, s21, s26
	s_lshr_b32 s21, s27, 29
	s_and_b32 s26, s29, -8
	s_add_co_i32 s28, s30, s21
	s_sub_co_i32 s21, s20, s26
	s_and_b32 s20, s28, -8
	s_add_co_i32 s21, s21, 8
	s_sub_co_i32 s26, s30, s20
	s_ashr_i32 s27, s29, 3
	s_cmp_gt_i32 s26, s21
	s_cbranch_scc1 .LBB9_7
; %bb.5:
	s_mul_i32 s20, s27, s26
	s_ashr_i32 s28, s28, 3
	s_cbranch_execz .LBB9_8
	s_branch .LBB9_9
.LBB9_6:
	s_mov_b32 s13, s0
	s_branch .LBB9_11
.LBB9_7:
                                        ; implicit-def: $sgpr20
	s_ashr_i32 s28, s28, 3
.LBB9_8:
	s_add_co_i32 s20, s27, -1
	s_delay_alu instid0(SALU_CYCLE_1) | instskip(NEXT) | instid1(SALU_CYCLE_1)
	s_mul_i32 s20, s20, s26
	s_add_co_i32 s20, s21, s20
.LBB9_9:
	s_abs_i32 s21, s13
	s_add_co_i32 s20, s20, s28
	s_cvt_f32_u32 s26, s21
	s_sub_co_i32 s27, 0, s21
	s_abs_i32 s28, s20
	s_delay_alu instid0(SALU_CYCLE_1) | instskip(NEXT) | instid1(TRANS32_DEP_1)
	v_rcp_iflag_f32_e32 v1, s26
	v_readfirstlane_b32 s26, v1
	s_mul_f32 s26, s26, 0x4f7ffffe
	s_wait_alu 0xfffe
	s_delay_alu instid0(SALU_CYCLE_2) | instskip(SKIP_1) | instid1(SALU_CYCLE_2)
	s_cvt_u32_f32 s26, s26
	s_wait_alu 0xfffe
	s_mul_i32 s27, s27, s26
	s_wait_alu 0xfffe
	s_mul_hi_u32 s27, s26, s27
	s_wait_alu 0xfffe
	s_add_co_i32 s26, s26, s27
	s_xor_b32 s27, s20, s13
	s_wait_alu 0xfffe
	s_mul_hi_u32 s26, s28, s26
	s_ashr_i32 s27, s27, 31
	s_wait_alu 0xfffe
	s_mul_i32 s29, s26, s21
	s_delay_alu instid0(SALU_CYCLE_1)
	s_sub_co_i32 s28, s28, s29
	s_add_co_i32 s29, s26, 1
	s_sub_co_i32 s30, s28, s21
	s_cmp_ge_u32 s28, s21
	s_cselect_b32 s26, s29, s26
	s_cselect_b32 s28, s30, s28
	s_wait_alu 0xfffe
	s_add_co_i32 s29, s26, 1
	s_cmp_ge_u32 s28, s21
	s_cselect_b32 s21, s29, s26
	s_lshr_b32 s26, s18, 30
	s_xor_b32 s21, s21, s27
	s_wait_alu 0xfffe
	s_add_co_i32 s26, s18, s26
	s_sub_co_i32 s21, s21, s27
	s_wait_alu 0xfffe
	s_and_b32 s26, s26, -4
	s_mul_i32 s27, s21, s13
	s_wait_alu 0xfffe
	s_sub_co_i32 s18, s18, s26
	s_sub_co_i32 s20, s20, s27
	s_cmp_ge_i32 s21, s26
	s_wait_alu 0xfffe
	s_cselect_b32 s26, s18, 4
	s_ashr_i32 s28, s21, 31
	s_wait_alu 0xfffe
	s_abs_i32 s18, s26
	s_lshr_b32 s28, s28, 30
	s_wait_alu 0xfffe
	s_cvt_f32_u32 s27, s18
	s_add_co_i32 s28, s21, s28
	s_sub_co_i32 s29, 0, s18
	s_and_b32 s28, s28, -4
	s_wait_alu 0xfffe
	v_rcp_iflag_f32_e32 v1, s27
	s_sub_co_i32 s28, s21, s28
	s_delay_alu instid0(SALU_CYCLE_1) | instskip(SKIP_2) | instid1(TRANS32_DEP_1)
	s_mul_i32 s13, s28, s13
	s_wait_alu 0xfffe
	s_add_co_i32 s13, s13, s20
	v_readfirstlane_b32 s27, v1
	s_mul_f32 s27, s27, 0x4f7ffffe
	s_wait_alu 0xfffe
	s_delay_alu instid0(SALU_CYCLE_2) | instskip(SKIP_1) | instid1(SALU_CYCLE_2)
	s_cvt_u32_f32 s27, s27
	s_wait_alu 0xfffe
	s_mul_i32 s29, s29, s27
	s_delay_alu instid0(SALU_CYCLE_1)
	s_mul_hi_u32 s20, s27, s29
	s_abs_i32 s29, s13
	s_add_co_i32 s27, s27, s20
	s_wait_alu 0xfffe
	s_mul_hi_u32 s20, s29, s27
	s_xor_b32 s27, s13, s26
	s_mul_i32 s30, s20, s18
	s_wait_alu 0xfffe
	s_ashr_i32 s27, s27, 31
	s_sub_co_i32 s29, s29, s30
	s_add_co_i32 s30, s20, 1
	s_sub_co_i32 s31, s29, s18
	s_cmp_ge_u32 s29, s18
	s_cselect_b32 s20, s30, s20
	s_cselect_b32 s29, s31, s29
	s_add_co_i32 s30, s20, 1
	s_cmp_ge_u32 s29, s18
	s_cselect_b32 s18, s30, s20
	s_wait_alu 0xfffe
	s_xor_b32 s18, s18, s27
	s_wait_alu 0xfffe
	s_sub_co_i32 s18, s18, s27
	s_wait_alu 0xfffe
	s_mul_i32 s20, s18, s26
	s_delay_alu instid0(SALU_CYCLE_1)
	s_sub_co_i32 s13, s13, s20
	s_wait_alu 0xfffe
	s_add_co_i32 s13, s13, s21
	s_wait_alu 0xfffe
	s_sub_co_i32 s30, s13, s28
.LBB9_10:
	s_delay_alu instid0(SALU_CYCLE_1)
	s_mov_b32 s13, s30
	s_wait_alu 0xfffe
	s_mov_b32 s30, s18
.LBB9_11:
	s_lshl_b64 s[2:3], s[2:3], 1
	v_lshrrev_b32_e32 v20, 1, v153
	s_add_nc_u64 s[20:21], s[8:9], s[2:3]
	s_mul_i32 s8, s23, s22
	s_mov_b32 s2, s25
	s_mov_b32 s3, s0
	s_ashr_i32 s9, s8, 31
	s_mul_u64 s[22:23], s[0:1], s[2:3]
	s_mov_b32 s1, s0
	s_mov_b32 s2, s0
	s_delay_alu instid0(SALU_CYCLE_1)
	v_dual_mov_b32 v7, s3 :: v_dual_mov_b32 v6, s2
	v_dual_mov_b32 v5, s1 :: v_dual_mov_b32 v4, s0
	s_add_nc_u64 s[2:3], s[6:7], s[8:9]
	v_and_b32_e32 v11, 31, v153
	v_and_b32_e32 v12, 16, v20
	s_wait_alu 0xfffe
	s_lshl_b32 s13, s13, 5
	v_dual_mov_b32 v19, s3 :: v_dual_mov_b32 v16, s0
	v_mov_b32_e32 v18, s2
	s_wait_alu 0xfffe
	v_or_b32_e32 v1, s13, v12
	v_dual_mov_b32 v17, s1 :: v_dual_lshlrev_b32 v10, 3, v11
	v_mov_b32_e32 v17, v11
	s_clause 0x1f
	scratch_store_b128 off, v[4:7], off offset:240
	scratch_store_b128 off, v[4:7], off offset:224
	;; [unrolled: 1-line block ×15, first 2 shown]
	scratch_store_b128 off, v[4:7], off
	scratch_store_b8 off, v0, off offset:400
	scratch_store_b128 off, v[4:7], off offset:384
	scratch_store_b128 off, v[4:7], off offset:368
	;; [unrolled: 1-line block ×7, first 2 shown]
	scratch_store_b16 off, v0, off offset:256
	scratch_store_b128 off, v[4:7], off offset:272
	scratch_store_b128 off, v[4:7], off offset:416
	;; [unrolled: 1-line block ×7, first 2 shown]
	s_clause 0x1
	scratch_store_b128 off, v[4:7], off offset:512
	scratch_store_b128 off, v[4:7], off offset:528
	v_mad_co_u64_u32 v[8:9], null, v1, s19, v[10:11]
	v_mov_b32_e32 v9, v1
	v_xor_b32_e32 v3, v12, v11
	v_lshlrev_b32_e32 v2, 8, v12
	v_dual_mov_b32 v18, s0 :: v_dual_mov_b32 v19, v12
	v_dual_mov_b32 v13, v0 :: v_dual_mov_b32 v14, v12
	s_delay_alu instid0(VALU_DEP_3)
	v_lshl_or_b32 v2, v3, 3, v2
	v_mov_b32_e32 v15, v11
	s_clause 0x8
	scratch_store_b128 off, v[4:7], off offset:544
	scratch_store_b128 off, v[4:7], off offset:560
	;; [unrolled: 1-line block ×9, first 2 shown]
	v_dual_mov_b32 v18, v12 :: v_dual_mov_b32 v19, s0
	s_clause 0x14
	scratch_store_b16 off, v0, off offset:672
	scratch_store_b128 off, v[8:11], off offset:688
	scratch_store_b128 off, v[0:3], off offset:704
	;; [unrolled: 1-line block ×12, first 2 shown]
	scratch_store_b16 off, v0, off offset:912
	scratch_store_b128 off, v[4:7], off offset:928
	scratch_store_b128 off, v[4:7], off offset:944
	;; [unrolled: 1-line block ×7, first 2 shown]
	v_and_b32_e32 v11, 15, v153
	v_and_b32_e32 v12, 24, v20
	s_lshl_b32 s18, s30, 5
	v_dual_mov_b32 v19, s3 :: v_dual_and_b32 v2, 8, v20
	v_mov_b32_e32 v18, s2
	s_wait_alu 0xfffe
	v_or_b32_e32 v1, s18, v12
	v_lshlrev_b32_e32 v10, 4, v11
	s_lshl_b64 s[34:35], s[8:9], 1
	s_getpc_b64 s[6:7]
	s_sext_i32_i16 s7, s7
	s_add_co_u32 s6, s6, __const._ZN2ck28GridwiseGemm_xdl_cshuffle_v3INS_13tensor_layout4gemm8RowMajorENS2_11ColumnMajorES3_DF16_NS_9f8_fnuz_tEfDF16_DF16_NS_16tensor_operation12element_wise11PassThroughES8_S8_LNS6_6device18GemmSpecializationE0ELi64ELi32ELi32ELi256ELi8ELi16ELi16ELi16ELi2ELi1ENS_8SequenceIJLi32ELi2ELi1EEEENSB_IJLi1ELi0ELi2EEEESD_Li2ELi8ELi8ELb0ELi0ENSB_IJLi16ELi4ELi1EEEESD_SD_Li2ELi16ELi16ELb0ELi0ELi1ELi1ENSB_IJLi1ELi16ELi1ELi4EEEELi4ELNS_26BlockGemmPipelineSchedulerE1ELNS_24BlockGemmPipelineVersionE0EDF16_DF16_Lb0ELb0ELb0ELi0ELb0EE3RunIKNS_16TensorDescriptorINS_5TupleIJNS_5EmbedINSL_IJiiEEENSL_IJiNS_17integral_constantIiLi1EEEEEELb0EEENS_7UnMergeISN_Lb0EEENS_11PassThroughIiEEEEENSL_IJNSB_IJLi0EEEENSB_IJLi2EEEENSB_IJLi1EEEEEEENSL_IJNSB_IJLi1ELi2EEEENSB_IJLi3ELi4EEEENSB_IJLi5EEEEEEENSB_IJLi3ELi5ELi4EEEElEES17_KNSK_INSL_IJSR_NS_8RightPadIiiLb0EEES19_NSS_INSL_IJiNSO_IiLi32EEEEEELb0EEES1C_EEENSL_IJSX_SZ_SY_NSB_IJLi3EEEENSB_IJLi4EEEEEEENSL_IJS11_S1E_S1F_NSB_IJLi5ELi6EEEENSB_IJLi7ELi8EEEEEEENSB_IJLi5ELi6ELi7ELi8EEEElEELb1ELNS_25InMemoryDataOperationEnumE0ELNS_10TailNumberE10EEEvPKDF16_PKS5_PDF16_PvRKNSI_7ProblemERKT_RKT0_RKT1_.a_block_slice_copy_step@rel32@lo+8
	s_add_co_ci_u32 s7, s7, __const._ZN2ck28GridwiseGemm_xdl_cshuffle_v3INS_13tensor_layout4gemm8RowMajorENS2_11ColumnMajorES3_DF16_NS_9f8_fnuz_tEfDF16_DF16_NS_16tensor_operation12element_wise11PassThroughES8_S8_LNS6_6device18GemmSpecializationE0ELi64ELi32ELi32ELi256ELi8ELi16ELi16ELi16ELi2ELi1ENS_8SequenceIJLi32ELi2ELi1EEEENSB_IJLi1ELi0ELi2EEEESD_Li2ELi8ELi8ELb0ELi0ENSB_IJLi16ELi4ELi1EEEESD_SD_Li2ELi16ELi16ELb0ELi0ELi1ELi1ENSB_IJLi1ELi16ELi1ELi4EEEELi4ELNS_26BlockGemmPipelineSchedulerE1ELNS_24BlockGemmPipelineVersionE0EDF16_DF16_Lb0ELb0ELb0ELi0ELb0EE3RunIKNS_16TensorDescriptorINS_5TupleIJNS_5EmbedINSL_IJiiEEENSL_IJiNS_17integral_constantIiLi1EEEEEELb0EEENS_7UnMergeISN_Lb0EEENS_11PassThroughIiEEEEENSL_IJNSB_IJLi0EEEENSB_IJLi2EEEENSB_IJLi1EEEEEEENSL_IJNSB_IJLi1ELi2EEEENSB_IJLi3ELi4EEEENSB_IJLi5EEEEEEENSB_IJLi3ELi5ELi4EEEElEES17_KNSK_INSL_IJSR_NS_8RightPadIiiLb0EEES19_NSS_INSL_IJiNSO_IiLi32EEEEEELb0EEES1C_EEENSL_IJSX_SZ_SY_NSB_IJLi3EEEENSB_IJLi4EEEEEEENSL_IJS11_S1E_S1F_NSB_IJLi5ELi6EEEENSB_IJLi7ELi8EEEEEEENSB_IJLi5ELi6ELi7ELi8EEEElEELb1ELNS_25InMemoryDataOperationEnumE0ELNS_10TailNumberE10EEEvPKDF16_PKS5_PDF16_PvRKNSI_7ProblemERKT_RKT0_RKT1_.a_block_slice_copy_step@rel32@hi+16
	s_getpc_b64 s[8:9]
	s_sext_i32_i16 s9, s9
	s_add_co_u32 s8, s8, __const._ZN2ck28GridwiseGemm_xdl_cshuffle_v3INS_13tensor_layout4gemm8RowMajorENS2_11ColumnMajorES3_DF16_NS_9f8_fnuz_tEfDF16_DF16_NS_16tensor_operation12element_wise11PassThroughES8_S8_LNS6_6device18GemmSpecializationE0ELi64ELi32ELi32ELi256ELi8ELi16ELi16ELi16ELi2ELi1ENS_8SequenceIJLi32ELi2ELi1EEEENSB_IJLi1ELi0ELi2EEEESD_Li2ELi8ELi8ELb0ELi0ENSB_IJLi16ELi4ELi1EEEESD_SD_Li2ELi16ELi16ELb0ELi0ELi1ELi1ENSB_IJLi1ELi16ELi1ELi4EEEELi4ELNS_26BlockGemmPipelineSchedulerE1ELNS_24BlockGemmPipelineVersionE0EDF16_DF16_Lb0ELb0ELb0ELi0ELb0EE3RunIKNS_16TensorDescriptorINS_5TupleIJNS_5EmbedINSL_IJiiEEENSL_IJiNS_17integral_constantIiLi1EEEEEELb0EEENS_7UnMergeISN_Lb0EEENS_11PassThroughIiEEEEENSL_IJNSB_IJLi0EEEENSB_IJLi2EEEENSB_IJLi1EEEEEEENSL_IJNSB_IJLi1ELi2EEEENSB_IJLi3ELi4EEEENSB_IJLi5EEEEEEENSB_IJLi3ELi5ELi4EEEElEES17_KNSK_INSL_IJSR_NS_8RightPadIiiLb0EEES19_NSS_INSL_IJiNSO_IiLi32EEEEEELb0EEES1C_EEENSL_IJSX_SZ_SY_NSB_IJLi3EEEENSB_IJLi4EEEEEEENSL_IJS11_S1E_S1F_NSB_IJLi5ELi6EEEENSB_IJLi7ELi8EEEEEEENSB_IJLi5ELi6ELi7ELi8EEEElEELb1ELNS_25InMemoryDataOperationEnumE0ELNS_10TailNumberE10EEEvPKDF16_PKS5_PDF16_PvRKNSI_7ProblemERKT_RKT0_RKT1_.b_block_slice_copy_step@rel32@lo+8
	s_add_co_ci_u32 s9, s9, __const._ZN2ck28GridwiseGemm_xdl_cshuffle_v3INS_13tensor_layout4gemm8RowMajorENS2_11ColumnMajorES3_DF16_NS_9f8_fnuz_tEfDF16_DF16_NS_16tensor_operation12element_wise11PassThroughES8_S8_LNS6_6device18GemmSpecializationE0ELi64ELi32ELi32ELi256ELi8ELi16ELi16ELi16ELi2ELi1ENS_8SequenceIJLi32ELi2ELi1EEEENSB_IJLi1ELi0ELi2EEEESD_Li2ELi8ELi8ELb0ELi0ENSB_IJLi16ELi4ELi1EEEESD_SD_Li2ELi16ELi16ELb0ELi0ELi1ELi1ENSB_IJLi1ELi16ELi1ELi4EEEELi4ELNS_26BlockGemmPipelineSchedulerE1ELNS_24BlockGemmPipelineVersionE0EDF16_DF16_Lb0ELb0ELb0ELi0ELb0EE3RunIKNS_16TensorDescriptorINS_5TupleIJNS_5EmbedINSL_IJiiEEENSL_IJiNS_17integral_constantIiLi1EEEEEELb0EEENS_7UnMergeISN_Lb0EEENS_11PassThroughIiEEEEENSL_IJNSB_IJLi0EEEENSB_IJLi2EEEENSB_IJLi1EEEEEEENSL_IJNSB_IJLi1ELi2EEEENSB_IJLi3ELi4EEEENSB_IJLi5EEEEEEENSB_IJLi3ELi5ELi4EEEElEES17_KNSK_INSL_IJSR_NS_8RightPadIiiLb0EEES19_NSS_INSL_IJiNSO_IiLi32EEEEEELb0EEES1C_EEENSL_IJSX_SZ_SY_NSB_IJLi3EEEENSB_IJLi4EEEEEEENSL_IJS11_S1E_S1F_NSB_IJLi5ELi6EEEENSB_IJLi7ELi8EEEEEEENSB_IJLi5ELi6ELi7ELi8EEEElEELb1ELNS_25InMemoryDataOperationEnumE0ELNS_10TailNumberE10EEEvPKDF16_PKS5_PDF16_PvRKNSI_7ProblemERKT_RKT0_RKT1_.b_block_slice_copy_step@rel32@hi+16
	s_clause 0x3
	scratch_store_b128 off, v[4:7], off offset:1040
	scratch_store_b8 off, v0, off offset:1056
	scratch_store_b128 off, v[4:7], off offset:1184
	scratch_store_b128 off, v[4:7], off offset:1168
	v_mad_co_u64_u32 v[8:9], null, v1, s24, v[10:11]
	v_mov_b32_e32 v9, v1
	s_clause 0x7
	scratch_store_b128 off, v[4:7], off offset:1152
	scratch_store_b128 off, v[4:7], off offset:1136
	;; [unrolled: 1-line block ×6, first 2 shown]
	scratch_store_b16 off, v0, off offset:1200
	scratch_store_b128 off, v[8:11], off offset:1216
	s_load_b64 s[6:7], s[6:7], 0x0
	s_load_b64 s[8:9], s[8:9], 0x0
	v_xor_b32_e32 v3, v2, v11
	v_dual_mov_b32 v17, s1 :: v_dual_lshlrev_b32 v2, 8, v12
	v_dual_mov_b32 v16, s0 :: v_dual_mov_b32 v17, v11
	v_dual_mov_b32 v18, s0 :: v_dual_mov_b32 v19, v12
	s_delay_alu instid0(VALU_DEP_3)
	v_lshl_or_b32 v2, v3, 4, v2
	s_mov_b64 s[28:29], src_shared_base
	v_lshlrev_b32_e32 v154, 3, v153
	v_dual_mov_b32 v14, v12 :: v_dual_mov_b32 v15, v11
	s_clause 0x1
	scratch_store_b128 off, v[0:3], off offset:1232
	scratch_store_b128 off, v[16:19], off offset:1264
	v_dual_mov_b32 v18, v12 :: v_dual_mov_b32 v1, s29
	v_dual_mov_b32 v19, s0 :: v_dual_mov_b32 v2, 0x4000
	v_dual_mov_b32 v3, s29 :: v_dual_and_b32 v8, 0x80, v154
	s_clause 0x5
	scratch_store_b128 off, v[12:15], off offset:1248
	scratch_store_b128 off, v[16:19], off offset:1280
	scratch_store_b64 off, v[0:1], off offset:1312
	scratch_store_b16 off, v0, off offset:1322
	scratch_store_b64 off, v[2:3], off offset:1328
	scratch_store_b8 off, v0, off offset:1337
	s_wait_kmcnt 0x0
	v_dual_mov_b32 v1, s6 :: v_dual_mov_b32 v2, s7
	v_dual_mov_b32 v10, s9 :: v_dual_lshlrev_b32 v3, 8, v11
	v_lshrrev_b32_e32 v13, 3, v8
	v_mov_b32_e32 v9, s8
	s_clause 0x7
	scratch_store_b32 off, v0, off offset:1352
	scratch_store_b64 off, v[1:2], off offset:1344
	scratch_store_b32 off, v0, off offset:1364
	scratch_store_b64 off, v[9:10], off offset:1356
	scratch_store_b128 off, v[4:7], off offset:1424
	scratch_store_b128 off, v[4:7], off offset:1408
	;; [unrolled: 1-line block ×4, first 2 shown]
	v_lshrrev_b32_e32 v7, 4, v8
	v_dual_mov_b32 v12, v11 :: v_dual_mov_b32 v15, v13
	v_lshrrev_b32_e32 v10, 5, v153
	v_dual_mov_b32 v14, s0 :: v_dual_mov_b32 v1, v11
	s_delay_alu instid0(VALU_DEP_4) | instskip(NEXT) | instid1(VALU_DEP_4)
	v_xor_b32_e32 v27, v7, v11
	v_mov_b32_e32 v23, v15
	v_dual_mov_b32 v31, s3 :: v_dual_mov_b32 v24, v0
	v_dual_mov_b32 v23, s0 :: v_dual_mov_b32 v30, s2
	v_lshl_or_b32 v4, v10, 4, v11
	v_mov_b32_e32 v29, s1
	v_dual_mov_b32 v28, s0 :: v_dual_lshlrev_b32 v5, 4, v27
	v_mov_b32_e32 v29, v7
	v_or_b32_e32 v17, v11, v13
	v_mov_b32_e32 v35, v31
	v_dual_mov_b32 v21, v13 :: v_dual_mov_b32 v20, v12
	v_dual_mov_b32 v25, v11 :: v_dual_mov_b32 v34, v30
	v_mov_b32_e32 v21, s0
	v_lshl_or_b32 v26, v4, 8, v5
	v_dual_mov_b32 v34, s0 :: v_dual_mov_b32 v5, v0
	v_dual_mov_b32 v32, v28 :: v_dual_mov_b32 v33, v29
	v_mov_b32_e32 v31, s0
	s_ashr_i32 s0, s12, 31
	v_mov_b32_e32 v22, v14
	s_wait_alu 0xfffe
	s_lshr_b32 s0, s0, 27
	v_lshl_or_b32 v16, v17, 3, v3
	v_dual_mov_b32 v18, v11 :: v_dual_mov_b32 v19, v0
	v_mov_b32_e32 v22, v8
	v_mov_b32_e32 v6, v4
	;; [unrolled: 1-line block ×3, first 2 shown]
	s_add_nc_u64 s[4:5], s[4:5], s[34:35]
	v_mov_b32_e32 v35, v4
	v_mov_b32_e32 v9, v0
	s_wait_alu 0xfffe
	s_add_co_i32 s0, s12, s0
	v_dual_mov_b32 v2, v0 :: v_dual_mov_b32 v3, v13
	s_mov_b64 s[26:27], src_private_base
	s_wait_alu 0xfffe
	s_ashr_i32 s6, s0, 5
	s_clause 0xd
	scratch_store_b128 off, v[16:19], off offset:1440
	scratch_store_b128 off, v[12:15], off offset:1456
	;; [unrolled: 1-line block ×14, first 2 shown]
	v_dual_mov_b32 v0, 0x560 :: v_dual_mov_b32 v1, s27
	v_mov_b32_e32 v2, 0x700
	s_clause 0x1
	scratch_store_b128 off, v[4:7], off offset:1664
	scratch_store_b128 off, v[32:35], off offset:1680
	v_dual_mov_b32 v3, s27 :: v_dual_mov_b32 v4, 0
	v_dual_mov_b32 v5, s27 :: v_dual_mov_b32 v12, 0x540
	v_mov_b32_e32 v6, s4
	s_clause 0x1
	scratch_store_b128 off, v[28:31], off offset:1696
	scratch_store_b128 off, v[8:11], off offset:1712
	v_dual_mov_b32 v7, s5 :: v_dual_mov_b32 v14, 0x730
	v_dual_mov_b32 v8, s10 :: v_dual_mov_b32 v9, s11
	v_mov_b32_e32 v16, 0x310
	v_dual_mov_b32 v10, 0x520 :: v_dual_mov_b32 v11, s27
	v_dual_mov_b32 v18, s2 :: v_dual_mov_b32 v13, s27
	;; [unrolled: 1-line block ×6, first 2 shown]
	s_wait_alu 0xfffe
	v_dual_mov_b32 v28, s6 :: v_dual_mov_b32 v23, s27
	v_mov_b32_e32 v25, s27
	v_mov_b32_e32 v27, s27
	s_getpc_b64 s[0:1]
	s_wait_alu 0xfffe
	s_sext_i32_i16 s1, s1
	s_add_co_u32 s0, s0, _ZNK2ck31BlockwiseGemmXdlops_pipeline_v1ILNS_26BlockGemmPipelineSchedulerE1ELi64EDF16_NS_9f8_fnuz_tEDF16_fNS_16TensorDescriptorINS_5TupleIJNS_5EmbedINS4_IJNS_17integral_constantIiLi32EEES7_NS6_IiLi8EEEEEENS4_IJS8_NS6_IiLi256EEENS6_IiLi1EEEEEELb0EEENS_3XorINS4_IJS7_S7_EEELb1EEENS_11PassThroughIS8_EENS_7UnMergeINS4_IJS7_SB_EEELb0EEENSH_IS7_EESI_SM_NS_21Merge_v3_division_modISK_EESI_EEENS4_IJNS_8SequenceIJLi0EEEENSQ_IJLi2ELi1EEEENSQ_IJLi3EEEENSQ_IJLi5EEEENSQ_IJLi4EEEENSQ_IJLi6EEEENSQ_IJLi7EEEENSQ_IJLi9ELi8EEEENSQ_IJLi10EEEEEEENS4_IJNSQ_IJLi1ELi2ELi3EEEENSQ_IJLi4ELi5EEEESW_NSQ_IJLi7ELi8EEEENSQ_IJLi9EEEESZ_NSQ_IJLi11EEEENSQ_IJLi12EEEENSQ_IJLi13EEEEEEENSQ_IJLi11ELi12ELi13EEEENS6_IlLl8192EEEEENS3_INS4_IJNS5_INS4_IJNS6_IiLi16EEES7_S1C_EEENS4_IJS1C_SA_SB_EEELb0EEENSE_INS4_IJS7_S1C_EEELb1EEENSH_IS1C_EENSJ_INS4_IJS1C_SB_EEELb0EEESM_S1I_S1I_SO_S1I_EEES10_S18_S19_S1A_EENS3_INS4_IJSD_SG_SI_SL_SM_SI_SM_SO_SI_NSN_INS4_IJS7_S8_EEEEENSJ_INS4_IJNS6_IiLi2EEESB_S1C_EEELb0EEEEEENS4_IJSR_SS_ST_SU_SV_SW_SX_SY_SZ_NSQ_IJLi11ELi13EEEES16_EEENS4_IJS11_S12_SW_S13_S14_SZ_S15_S16_S17_NSQ_IJLi14EEEENSQ_IJLi15ELi16ELi17EEEEEEENSQ_IJLi15ELi16ELi17ELi14EEEES1A_EENS3_INS4_IJS1F_S1H_S1I_S1K_SM_S1I_S1I_SO_S1I_NSN_INS4_IJS1C_S1C_EEEEENSJ_INS4_IJSB_S1P_S1C_EEELb0EEEEEES1U_S1X_S1Y_S1A_EELi8ELi16ELi32ELi32ELi256ELi16ELi16ELi2ELi1ELi16ELb1EE3RunILb1ELNS_10TailNumberE10ENS3_INS4_IJNS5_INS4_IJiiEEENS4_IJiSB_EEELb0EEENSJ_IS29_Lb0EEENSH_IiEEEEENS4_IJSR_NSQ_IJLi2EEEENSQ_IJLi1EEEEEEENS4_IJNSQ_IJLi1ELi2EEEENSQ_IJLi3ELi4EEEESU_EEENSQ_IJLi3ELi5ELi4EEEElEES1B_NS_35ThreadGroupTensorSliceTransfer_v4r1INS_15ThisThreadBlockILi64EEENS_16tensor_operation12element_wise11PassThroughES2S_LNS_25InMemoryDataOperationEnumE0ENSQ_IJLi32ELi32ELi8EEEENSQ_IJLi32ELi2ELi1EEEENSQ_IJLi1ELi0ELi2EEEEDF16_DF16_RKS2M_KS1B_S2W_NSQ_IJLi0ELi1ELi2EEEELi2ELi2ELi8ELi8ELi1ELi1ELb0ELb1ELi1EiEENS_13DynamicBufferILNS_16AddressSpaceEnumE1EKDF16_lLb1ELNS_22AmdBufferCoherenceEnumE0EiEENS32_ILS33_2EDF16_S1A_Lb1ELS35_0EiEENS4_IJiiiEEES2M_S1M_NS2N_IS2P_S2S_S2S_LS2T_0ENSQ_IJLi16ELi32ELi16EEEENSQ_IJLi16ELi4ELi1EEEES2W_S2_S2_S2Y_KS1M_S2W_S30_Li2ELi2ELi16ELi16ELi1ELi1ELb0ELb1ELi1EiEENS32_ILS33_1EKS2_lLb1ELS35_0EiEENS32_ILS33_2ES2_S1A_Lb1ELS35_0EiEES38_NS_25StaticBufferTupleOfVectorILS33_4EfLi2ELi8ELb1ELb0EEEEEvRKT1_RKT2_RT3_RKT4_RT5_RKT6_RKT7_RKT8_RT9_RKT10_RT11_RKT12_RT13_i@rel32@lo+12
	s_wait_alu 0xfffe
	s_add_co_ci_u32 s1, s1, _ZNK2ck31BlockwiseGemmXdlops_pipeline_v1ILNS_26BlockGemmPipelineSchedulerE1ELi64EDF16_NS_9f8_fnuz_tEDF16_fNS_16TensorDescriptorINS_5TupleIJNS_5EmbedINS4_IJNS_17integral_constantIiLi32EEES7_NS6_IiLi8EEEEEENS4_IJS8_NS6_IiLi256EEENS6_IiLi1EEEEEELb0EEENS_3XorINS4_IJS7_S7_EEELb1EEENS_11PassThroughIS8_EENS_7UnMergeINS4_IJS7_SB_EEELb0EEENSH_IS7_EESI_SM_NS_21Merge_v3_division_modISK_EESI_EEENS4_IJNS_8SequenceIJLi0EEEENSQ_IJLi2ELi1EEEENSQ_IJLi3EEEENSQ_IJLi5EEEENSQ_IJLi4EEEENSQ_IJLi6EEEENSQ_IJLi7EEEENSQ_IJLi9ELi8EEEENSQ_IJLi10EEEEEEENS4_IJNSQ_IJLi1ELi2ELi3EEEENSQ_IJLi4ELi5EEEESW_NSQ_IJLi7ELi8EEEENSQ_IJLi9EEEESZ_NSQ_IJLi11EEEENSQ_IJLi12EEEENSQ_IJLi13EEEEEEENSQ_IJLi11ELi12ELi13EEEENS6_IlLl8192EEEEENS3_INS4_IJNS5_INS4_IJNS6_IiLi16EEES7_S1C_EEENS4_IJS1C_SA_SB_EEELb0EEENSE_INS4_IJS7_S1C_EEELb1EEENSH_IS1C_EENSJ_INS4_IJS1C_SB_EEELb0EEESM_S1I_S1I_SO_S1I_EEES10_S18_S19_S1A_EENS3_INS4_IJSD_SG_SI_SL_SM_SI_SM_SO_SI_NSN_INS4_IJS7_S8_EEEEENSJ_INS4_IJNS6_IiLi2EEESB_S1C_EEELb0EEEEEENS4_IJSR_SS_ST_SU_SV_SW_SX_SY_SZ_NSQ_IJLi11ELi13EEEES16_EEENS4_IJS11_S12_SW_S13_S14_SZ_S15_S16_S17_NSQ_IJLi14EEEENSQ_IJLi15ELi16ELi17EEEEEEENSQ_IJLi15ELi16ELi17ELi14EEEES1A_EENS3_INS4_IJS1F_S1H_S1I_S1K_SM_S1I_S1I_SO_S1I_NSN_INS4_IJS1C_S1C_EEEEENSJ_INS4_IJSB_S1P_S1C_EEELb0EEEEEES1U_S1X_S1Y_S1A_EELi8ELi16ELi32ELi32ELi256ELi16ELi16ELi2ELi1ELi16ELb1EE3RunILb1ELNS_10TailNumberE10ENS3_INS4_IJNS5_INS4_IJiiEEENS4_IJiSB_EEELb0EEENSJ_IS29_Lb0EEENSH_IiEEEEENS4_IJSR_NSQ_IJLi2EEEENSQ_IJLi1EEEEEEENS4_IJNSQ_IJLi1ELi2EEEENSQ_IJLi3ELi4EEEESU_EEENSQ_IJLi3ELi5ELi4EEEElEES1B_NS_35ThreadGroupTensorSliceTransfer_v4r1INS_15ThisThreadBlockILi64EEENS_16tensor_operation12element_wise11PassThroughES2S_LNS_25InMemoryDataOperationEnumE0ENSQ_IJLi32ELi32ELi8EEEENSQ_IJLi32ELi2ELi1EEEENSQ_IJLi1ELi0ELi2EEEEDF16_DF16_RKS2M_KS1B_S2W_NSQ_IJLi0ELi1ELi2EEEELi2ELi2ELi8ELi8ELi1ELi1ELb0ELb1ELi1EiEENS_13DynamicBufferILNS_16AddressSpaceEnumE1EKDF16_lLb1ELNS_22AmdBufferCoherenceEnumE0EiEENS32_ILS33_2EDF16_S1A_Lb1ELS35_0EiEENS4_IJiiiEEES2M_S1M_NS2N_IS2P_S2S_S2S_LS2T_0ENSQ_IJLi16ELi32ELi16EEEENSQ_IJLi16ELi4ELi1EEEES2W_S2_S2_S2Y_KS1M_S2W_S30_Li2ELi2ELi16ELi16ELi1ELi1ELb0ELb1ELi1EiEENS32_ILS33_1EKS2_lLb1ELS35_0EiEENS32_ILS33_2ES2_S1A_Lb1ELS35_0EiEES38_NS_25StaticBufferTupleOfVectorILS33_4EfLi2ELi8ELb1ELb0EEEEEvRKT1_RKT2_RT3_RKT4_RT5_RKT6_RKT7_RKT8_RT9_RKT10_RT11_RKT12_RT13_i@rel32@hi+24
	s_wait_alu 0xfffe
	s_swappc_b64 s[30:31], s[0:1]
	s_wait_dscnt 0x0
	s_barrier_signal -1
	s_barrier_wait -1
	s_clause 0x1
	scratch_load_b128 v[0:3], off, off offset:1728
	scratch_load_b128 v[4:7], off, off offset:1744
	v_and_b32_e32 v8, 24, v154
	v_lshrrev_b32_e32 v9, 2, v153
	v_lshl_or_b32 v10, v153, 6, v153
	s_and_b32 s21, s21, 0xffff
	s_delay_alu instid0(VALU_DEP_3) | instskip(SKIP_1) | instid1(VALU_DEP_3)
	v_or_b32_e32 v11, s18, v8
	v_lshlrev_b32_e32 v8, 1, v8
	v_and_b32_e32 v10, 0x3f0, v10
	v_or_b32_e32 v12, s13, v9
	s_delay_alu instid0(VALU_DEP_4) | instskip(NEXT) | instid1(VALU_DEP_4)
	v_cmp_gt_i32_e32 vcc_lo, s17, v11
	v_lshl_or_b32 v8, v9, 6, v8
	s_delay_alu instid0(VALU_DEP_3)
	v_cmp_gt_i32_e64 s0, s16, v12
	s_and_b32 s2, s0, vcc_lo
	s_wait_loadcnt 0x1
	v_cvt_f16_f32_e32 v0, v0
	v_cvt_f16_f32_e32 v13, v2
	s_wait_loadcnt 0x0
	v_cvt_f16_f32_e32 v2, v4
	v_cvt_f16_f32_e32 v4, v6
	v_cvt_f16_f32_e32 v6, v7
	v_cvt_f16_f32_e32 v5, v5
	v_cvt_f16_f32_e32 v7, v3
	v_cvt_f16_f32_e32 v14, v1
	s_delay_alu instid0(VALU_DEP_4) | instskip(NEXT) | instid1(VALU_DEP_4)
	v_pack_b32_f16 v3, v4, v6
	v_pack_b32_f16 v2, v2, v5
	s_delay_alu instid0(VALU_DEP_4) | instskip(NEXT) | instid1(VALU_DEP_4)
	v_pack_b32_f16 v1, v13, v7
	v_pack_b32_f16 v0, v0, v14
	v_or_b32_e32 v5, 4, v11
	v_mul_lo_u32 v4, v12, s25
	ds_store_b128 v10, v[0:3]
	s_wait_dscnt 0x0
	s_barrier_signal -1
	s_barrier_wait -1
	ds_load_b128 v[0:3], v8
	v_cmp_gt_i32_e64 s1, s17, v5
	s_wait_alu 0xfffe
	v_cndmask_b32_e64 v5, 0x80000000, 0, s2
	v_add_lshl_u32 v9, v4, v11, 1
	s_and_b32 s0, s0, s1
	s_wait_alu 0xfffe
	v_cndmask_b32_e64 v4, 0x80000000, 0, s0
	s_delay_alu instid0(VALU_DEP_2)
	v_add_nc_u32_e32 v5, v5, v9
	s_add_co_i32 s0, s17, s23
	s_mov_b32 s23, 0x31004000
	s_wait_alu 0xfffe
	s_lshl_b32 s22, s0, 1
	v_add_nc_u32_e32 v4, v9, v4
	s_wait_dscnt 0x0
	s_clause 0x1
	buffer_store_b64 v[0:1], v5, s[20:23], null offen
	buffer_store_b64 v[2:3], v4, s[20:23], null offen offset:8
	s_wait_dscnt 0x0
	s_barrier_signal -1
	s_barrier_wait -1
	s_clause 0x1
	scratch_load_b128 v[0:3], off, off offset:1760
	scratch_load_b128 v[4:7], off, off offset:1776
	s_wait_loadcnt 0x1
	v_cvt_f16_f32_e32 v0, v0
	v_cvt_f16_f32_e32 v11, v2
	s_wait_loadcnt 0x0
	v_cvt_f16_f32_e32 v2, v4
	v_cvt_f16_f32_e32 v4, v6
	;; [unrolled: 1-line block ×6, first 2 shown]
	s_delay_alu instid0(VALU_DEP_4) | instskip(NEXT) | instid1(VALU_DEP_4)
	v_pack_b32_f16 v3, v4, v6
	v_pack_b32_f16 v2, v2, v5
	s_delay_alu instid0(VALU_DEP_4) | instskip(NEXT) | instid1(VALU_DEP_4)
	v_pack_b32_f16 v1, v11, v7
	v_pack_b32_f16 v0, v0, v13
	v_or_b32_e32 v4, 16, v12
	v_lshl_add_u32 v5, s25, 5, v9
	ds_store_b128 v10, v[0:3]
	s_wait_dscnt 0x0
	s_barrier_signal -1
	s_barrier_wait -1
	ds_load_b128 v[0:3], v8
	v_cmp_gt_i32_e64 s0, s16, v4
	s_and_b32 s2, vcc_lo, s0
	s_and_b32 s0, s0, s1
	s_wait_alu 0xfffe
	v_cndmask_b32_e64 v4, 0x80000000, 0, s2
	v_cndmask_b32_e64 v6, 0x80000000, 0, s0
	s_delay_alu instid0(VALU_DEP_2) | instskip(NEXT) | instid1(VALU_DEP_2)
	v_add_nc_u32_e32 v4, v4, v5
	v_add_nc_u32_e32 v5, v5, v6
	s_wait_dscnt 0x0
	s_clause 0x1
	buffer_store_b64 v[0:1], v4, s[20:23], null offen
	buffer_store_b64 v[2:3], v5, s[20:23], null offen offset:8
	s_endpgm
	.section	.rodata,"a",@progbits
	.p2align	6, 0x0
	.amdhsa_kernel _ZN2ck27kernel_gemm_xdl_cshuffle_v3INS_28GridwiseGemm_xdl_cshuffle_v3INS_13tensor_layout4gemm8RowMajorENS3_11ColumnMajorES4_DF16_NS_9f8_fnuz_tEfDF16_DF16_NS_16tensor_operation12element_wise11PassThroughES9_S9_LNS7_6device18GemmSpecializationE0ELi64ELi32ELi32ELi256ELi8ELi16ELi16ELi16ELi2ELi1ENS_8SequenceIJLi32ELi2ELi1EEEENSC_IJLi1ELi0ELi2EEEESE_Li2ELi8ELi8ELb0ELi0ENSC_IJLi16ELi4ELi1EEEESE_SE_Li2ELi16ELi16ELb0ELi0ELi1ELi1ENSC_IJLi1ELi16ELi1ELi4EEEELi4ELNS_26BlockGemmPipelineSchedulerE1ELNS_24BlockGemmPipelineVersionE0EDF16_DF16_Lb0ELb0ELb0ELi0ELb0EEELb1ELNS_25InMemoryDataOperationEnumE0ELi2ELNS_10TailNumberE10EEEvNT_8ArgumentE
		.amdhsa_group_segment_fixed_size 24576
		.amdhsa_private_segment_fixed_size 2192
		.amdhsa_kernarg_size 112
		.amdhsa_user_sgpr_count 2
		.amdhsa_user_sgpr_dispatch_ptr 0
		.amdhsa_user_sgpr_queue_ptr 0
		.amdhsa_user_sgpr_kernarg_segment_ptr 1
		.amdhsa_user_sgpr_dispatch_id 0
		.amdhsa_user_sgpr_private_segment_size 0
		.amdhsa_wavefront_size32 1
		.amdhsa_uses_dynamic_stack 0
		.amdhsa_enable_private_segment 1
		.amdhsa_system_sgpr_workgroup_id_x 1
		.amdhsa_system_sgpr_workgroup_id_y 0
		.amdhsa_system_sgpr_workgroup_id_z 1
		.amdhsa_system_sgpr_workgroup_info 0
		.amdhsa_system_vgpr_workitem_id 0
		.amdhsa_next_free_vgpr 248
		.amdhsa_next_free_sgpr 36
		.amdhsa_reserve_vcc 1
		.amdhsa_float_round_mode_32 0
		.amdhsa_float_round_mode_16_64 0
		.amdhsa_float_denorm_mode_32 3
		.amdhsa_float_denorm_mode_16_64 3
		.amdhsa_fp16_overflow 0
		.amdhsa_workgroup_processor_mode 1
		.amdhsa_memory_ordered 1
		.amdhsa_forward_progress 1
		.amdhsa_inst_pref_size 31
		.amdhsa_round_robin_scheduling 0
		.amdhsa_exception_fp_ieee_invalid_op 0
		.amdhsa_exception_fp_denorm_src 0
		.amdhsa_exception_fp_ieee_div_zero 0
		.amdhsa_exception_fp_ieee_overflow 0
		.amdhsa_exception_fp_ieee_underflow 0
		.amdhsa_exception_fp_ieee_inexact 0
		.amdhsa_exception_int_div_zero 0
	.end_amdhsa_kernel
	.section	.text._ZN2ck27kernel_gemm_xdl_cshuffle_v3INS_28GridwiseGemm_xdl_cshuffle_v3INS_13tensor_layout4gemm8RowMajorENS3_11ColumnMajorES4_DF16_NS_9f8_fnuz_tEfDF16_DF16_NS_16tensor_operation12element_wise11PassThroughES9_S9_LNS7_6device18GemmSpecializationE0ELi64ELi32ELi32ELi256ELi8ELi16ELi16ELi16ELi2ELi1ENS_8SequenceIJLi32ELi2ELi1EEEENSC_IJLi1ELi0ELi2EEEESE_Li2ELi8ELi8ELb0ELi0ENSC_IJLi16ELi4ELi1EEEESE_SE_Li2ELi16ELi16ELb0ELi0ELi1ELi1ENSC_IJLi1ELi16ELi1ELi4EEEELi4ELNS_26BlockGemmPipelineSchedulerE1ELNS_24BlockGemmPipelineVersionE0EDF16_DF16_Lb0ELb0ELb0ELi0ELb0EEELb1ELNS_25InMemoryDataOperationEnumE0ELi2ELNS_10TailNumberE10EEEvNT_8ArgumentE,"axG",@progbits,_ZN2ck27kernel_gemm_xdl_cshuffle_v3INS_28GridwiseGemm_xdl_cshuffle_v3INS_13tensor_layout4gemm8RowMajorENS3_11ColumnMajorES4_DF16_NS_9f8_fnuz_tEfDF16_DF16_NS_16tensor_operation12element_wise11PassThroughES9_S9_LNS7_6device18GemmSpecializationE0ELi64ELi32ELi32ELi256ELi8ELi16ELi16ELi16ELi2ELi1ENS_8SequenceIJLi32ELi2ELi1EEEENSC_IJLi1ELi0ELi2EEEESE_Li2ELi8ELi8ELb0ELi0ENSC_IJLi16ELi4ELi1EEEESE_SE_Li2ELi16ELi16ELb0ELi0ELi1ELi1ENSC_IJLi1ELi16ELi1ELi4EEEELi4ELNS_26BlockGemmPipelineSchedulerE1ELNS_24BlockGemmPipelineVersionE0EDF16_DF16_Lb0ELb0ELb0ELi0ELb0EEELb1ELNS_25InMemoryDataOperationEnumE0ELi2ELNS_10TailNumberE10EEEvNT_8ArgumentE,comdat
.Lfunc_end9:
	.size	_ZN2ck27kernel_gemm_xdl_cshuffle_v3INS_28GridwiseGemm_xdl_cshuffle_v3INS_13tensor_layout4gemm8RowMajorENS3_11ColumnMajorES4_DF16_NS_9f8_fnuz_tEfDF16_DF16_NS_16tensor_operation12element_wise11PassThroughES9_S9_LNS7_6device18GemmSpecializationE0ELi64ELi32ELi32ELi256ELi8ELi16ELi16ELi16ELi2ELi1ENS_8SequenceIJLi32ELi2ELi1EEEENSC_IJLi1ELi0ELi2EEEESE_Li2ELi8ELi8ELb0ELi0ENSC_IJLi16ELi4ELi1EEEESE_SE_Li2ELi16ELi16ELb0ELi0ELi1ELi1ENSC_IJLi1ELi16ELi1ELi4EEEELi4ELNS_26BlockGemmPipelineSchedulerE1ELNS_24BlockGemmPipelineVersionE0EDF16_DF16_Lb0ELb0ELb0ELi0ELb0EEELb1ELNS_25InMemoryDataOperationEnumE0ELi2ELNS_10TailNumberE10EEEvNT_8ArgumentE, .Lfunc_end9-_ZN2ck27kernel_gemm_xdl_cshuffle_v3INS_28GridwiseGemm_xdl_cshuffle_v3INS_13tensor_layout4gemm8RowMajorENS3_11ColumnMajorES4_DF16_NS_9f8_fnuz_tEfDF16_DF16_NS_16tensor_operation12element_wise11PassThroughES9_S9_LNS7_6device18GemmSpecializationE0ELi64ELi32ELi32ELi256ELi8ELi16ELi16ELi16ELi2ELi1ENS_8SequenceIJLi32ELi2ELi1EEEENSC_IJLi1ELi0ELi2EEEESE_Li2ELi8ELi8ELb0ELi0ENSC_IJLi16ELi4ELi1EEEESE_SE_Li2ELi16ELi16ELb0ELi0ELi1ELi1ENSC_IJLi1ELi16ELi1ELi4EEEELi4ELNS_26BlockGemmPipelineSchedulerE1ELNS_24BlockGemmPipelineVersionE0EDF16_DF16_Lb0ELb0ELb0ELi0ELb0EEELb1ELNS_25InMemoryDataOperationEnumE0ELi2ELNS_10TailNumberE10EEEvNT_8ArgumentE
                                        ; -- End function
	.set _ZN2ck27kernel_gemm_xdl_cshuffle_v3INS_28GridwiseGemm_xdl_cshuffle_v3INS_13tensor_layout4gemm8RowMajorENS3_11ColumnMajorES4_DF16_NS_9f8_fnuz_tEfDF16_DF16_NS_16tensor_operation12element_wise11PassThroughES9_S9_LNS7_6device18GemmSpecializationE0ELi64ELi32ELi32ELi256ELi8ELi16ELi16ELi16ELi2ELi1ENS_8SequenceIJLi32ELi2ELi1EEEENSC_IJLi1ELi0ELi2EEEESE_Li2ELi8ELi8ELb0ELi0ENSC_IJLi16ELi4ELi1EEEESE_SE_Li2ELi16ELi16ELb0ELi0ELi1ELi1ENSC_IJLi1ELi16ELi1ELi4EEEELi4ELNS_26BlockGemmPipelineSchedulerE1ELNS_24BlockGemmPipelineVersionE0EDF16_DF16_Lb0ELb0ELb0ELi0ELb0EEELb1ELNS_25InMemoryDataOperationEnumE0ELi2ELNS_10TailNumberE10EEEvNT_8ArgumentE.num_vgpr, max(155, .L_ZNK2ck31BlockwiseGemmXdlops_pipeline_v1ILNS_26BlockGemmPipelineSchedulerE1ELi64EDF16_NS_9f8_fnuz_tEDF16_fNS_16TensorDescriptorINS_5TupleIJNS_5EmbedINS4_IJNS_17integral_constantIiLi32EEES7_NS6_IiLi8EEEEEENS4_IJS8_NS6_IiLi256EEENS6_IiLi1EEEEEELb0EEENS_3XorINS4_IJS7_S7_EEELb1EEENS_11PassThroughIS8_EENS_7UnMergeINS4_IJS7_SB_EEELb0EEENSH_IS7_EESI_SM_NS_21Merge_v3_division_modISK_EESI_EEENS4_IJNS_8SequenceIJLi0EEEENSQ_IJLi2ELi1EEEENSQ_IJLi3EEEENSQ_IJLi5EEEENSQ_IJLi4EEEENSQ_IJLi6EEEENSQ_IJLi7EEEENSQ_IJLi9ELi8EEEENSQ_IJLi10EEEEEEENS4_IJNSQ_IJLi1ELi2ELi3EEEENSQ_IJLi4ELi5EEEESW_NSQ_IJLi7ELi8EEEENSQ_IJLi9EEEESZ_NSQ_IJLi11EEEENSQ_IJLi12EEEENSQ_IJLi13EEEEEEENSQ_IJLi11ELi12ELi13EEEENS6_IlLl8192EEEEENS3_INS4_IJNS5_INS4_IJNS6_IiLi16EEES7_S1C_EEENS4_IJS1C_SA_SB_EEELb0EEENSE_INS4_IJS7_S1C_EEELb1EEENSH_IS1C_EENSJ_INS4_IJS1C_SB_EEELb0EEESM_S1I_S1I_SO_S1I_EEES10_S18_S19_S1A_EENS3_INS4_IJSD_SG_SI_SL_SM_SI_SM_SO_SI_NSN_INS4_IJS7_S8_EEEEENSJ_INS4_IJNS6_IiLi2EEESB_S1C_EEELb0EEEEEENS4_IJSR_SS_ST_SU_SV_SW_SX_SY_SZ_NSQ_IJLi11ELi13EEEES16_EEENS4_IJS11_S12_SW_S13_S14_SZ_S15_S16_S17_NSQ_IJLi14EEEENSQ_IJLi15ELi16ELi17EEEEEEENSQ_IJLi15ELi16ELi17ELi14EEEES1A_EENS3_INS4_IJS1F_S1H_S1I_S1K_SM_S1I_S1I_SO_S1I_NSN_INS4_IJS1C_S1C_EEEEENSJ_INS4_IJSB_S1P_S1C_EEELb0EEEEEES1U_S1X_S1Y_S1A_EELi8ELi16ELi32ELi32ELi256ELi16ELi16ELi2ELi1ELi16ELb1EE3RunILb1ELNS_10TailNumberE10ENS3_INS4_IJNS5_INS4_IJiiEEENS4_IJiSB_EEELb0EEENSJ_IS29_Lb0EEENSH_IiEEEEENS4_IJSR_NSQ_IJLi2EEEENSQ_IJLi1EEEEEEENS4_IJNSQ_IJLi1ELi2EEEENSQ_IJLi3ELi4EEEESU_EEENSQ_IJLi3ELi5ELi4EEEElEES1B_NS_35ThreadGroupTensorSliceTransfer_v4r1INS_15ThisThreadBlockILi64EEENS_16tensor_operation12element_wise11PassThroughES2S_LNS_25InMemoryDataOperationEnumE0ENSQ_IJLi32ELi32ELi8EEEENSQ_IJLi32ELi2ELi1EEEENSQ_IJLi1ELi0ELi2EEEEDF16_DF16_RKS2M_KS1B_S2W_NSQ_IJLi0ELi1ELi2EEEELi2ELi2ELi8ELi8ELi1ELi1ELb0ELb1ELi1EiEENS_13DynamicBufferILNS_16AddressSpaceEnumE1EKDF16_lLb1ELNS_22AmdBufferCoherenceEnumE0EiEENS32_ILS33_2EDF16_S1A_Lb1ELS35_0EiEENS4_IJiiiEEES2M_S1M_NS2N_IS2P_S2S_S2S_LS2T_0ENSQ_IJLi16ELi32ELi16EEEENSQ_IJLi16ELi4ELi1EEEES2W_S2_S2_S2Y_KS1M_S2W_S30_Li2ELi2ELi16ELi16ELi1ELi1ELb0ELb1ELi1EiEENS32_ILS33_1EKS2_lLb1ELS35_0EiEENS32_ILS33_2ES2_S1A_Lb1ELS35_0EiEES38_NS_25StaticBufferTupleOfVectorILS33_4EfLi2ELi8ELb1ELb0EEEEEvRKT1_RKT2_RT3_RKT4_RT5_RKT6_RKT7_RKT8_RT9_RKT10_RT11_RKT12_RT13_i.num_vgpr)
	.set _ZN2ck27kernel_gemm_xdl_cshuffle_v3INS_28GridwiseGemm_xdl_cshuffle_v3INS_13tensor_layout4gemm8RowMajorENS3_11ColumnMajorES4_DF16_NS_9f8_fnuz_tEfDF16_DF16_NS_16tensor_operation12element_wise11PassThroughES9_S9_LNS7_6device18GemmSpecializationE0ELi64ELi32ELi32ELi256ELi8ELi16ELi16ELi16ELi2ELi1ENS_8SequenceIJLi32ELi2ELi1EEEENSC_IJLi1ELi0ELi2EEEESE_Li2ELi8ELi8ELb0ELi0ENSC_IJLi16ELi4ELi1EEEESE_SE_Li2ELi16ELi16ELb0ELi0ELi1ELi1ENSC_IJLi1ELi16ELi1ELi4EEEELi4ELNS_26BlockGemmPipelineSchedulerE1ELNS_24BlockGemmPipelineVersionE0EDF16_DF16_Lb0ELb0ELb0ELi0ELb0EEELb1ELNS_25InMemoryDataOperationEnumE0ELi2ELNS_10TailNumberE10EEEvNT_8ArgumentE.num_agpr, max(0, .L_ZNK2ck31BlockwiseGemmXdlops_pipeline_v1ILNS_26BlockGemmPipelineSchedulerE1ELi64EDF16_NS_9f8_fnuz_tEDF16_fNS_16TensorDescriptorINS_5TupleIJNS_5EmbedINS4_IJNS_17integral_constantIiLi32EEES7_NS6_IiLi8EEEEEENS4_IJS8_NS6_IiLi256EEENS6_IiLi1EEEEEELb0EEENS_3XorINS4_IJS7_S7_EEELb1EEENS_11PassThroughIS8_EENS_7UnMergeINS4_IJS7_SB_EEELb0EEENSH_IS7_EESI_SM_NS_21Merge_v3_division_modISK_EESI_EEENS4_IJNS_8SequenceIJLi0EEEENSQ_IJLi2ELi1EEEENSQ_IJLi3EEEENSQ_IJLi5EEEENSQ_IJLi4EEEENSQ_IJLi6EEEENSQ_IJLi7EEEENSQ_IJLi9ELi8EEEENSQ_IJLi10EEEEEEENS4_IJNSQ_IJLi1ELi2ELi3EEEENSQ_IJLi4ELi5EEEESW_NSQ_IJLi7ELi8EEEENSQ_IJLi9EEEESZ_NSQ_IJLi11EEEENSQ_IJLi12EEEENSQ_IJLi13EEEEEEENSQ_IJLi11ELi12ELi13EEEENS6_IlLl8192EEEEENS3_INS4_IJNS5_INS4_IJNS6_IiLi16EEES7_S1C_EEENS4_IJS1C_SA_SB_EEELb0EEENSE_INS4_IJS7_S1C_EEELb1EEENSH_IS1C_EENSJ_INS4_IJS1C_SB_EEELb0EEESM_S1I_S1I_SO_S1I_EEES10_S18_S19_S1A_EENS3_INS4_IJSD_SG_SI_SL_SM_SI_SM_SO_SI_NSN_INS4_IJS7_S8_EEEEENSJ_INS4_IJNS6_IiLi2EEESB_S1C_EEELb0EEEEEENS4_IJSR_SS_ST_SU_SV_SW_SX_SY_SZ_NSQ_IJLi11ELi13EEEES16_EEENS4_IJS11_S12_SW_S13_S14_SZ_S15_S16_S17_NSQ_IJLi14EEEENSQ_IJLi15ELi16ELi17EEEEEEENSQ_IJLi15ELi16ELi17ELi14EEEES1A_EENS3_INS4_IJS1F_S1H_S1I_S1K_SM_S1I_S1I_SO_S1I_NSN_INS4_IJS1C_S1C_EEEEENSJ_INS4_IJSB_S1P_S1C_EEELb0EEEEEES1U_S1X_S1Y_S1A_EELi8ELi16ELi32ELi32ELi256ELi16ELi16ELi2ELi1ELi16ELb1EE3RunILb1ELNS_10TailNumberE10ENS3_INS4_IJNS5_INS4_IJiiEEENS4_IJiSB_EEELb0EEENSJ_IS29_Lb0EEENSH_IiEEEEENS4_IJSR_NSQ_IJLi2EEEENSQ_IJLi1EEEEEEENS4_IJNSQ_IJLi1ELi2EEEENSQ_IJLi3ELi4EEEESU_EEENSQ_IJLi3ELi5ELi4EEEElEES1B_NS_35ThreadGroupTensorSliceTransfer_v4r1INS_15ThisThreadBlockILi64EEENS_16tensor_operation12element_wise11PassThroughES2S_LNS_25InMemoryDataOperationEnumE0ENSQ_IJLi32ELi32ELi8EEEENSQ_IJLi32ELi2ELi1EEEENSQ_IJLi1ELi0ELi2EEEEDF16_DF16_RKS2M_KS1B_S2W_NSQ_IJLi0ELi1ELi2EEEELi2ELi2ELi8ELi8ELi1ELi1ELb0ELb1ELi1EiEENS_13DynamicBufferILNS_16AddressSpaceEnumE1EKDF16_lLb1ELNS_22AmdBufferCoherenceEnumE0EiEENS32_ILS33_2EDF16_S1A_Lb1ELS35_0EiEENS4_IJiiiEEES2M_S1M_NS2N_IS2P_S2S_S2S_LS2T_0ENSQ_IJLi16ELi32ELi16EEEENSQ_IJLi16ELi4ELi1EEEES2W_S2_S2_S2Y_KS1M_S2W_S30_Li2ELi2ELi16ELi16ELi1ELi1ELb0ELb1ELi1EiEENS32_ILS33_1EKS2_lLb1ELS35_0EiEENS32_ILS33_2ES2_S1A_Lb1ELS35_0EiEES38_NS_25StaticBufferTupleOfVectorILS33_4EfLi2ELi8ELb1ELb0EEEEEvRKT1_RKT2_RT3_RKT4_RT5_RKT6_RKT7_RKT8_RT9_RKT10_RT11_RKT12_RT13_i.num_agpr)
	.set _ZN2ck27kernel_gemm_xdl_cshuffle_v3INS_28GridwiseGemm_xdl_cshuffle_v3INS_13tensor_layout4gemm8RowMajorENS3_11ColumnMajorES4_DF16_NS_9f8_fnuz_tEfDF16_DF16_NS_16tensor_operation12element_wise11PassThroughES9_S9_LNS7_6device18GemmSpecializationE0ELi64ELi32ELi32ELi256ELi8ELi16ELi16ELi16ELi2ELi1ENS_8SequenceIJLi32ELi2ELi1EEEENSC_IJLi1ELi0ELi2EEEESE_Li2ELi8ELi8ELb0ELi0ENSC_IJLi16ELi4ELi1EEEESE_SE_Li2ELi16ELi16ELb0ELi0ELi1ELi1ENSC_IJLi1ELi16ELi1ELi4EEEELi4ELNS_26BlockGemmPipelineSchedulerE1ELNS_24BlockGemmPipelineVersionE0EDF16_DF16_Lb0ELb0ELb0ELi0ELb0EEELb1ELNS_25InMemoryDataOperationEnumE0ELi2ELNS_10TailNumberE10EEEvNT_8ArgumentE.numbered_sgpr, max(36, .L_ZNK2ck31BlockwiseGemmXdlops_pipeline_v1ILNS_26BlockGemmPipelineSchedulerE1ELi64EDF16_NS_9f8_fnuz_tEDF16_fNS_16TensorDescriptorINS_5TupleIJNS_5EmbedINS4_IJNS_17integral_constantIiLi32EEES7_NS6_IiLi8EEEEEENS4_IJS8_NS6_IiLi256EEENS6_IiLi1EEEEEELb0EEENS_3XorINS4_IJS7_S7_EEELb1EEENS_11PassThroughIS8_EENS_7UnMergeINS4_IJS7_SB_EEELb0EEENSH_IS7_EESI_SM_NS_21Merge_v3_division_modISK_EESI_EEENS4_IJNS_8SequenceIJLi0EEEENSQ_IJLi2ELi1EEEENSQ_IJLi3EEEENSQ_IJLi5EEEENSQ_IJLi4EEEENSQ_IJLi6EEEENSQ_IJLi7EEEENSQ_IJLi9ELi8EEEENSQ_IJLi10EEEEEEENS4_IJNSQ_IJLi1ELi2ELi3EEEENSQ_IJLi4ELi5EEEESW_NSQ_IJLi7ELi8EEEENSQ_IJLi9EEEESZ_NSQ_IJLi11EEEENSQ_IJLi12EEEENSQ_IJLi13EEEEEEENSQ_IJLi11ELi12ELi13EEEENS6_IlLl8192EEEEENS3_INS4_IJNS5_INS4_IJNS6_IiLi16EEES7_S1C_EEENS4_IJS1C_SA_SB_EEELb0EEENSE_INS4_IJS7_S1C_EEELb1EEENSH_IS1C_EENSJ_INS4_IJS1C_SB_EEELb0EEESM_S1I_S1I_SO_S1I_EEES10_S18_S19_S1A_EENS3_INS4_IJSD_SG_SI_SL_SM_SI_SM_SO_SI_NSN_INS4_IJS7_S8_EEEEENSJ_INS4_IJNS6_IiLi2EEESB_S1C_EEELb0EEEEEENS4_IJSR_SS_ST_SU_SV_SW_SX_SY_SZ_NSQ_IJLi11ELi13EEEES16_EEENS4_IJS11_S12_SW_S13_S14_SZ_S15_S16_S17_NSQ_IJLi14EEEENSQ_IJLi15ELi16ELi17EEEEEEENSQ_IJLi15ELi16ELi17ELi14EEEES1A_EENS3_INS4_IJS1F_S1H_S1I_S1K_SM_S1I_S1I_SO_S1I_NSN_INS4_IJS1C_S1C_EEEEENSJ_INS4_IJSB_S1P_S1C_EEELb0EEEEEES1U_S1X_S1Y_S1A_EELi8ELi16ELi32ELi32ELi256ELi16ELi16ELi2ELi1ELi16ELb1EE3RunILb1ELNS_10TailNumberE10ENS3_INS4_IJNS5_INS4_IJiiEEENS4_IJiSB_EEELb0EEENSJ_IS29_Lb0EEENSH_IiEEEEENS4_IJSR_NSQ_IJLi2EEEENSQ_IJLi1EEEEEEENS4_IJNSQ_IJLi1ELi2EEEENSQ_IJLi3ELi4EEEESU_EEENSQ_IJLi3ELi5ELi4EEEElEES1B_NS_35ThreadGroupTensorSliceTransfer_v4r1INS_15ThisThreadBlockILi64EEENS_16tensor_operation12element_wise11PassThroughES2S_LNS_25InMemoryDataOperationEnumE0ENSQ_IJLi32ELi32ELi8EEEENSQ_IJLi32ELi2ELi1EEEENSQ_IJLi1ELi0ELi2EEEEDF16_DF16_RKS2M_KS1B_S2W_NSQ_IJLi0ELi1ELi2EEEELi2ELi2ELi8ELi8ELi1ELi1ELb0ELb1ELi1EiEENS_13DynamicBufferILNS_16AddressSpaceEnumE1EKDF16_lLb1ELNS_22AmdBufferCoherenceEnumE0EiEENS32_ILS33_2EDF16_S1A_Lb1ELS35_0EiEENS4_IJiiiEEES2M_S1M_NS2N_IS2P_S2S_S2S_LS2T_0ENSQ_IJLi16ELi32ELi16EEEENSQ_IJLi16ELi4ELi1EEEES2W_S2_S2_S2Y_KS1M_S2W_S30_Li2ELi2ELi16ELi16ELi1ELi1ELb0ELb1ELi1EiEENS32_ILS33_1EKS2_lLb1ELS35_0EiEENS32_ILS33_2ES2_S1A_Lb1ELS35_0EiEES38_NS_25StaticBufferTupleOfVectorILS33_4EfLi2ELi8ELb1ELb0EEEEEvRKT1_RKT2_RT3_RKT4_RT5_RKT6_RKT7_RKT8_RT9_RKT10_RT11_RKT12_RT13_i.numbered_sgpr)
	.set _ZN2ck27kernel_gemm_xdl_cshuffle_v3INS_28GridwiseGemm_xdl_cshuffle_v3INS_13tensor_layout4gemm8RowMajorENS3_11ColumnMajorES4_DF16_NS_9f8_fnuz_tEfDF16_DF16_NS_16tensor_operation12element_wise11PassThroughES9_S9_LNS7_6device18GemmSpecializationE0ELi64ELi32ELi32ELi256ELi8ELi16ELi16ELi16ELi2ELi1ENS_8SequenceIJLi32ELi2ELi1EEEENSC_IJLi1ELi0ELi2EEEESE_Li2ELi8ELi8ELb0ELi0ENSC_IJLi16ELi4ELi1EEEESE_SE_Li2ELi16ELi16ELb0ELi0ELi1ELi1ENSC_IJLi1ELi16ELi1ELi4EEEELi4ELNS_26BlockGemmPipelineSchedulerE1ELNS_24BlockGemmPipelineVersionE0EDF16_DF16_Lb0ELb0ELb0ELi0ELb0EEELb1ELNS_25InMemoryDataOperationEnumE0ELi2ELNS_10TailNumberE10EEEvNT_8ArgumentE.num_named_barrier, max(0, .L_ZNK2ck31BlockwiseGemmXdlops_pipeline_v1ILNS_26BlockGemmPipelineSchedulerE1ELi64EDF16_NS_9f8_fnuz_tEDF16_fNS_16TensorDescriptorINS_5TupleIJNS_5EmbedINS4_IJNS_17integral_constantIiLi32EEES7_NS6_IiLi8EEEEEENS4_IJS8_NS6_IiLi256EEENS6_IiLi1EEEEEELb0EEENS_3XorINS4_IJS7_S7_EEELb1EEENS_11PassThroughIS8_EENS_7UnMergeINS4_IJS7_SB_EEELb0EEENSH_IS7_EESI_SM_NS_21Merge_v3_division_modISK_EESI_EEENS4_IJNS_8SequenceIJLi0EEEENSQ_IJLi2ELi1EEEENSQ_IJLi3EEEENSQ_IJLi5EEEENSQ_IJLi4EEEENSQ_IJLi6EEEENSQ_IJLi7EEEENSQ_IJLi9ELi8EEEENSQ_IJLi10EEEEEEENS4_IJNSQ_IJLi1ELi2ELi3EEEENSQ_IJLi4ELi5EEEESW_NSQ_IJLi7ELi8EEEENSQ_IJLi9EEEESZ_NSQ_IJLi11EEEENSQ_IJLi12EEEENSQ_IJLi13EEEEEEENSQ_IJLi11ELi12ELi13EEEENS6_IlLl8192EEEEENS3_INS4_IJNS5_INS4_IJNS6_IiLi16EEES7_S1C_EEENS4_IJS1C_SA_SB_EEELb0EEENSE_INS4_IJS7_S1C_EEELb1EEENSH_IS1C_EENSJ_INS4_IJS1C_SB_EEELb0EEESM_S1I_S1I_SO_S1I_EEES10_S18_S19_S1A_EENS3_INS4_IJSD_SG_SI_SL_SM_SI_SM_SO_SI_NSN_INS4_IJS7_S8_EEEEENSJ_INS4_IJNS6_IiLi2EEESB_S1C_EEELb0EEEEEENS4_IJSR_SS_ST_SU_SV_SW_SX_SY_SZ_NSQ_IJLi11ELi13EEEES16_EEENS4_IJS11_S12_SW_S13_S14_SZ_S15_S16_S17_NSQ_IJLi14EEEENSQ_IJLi15ELi16ELi17EEEEEEENSQ_IJLi15ELi16ELi17ELi14EEEES1A_EENS3_INS4_IJS1F_S1H_S1I_S1K_SM_S1I_S1I_SO_S1I_NSN_INS4_IJS1C_S1C_EEEEENSJ_INS4_IJSB_S1P_S1C_EEELb0EEEEEES1U_S1X_S1Y_S1A_EELi8ELi16ELi32ELi32ELi256ELi16ELi16ELi2ELi1ELi16ELb1EE3RunILb1ELNS_10TailNumberE10ENS3_INS4_IJNS5_INS4_IJiiEEENS4_IJiSB_EEELb0EEENSJ_IS29_Lb0EEENSH_IiEEEEENS4_IJSR_NSQ_IJLi2EEEENSQ_IJLi1EEEEEEENS4_IJNSQ_IJLi1ELi2EEEENSQ_IJLi3ELi4EEEESU_EEENSQ_IJLi3ELi5ELi4EEEElEES1B_NS_35ThreadGroupTensorSliceTransfer_v4r1INS_15ThisThreadBlockILi64EEENS_16tensor_operation12element_wise11PassThroughES2S_LNS_25InMemoryDataOperationEnumE0ENSQ_IJLi32ELi32ELi8EEEENSQ_IJLi32ELi2ELi1EEEENSQ_IJLi1ELi0ELi2EEEEDF16_DF16_RKS2M_KS1B_S2W_NSQ_IJLi0ELi1ELi2EEEELi2ELi2ELi8ELi8ELi1ELi1ELb0ELb1ELi1EiEENS_13DynamicBufferILNS_16AddressSpaceEnumE1EKDF16_lLb1ELNS_22AmdBufferCoherenceEnumE0EiEENS32_ILS33_2EDF16_S1A_Lb1ELS35_0EiEENS4_IJiiiEEES2M_S1M_NS2N_IS2P_S2S_S2S_LS2T_0ENSQ_IJLi16ELi32ELi16EEEENSQ_IJLi16ELi4ELi1EEEES2W_S2_S2_S2Y_KS1M_S2W_S30_Li2ELi2ELi16ELi16ELi1ELi1ELb0ELb1ELi1EiEENS32_ILS33_1EKS2_lLb1ELS35_0EiEENS32_ILS33_2ES2_S1A_Lb1ELS35_0EiEES38_NS_25StaticBufferTupleOfVectorILS33_4EfLi2ELi8ELb1ELb0EEEEEvRKT1_RKT2_RT3_RKT4_RT5_RKT6_RKT7_RKT8_RT9_RKT10_RT11_RKT12_RT13_i.num_named_barrier)
	.set _ZN2ck27kernel_gemm_xdl_cshuffle_v3INS_28GridwiseGemm_xdl_cshuffle_v3INS_13tensor_layout4gemm8RowMajorENS3_11ColumnMajorES4_DF16_NS_9f8_fnuz_tEfDF16_DF16_NS_16tensor_operation12element_wise11PassThroughES9_S9_LNS7_6device18GemmSpecializationE0ELi64ELi32ELi32ELi256ELi8ELi16ELi16ELi16ELi2ELi1ENS_8SequenceIJLi32ELi2ELi1EEEENSC_IJLi1ELi0ELi2EEEESE_Li2ELi8ELi8ELb0ELi0ENSC_IJLi16ELi4ELi1EEEESE_SE_Li2ELi16ELi16ELb0ELi0ELi1ELi1ENSC_IJLi1ELi16ELi1ELi4EEEELi4ELNS_26BlockGemmPipelineSchedulerE1ELNS_24BlockGemmPipelineVersionE0EDF16_DF16_Lb0ELb0ELb0ELi0ELb0EEELb1ELNS_25InMemoryDataOperationEnumE0ELi2ELNS_10TailNumberE10EEEvNT_8ArgumentE.private_seg_size, 1920+max(.L_ZNK2ck31BlockwiseGemmXdlops_pipeline_v1ILNS_26BlockGemmPipelineSchedulerE1ELi64EDF16_NS_9f8_fnuz_tEDF16_fNS_16TensorDescriptorINS_5TupleIJNS_5EmbedINS4_IJNS_17integral_constantIiLi32EEES7_NS6_IiLi8EEEEEENS4_IJS8_NS6_IiLi256EEENS6_IiLi1EEEEEELb0EEENS_3XorINS4_IJS7_S7_EEELb1EEENS_11PassThroughIS8_EENS_7UnMergeINS4_IJS7_SB_EEELb0EEENSH_IS7_EESI_SM_NS_21Merge_v3_division_modISK_EESI_EEENS4_IJNS_8SequenceIJLi0EEEENSQ_IJLi2ELi1EEEENSQ_IJLi3EEEENSQ_IJLi5EEEENSQ_IJLi4EEEENSQ_IJLi6EEEENSQ_IJLi7EEEENSQ_IJLi9ELi8EEEENSQ_IJLi10EEEEEEENS4_IJNSQ_IJLi1ELi2ELi3EEEENSQ_IJLi4ELi5EEEESW_NSQ_IJLi7ELi8EEEENSQ_IJLi9EEEESZ_NSQ_IJLi11EEEENSQ_IJLi12EEEENSQ_IJLi13EEEEEEENSQ_IJLi11ELi12ELi13EEEENS6_IlLl8192EEEEENS3_INS4_IJNS5_INS4_IJNS6_IiLi16EEES7_S1C_EEENS4_IJS1C_SA_SB_EEELb0EEENSE_INS4_IJS7_S1C_EEELb1EEENSH_IS1C_EENSJ_INS4_IJS1C_SB_EEELb0EEESM_S1I_S1I_SO_S1I_EEES10_S18_S19_S1A_EENS3_INS4_IJSD_SG_SI_SL_SM_SI_SM_SO_SI_NSN_INS4_IJS7_S8_EEEEENSJ_INS4_IJNS6_IiLi2EEESB_S1C_EEELb0EEEEEENS4_IJSR_SS_ST_SU_SV_SW_SX_SY_SZ_NSQ_IJLi11ELi13EEEES16_EEENS4_IJS11_S12_SW_S13_S14_SZ_S15_S16_S17_NSQ_IJLi14EEEENSQ_IJLi15ELi16ELi17EEEEEEENSQ_IJLi15ELi16ELi17ELi14EEEES1A_EENS3_INS4_IJS1F_S1H_S1I_S1K_SM_S1I_S1I_SO_S1I_NSN_INS4_IJS1C_S1C_EEEEENSJ_INS4_IJSB_S1P_S1C_EEELb0EEEEEES1U_S1X_S1Y_S1A_EELi8ELi16ELi32ELi32ELi256ELi16ELi16ELi2ELi1ELi16ELb1EE3RunILb1ELNS_10TailNumberE10ENS3_INS4_IJNS5_INS4_IJiiEEENS4_IJiSB_EEELb0EEENSJ_IS29_Lb0EEENSH_IiEEEEENS4_IJSR_NSQ_IJLi2EEEENSQ_IJLi1EEEEEEENS4_IJNSQ_IJLi1ELi2EEEENSQ_IJLi3ELi4EEEESU_EEENSQ_IJLi3ELi5ELi4EEEElEES1B_NS_35ThreadGroupTensorSliceTransfer_v4r1INS_15ThisThreadBlockILi64EEENS_16tensor_operation12element_wise11PassThroughES2S_LNS_25InMemoryDataOperationEnumE0ENSQ_IJLi32ELi32ELi8EEEENSQ_IJLi32ELi2ELi1EEEENSQ_IJLi1ELi0ELi2EEEEDF16_DF16_RKS2M_KS1B_S2W_NSQ_IJLi0ELi1ELi2EEEELi2ELi2ELi8ELi8ELi1ELi1ELb0ELb1ELi1EiEENS_13DynamicBufferILNS_16AddressSpaceEnumE1EKDF16_lLb1ELNS_22AmdBufferCoherenceEnumE0EiEENS32_ILS33_2EDF16_S1A_Lb1ELS35_0EiEENS4_IJiiiEEES2M_S1M_NS2N_IS2P_S2S_S2S_LS2T_0ENSQ_IJLi16ELi32ELi16EEEENSQ_IJLi16ELi4ELi1EEEES2W_S2_S2_S2Y_KS1M_S2W_S30_Li2ELi2ELi16ELi16ELi1ELi1ELb0ELb1ELi1EiEENS32_ILS33_1EKS2_lLb1ELS35_0EiEENS32_ILS33_2ES2_S1A_Lb1ELS35_0EiEES38_NS_25StaticBufferTupleOfVectorILS33_4EfLi2ELi8ELb1ELb0EEEEEvRKT1_RKT2_RT3_RKT4_RT5_RKT6_RKT7_RKT8_RT9_RKT10_RT11_RKT12_RT13_i.private_seg_size)
	.set _ZN2ck27kernel_gemm_xdl_cshuffle_v3INS_28GridwiseGemm_xdl_cshuffle_v3INS_13tensor_layout4gemm8RowMajorENS3_11ColumnMajorES4_DF16_NS_9f8_fnuz_tEfDF16_DF16_NS_16tensor_operation12element_wise11PassThroughES9_S9_LNS7_6device18GemmSpecializationE0ELi64ELi32ELi32ELi256ELi8ELi16ELi16ELi16ELi2ELi1ENS_8SequenceIJLi32ELi2ELi1EEEENSC_IJLi1ELi0ELi2EEEESE_Li2ELi8ELi8ELb0ELi0ENSC_IJLi16ELi4ELi1EEEESE_SE_Li2ELi16ELi16ELb0ELi0ELi1ELi1ENSC_IJLi1ELi16ELi1ELi4EEEELi4ELNS_26BlockGemmPipelineSchedulerE1ELNS_24BlockGemmPipelineVersionE0EDF16_DF16_Lb0ELb0ELb0ELi0ELb0EEELb1ELNS_25InMemoryDataOperationEnumE0ELi2ELNS_10TailNumberE10EEEvNT_8ArgumentE.uses_vcc, or(1, .L_ZNK2ck31BlockwiseGemmXdlops_pipeline_v1ILNS_26BlockGemmPipelineSchedulerE1ELi64EDF16_NS_9f8_fnuz_tEDF16_fNS_16TensorDescriptorINS_5TupleIJNS_5EmbedINS4_IJNS_17integral_constantIiLi32EEES7_NS6_IiLi8EEEEEENS4_IJS8_NS6_IiLi256EEENS6_IiLi1EEEEEELb0EEENS_3XorINS4_IJS7_S7_EEELb1EEENS_11PassThroughIS8_EENS_7UnMergeINS4_IJS7_SB_EEELb0EEENSH_IS7_EESI_SM_NS_21Merge_v3_division_modISK_EESI_EEENS4_IJNS_8SequenceIJLi0EEEENSQ_IJLi2ELi1EEEENSQ_IJLi3EEEENSQ_IJLi5EEEENSQ_IJLi4EEEENSQ_IJLi6EEEENSQ_IJLi7EEEENSQ_IJLi9ELi8EEEENSQ_IJLi10EEEEEEENS4_IJNSQ_IJLi1ELi2ELi3EEEENSQ_IJLi4ELi5EEEESW_NSQ_IJLi7ELi8EEEENSQ_IJLi9EEEESZ_NSQ_IJLi11EEEENSQ_IJLi12EEEENSQ_IJLi13EEEEEEENSQ_IJLi11ELi12ELi13EEEENS6_IlLl8192EEEEENS3_INS4_IJNS5_INS4_IJNS6_IiLi16EEES7_S1C_EEENS4_IJS1C_SA_SB_EEELb0EEENSE_INS4_IJS7_S1C_EEELb1EEENSH_IS1C_EENSJ_INS4_IJS1C_SB_EEELb0EEESM_S1I_S1I_SO_S1I_EEES10_S18_S19_S1A_EENS3_INS4_IJSD_SG_SI_SL_SM_SI_SM_SO_SI_NSN_INS4_IJS7_S8_EEEEENSJ_INS4_IJNS6_IiLi2EEESB_S1C_EEELb0EEEEEENS4_IJSR_SS_ST_SU_SV_SW_SX_SY_SZ_NSQ_IJLi11ELi13EEEES16_EEENS4_IJS11_S12_SW_S13_S14_SZ_S15_S16_S17_NSQ_IJLi14EEEENSQ_IJLi15ELi16ELi17EEEEEEENSQ_IJLi15ELi16ELi17ELi14EEEES1A_EENS3_INS4_IJS1F_S1H_S1I_S1K_SM_S1I_S1I_SO_S1I_NSN_INS4_IJS1C_S1C_EEEEENSJ_INS4_IJSB_S1P_S1C_EEELb0EEEEEES1U_S1X_S1Y_S1A_EELi8ELi16ELi32ELi32ELi256ELi16ELi16ELi2ELi1ELi16ELb1EE3RunILb1ELNS_10TailNumberE10ENS3_INS4_IJNS5_INS4_IJiiEEENS4_IJiSB_EEELb0EEENSJ_IS29_Lb0EEENSH_IiEEEEENS4_IJSR_NSQ_IJLi2EEEENSQ_IJLi1EEEEEEENS4_IJNSQ_IJLi1ELi2EEEENSQ_IJLi3ELi4EEEESU_EEENSQ_IJLi3ELi5ELi4EEEElEES1B_NS_35ThreadGroupTensorSliceTransfer_v4r1INS_15ThisThreadBlockILi64EEENS_16tensor_operation12element_wise11PassThroughES2S_LNS_25InMemoryDataOperationEnumE0ENSQ_IJLi32ELi32ELi8EEEENSQ_IJLi32ELi2ELi1EEEENSQ_IJLi1ELi0ELi2EEEEDF16_DF16_RKS2M_KS1B_S2W_NSQ_IJLi0ELi1ELi2EEEELi2ELi2ELi8ELi8ELi1ELi1ELb0ELb1ELi1EiEENS_13DynamicBufferILNS_16AddressSpaceEnumE1EKDF16_lLb1ELNS_22AmdBufferCoherenceEnumE0EiEENS32_ILS33_2EDF16_S1A_Lb1ELS35_0EiEENS4_IJiiiEEES2M_S1M_NS2N_IS2P_S2S_S2S_LS2T_0ENSQ_IJLi16ELi32ELi16EEEENSQ_IJLi16ELi4ELi1EEEES2W_S2_S2_S2Y_KS1M_S2W_S30_Li2ELi2ELi16ELi16ELi1ELi1ELb0ELb1ELi1EiEENS32_ILS33_1EKS2_lLb1ELS35_0EiEENS32_ILS33_2ES2_S1A_Lb1ELS35_0EiEES38_NS_25StaticBufferTupleOfVectorILS33_4EfLi2ELi8ELb1ELb0EEEEEvRKT1_RKT2_RT3_RKT4_RT5_RKT6_RKT7_RKT8_RT9_RKT10_RT11_RKT12_RT13_i.uses_vcc)
	.set _ZN2ck27kernel_gemm_xdl_cshuffle_v3INS_28GridwiseGemm_xdl_cshuffle_v3INS_13tensor_layout4gemm8RowMajorENS3_11ColumnMajorES4_DF16_NS_9f8_fnuz_tEfDF16_DF16_NS_16tensor_operation12element_wise11PassThroughES9_S9_LNS7_6device18GemmSpecializationE0ELi64ELi32ELi32ELi256ELi8ELi16ELi16ELi16ELi2ELi1ENS_8SequenceIJLi32ELi2ELi1EEEENSC_IJLi1ELi0ELi2EEEESE_Li2ELi8ELi8ELb0ELi0ENSC_IJLi16ELi4ELi1EEEESE_SE_Li2ELi16ELi16ELb0ELi0ELi1ELi1ENSC_IJLi1ELi16ELi1ELi4EEEELi4ELNS_26BlockGemmPipelineSchedulerE1ELNS_24BlockGemmPipelineVersionE0EDF16_DF16_Lb0ELb0ELb0ELi0ELb0EEELb1ELNS_25InMemoryDataOperationEnumE0ELi2ELNS_10TailNumberE10EEEvNT_8ArgumentE.uses_flat_scratch, or(1, .L_ZNK2ck31BlockwiseGemmXdlops_pipeline_v1ILNS_26BlockGemmPipelineSchedulerE1ELi64EDF16_NS_9f8_fnuz_tEDF16_fNS_16TensorDescriptorINS_5TupleIJNS_5EmbedINS4_IJNS_17integral_constantIiLi32EEES7_NS6_IiLi8EEEEEENS4_IJS8_NS6_IiLi256EEENS6_IiLi1EEEEEELb0EEENS_3XorINS4_IJS7_S7_EEELb1EEENS_11PassThroughIS8_EENS_7UnMergeINS4_IJS7_SB_EEELb0EEENSH_IS7_EESI_SM_NS_21Merge_v3_division_modISK_EESI_EEENS4_IJNS_8SequenceIJLi0EEEENSQ_IJLi2ELi1EEEENSQ_IJLi3EEEENSQ_IJLi5EEEENSQ_IJLi4EEEENSQ_IJLi6EEEENSQ_IJLi7EEEENSQ_IJLi9ELi8EEEENSQ_IJLi10EEEEEEENS4_IJNSQ_IJLi1ELi2ELi3EEEENSQ_IJLi4ELi5EEEESW_NSQ_IJLi7ELi8EEEENSQ_IJLi9EEEESZ_NSQ_IJLi11EEEENSQ_IJLi12EEEENSQ_IJLi13EEEEEEENSQ_IJLi11ELi12ELi13EEEENS6_IlLl8192EEEEENS3_INS4_IJNS5_INS4_IJNS6_IiLi16EEES7_S1C_EEENS4_IJS1C_SA_SB_EEELb0EEENSE_INS4_IJS7_S1C_EEELb1EEENSH_IS1C_EENSJ_INS4_IJS1C_SB_EEELb0EEESM_S1I_S1I_SO_S1I_EEES10_S18_S19_S1A_EENS3_INS4_IJSD_SG_SI_SL_SM_SI_SM_SO_SI_NSN_INS4_IJS7_S8_EEEEENSJ_INS4_IJNS6_IiLi2EEESB_S1C_EEELb0EEEEEENS4_IJSR_SS_ST_SU_SV_SW_SX_SY_SZ_NSQ_IJLi11ELi13EEEES16_EEENS4_IJS11_S12_SW_S13_S14_SZ_S15_S16_S17_NSQ_IJLi14EEEENSQ_IJLi15ELi16ELi17EEEEEEENSQ_IJLi15ELi16ELi17ELi14EEEES1A_EENS3_INS4_IJS1F_S1H_S1I_S1K_SM_S1I_S1I_SO_S1I_NSN_INS4_IJS1C_S1C_EEEEENSJ_INS4_IJSB_S1P_S1C_EEELb0EEEEEES1U_S1X_S1Y_S1A_EELi8ELi16ELi32ELi32ELi256ELi16ELi16ELi2ELi1ELi16ELb1EE3RunILb1ELNS_10TailNumberE10ENS3_INS4_IJNS5_INS4_IJiiEEENS4_IJiSB_EEELb0EEENSJ_IS29_Lb0EEENSH_IiEEEEENS4_IJSR_NSQ_IJLi2EEEENSQ_IJLi1EEEEEEENS4_IJNSQ_IJLi1ELi2EEEENSQ_IJLi3ELi4EEEESU_EEENSQ_IJLi3ELi5ELi4EEEElEES1B_NS_35ThreadGroupTensorSliceTransfer_v4r1INS_15ThisThreadBlockILi64EEENS_16tensor_operation12element_wise11PassThroughES2S_LNS_25InMemoryDataOperationEnumE0ENSQ_IJLi32ELi32ELi8EEEENSQ_IJLi32ELi2ELi1EEEENSQ_IJLi1ELi0ELi2EEEEDF16_DF16_RKS2M_KS1B_S2W_NSQ_IJLi0ELi1ELi2EEEELi2ELi2ELi8ELi8ELi1ELi1ELb0ELb1ELi1EiEENS_13DynamicBufferILNS_16AddressSpaceEnumE1EKDF16_lLb1ELNS_22AmdBufferCoherenceEnumE0EiEENS32_ILS33_2EDF16_S1A_Lb1ELS35_0EiEENS4_IJiiiEEES2M_S1M_NS2N_IS2P_S2S_S2S_LS2T_0ENSQ_IJLi16ELi32ELi16EEEENSQ_IJLi16ELi4ELi1EEEES2W_S2_S2_S2Y_KS1M_S2W_S30_Li2ELi2ELi16ELi16ELi1ELi1ELb0ELb1ELi1EiEENS32_ILS33_1EKS2_lLb1ELS35_0EiEENS32_ILS33_2ES2_S1A_Lb1ELS35_0EiEES38_NS_25StaticBufferTupleOfVectorILS33_4EfLi2ELi8ELb1ELb0EEEEEvRKT1_RKT2_RT3_RKT4_RT5_RKT6_RKT7_RKT8_RT9_RKT10_RT11_RKT12_RT13_i.uses_flat_scratch)
	.set _ZN2ck27kernel_gemm_xdl_cshuffle_v3INS_28GridwiseGemm_xdl_cshuffle_v3INS_13tensor_layout4gemm8RowMajorENS3_11ColumnMajorES4_DF16_NS_9f8_fnuz_tEfDF16_DF16_NS_16tensor_operation12element_wise11PassThroughES9_S9_LNS7_6device18GemmSpecializationE0ELi64ELi32ELi32ELi256ELi8ELi16ELi16ELi16ELi2ELi1ENS_8SequenceIJLi32ELi2ELi1EEEENSC_IJLi1ELi0ELi2EEEESE_Li2ELi8ELi8ELb0ELi0ENSC_IJLi16ELi4ELi1EEEESE_SE_Li2ELi16ELi16ELb0ELi0ELi1ELi1ENSC_IJLi1ELi16ELi1ELi4EEEELi4ELNS_26BlockGemmPipelineSchedulerE1ELNS_24BlockGemmPipelineVersionE0EDF16_DF16_Lb0ELb0ELb0ELi0ELb0EEELb1ELNS_25InMemoryDataOperationEnumE0ELi2ELNS_10TailNumberE10EEEvNT_8ArgumentE.has_dyn_sized_stack, or(0, .L_ZNK2ck31BlockwiseGemmXdlops_pipeline_v1ILNS_26BlockGemmPipelineSchedulerE1ELi64EDF16_NS_9f8_fnuz_tEDF16_fNS_16TensorDescriptorINS_5TupleIJNS_5EmbedINS4_IJNS_17integral_constantIiLi32EEES7_NS6_IiLi8EEEEEENS4_IJS8_NS6_IiLi256EEENS6_IiLi1EEEEEELb0EEENS_3XorINS4_IJS7_S7_EEELb1EEENS_11PassThroughIS8_EENS_7UnMergeINS4_IJS7_SB_EEELb0EEENSH_IS7_EESI_SM_NS_21Merge_v3_division_modISK_EESI_EEENS4_IJNS_8SequenceIJLi0EEEENSQ_IJLi2ELi1EEEENSQ_IJLi3EEEENSQ_IJLi5EEEENSQ_IJLi4EEEENSQ_IJLi6EEEENSQ_IJLi7EEEENSQ_IJLi9ELi8EEEENSQ_IJLi10EEEEEEENS4_IJNSQ_IJLi1ELi2ELi3EEEENSQ_IJLi4ELi5EEEESW_NSQ_IJLi7ELi8EEEENSQ_IJLi9EEEESZ_NSQ_IJLi11EEEENSQ_IJLi12EEEENSQ_IJLi13EEEEEEENSQ_IJLi11ELi12ELi13EEEENS6_IlLl8192EEEEENS3_INS4_IJNS5_INS4_IJNS6_IiLi16EEES7_S1C_EEENS4_IJS1C_SA_SB_EEELb0EEENSE_INS4_IJS7_S1C_EEELb1EEENSH_IS1C_EENSJ_INS4_IJS1C_SB_EEELb0EEESM_S1I_S1I_SO_S1I_EEES10_S18_S19_S1A_EENS3_INS4_IJSD_SG_SI_SL_SM_SI_SM_SO_SI_NSN_INS4_IJS7_S8_EEEEENSJ_INS4_IJNS6_IiLi2EEESB_S1C_EEELb0EEEEEENS4_IJSR_SS_ST_SU_SV_SW_SX_SY_SZ_NSQ_IJLi11ELi13EEEES16_EEENS4_IJS11_S12_SW_S13_S14_SZ_S15_S16_S17_NSQ_IJLi14EEEENSQ_IJLi15ELi16ELi17EEEEEEENSQ_IJLi15ELi16ELi17ELi14EEEES1A_EENS3_INS4_IJS1F_S1H_S1I_S1K_SM_S1I_S1I_SO_S1I_NSN_INS4_IJS1C_S1C_EEEEENSJ_INS4_IJSB_S1P_S1C_EEELb0EEEEEES1U_S1X_S1Y_S1A_EELi8ELi16ELi32ELi32ELi256ELi16ELi16ELi2ELi1ELi16ELb1EE3RunILb1ELNS_10TailNumberE10ENS3_INS4_IJNS5_INS4_IJiiEEENS4_IJiSB_EEELb0EEENSJ_IS29_Lb0EEENSH_IiEEEEENS4_IJSR_NSQ_IJLi2EEEENSQ_IJLi1EEEEEEENS4_IJNSQ_IJLi1ELi2EEEENSQ_IJLi3ELi4EEEESU_EEENSQ_IJLi3ELi5ELi4EEEElEES1B_NS_35ThreadGroupTensorSliceTransfer_v4r1INS_15ThisThreadBlockILi64EEENS_16tensor_operation12element_wise11PassThroughES2S_LNS_25InMemoryDataOperationEnumE0ENSQ_IJLi32ELi32ELi8EEEENSQ_IJLi32ELi2ELi1EEEENSQ_IJLi1ELi0ELi2EEEEDF16_DF16_RKS2M_KS1B_S2W_NSQ_IJLi0ELi1ELi2EEEELi2ELi2ELi8ELi8ELi1ELi1ELb0ELb1ELi1EiEENS_13DynamicBufferILNS_16AddressSpaceEnumE1EKDF16_lLb1ELNS_22AmdBufferCoherenceEnumE0EiEENS32_ILS33_2EDF16_S1A_Lb1ELS35_0EiEENS4_IJiiiEEES2M_S1M_NS2N_IS2P_S2S_S2S_LS2T_0ENSQ_IJLi16ELi32ELi16EEEENSQ_IJLi16ELi4ELi1EEEES2W_S2_S2_S2Y_KS1M_S2W_S30_Li2ELi2ELi16ELi16ELi1ELi1ELb0ELb1ELi1EiEENS32_ILS33_1EKS2_lLb1ELS35_0EiEENS32_ILS33_2ES2_S1A_Lb1ELS35_0EiEES38_NS_25StaticBufferTupleOfVectorILS33_4EfLi2ELi8ELb1ELb0EEEEEvRKT1_RKT2_RT3_RKT4_RT5_RKT6_RKT7_RKT8_RT9_RKT10_RT11_RKT12_RT13_i.has_dyn_sized_stack)
	.set _ZN2ck27kernel_gemm_xdl_cshuffle_v3INS_28GridwiseGemm_xdl_cshuffle_v3INS_13tensor_layout4gemm8RowMajorENS3_11ColumnMajorES4_DF16_NS_9f8_fnuz_tEfDF16_DF16_NS_16tensor_operation12element_wise11PassThroughES9_S9_LNS7_6device18GemmSpecializationE0ELi64ELi32ELi32ELi256ELi8ELi16ELi16ELi16ELi2ELi1ENS_8SequenceIJLi32ELi2ELi1EEEENSC_IJLi1ELi0ELi2EEEESE_Li2ELi8ELi8ELb0ELi0ENSC_IJLi16ELi4ELi1EEEESE_SE_Li2ELi16ELi16ELb0ELi0ELi1ELi1ENSC_IJLi1ELi16ELi1ELi4EEEELi4ELNS_26BlockGemmPipelineSchedulerE1ELNS_24BlockGemmPipelineVersionE0EDF16_DF16_Lb0ELb0ELb0ELi0ELb0EEELb1ELNS_25InMemoryDataOperationEnumE0ELi2ELNS_10TailNumberE10EEEvNT_8ArgumentE.has_recursion, or(0, .L_ZNK2ck31BlockwiseGemmXdlops_pipeline_v1ILNS_26BlockGemmPipelineSchedulerE1ELi64EDF16_NS_9f8_fnuz_tEDF16_fNS_16TensorDescriptorINS_5TupleIJNS_5EmbedINS4_IJNS_17integral_constantIiLi32EEES7_NS6_IiLi8EEEEEENS4_IJS8_NS6_IiLi256EEENS6_IiLi1EEEEEELb0EEENS_3XorINS4_IJS7_S7_EEELb1EEENS_11PassThroughIS8_EENS_7UnMergeINS4_IJS7_SB_EEELb0EEENSH_IS7_EESI_SM_NS_21Merge_v3_division_modISK_EESI_EEENS4_IJNS_8SequenceIJLi0EEEENSQ_IJLi2ELi1EEEENSQ_IJLi3EEEENSQ_IJLi5EEEENSQ_IJLi4EEEENSQ_IJLi6EEEENSQ_IJLi7EEEENSQ_IJLi9ELi8EEEENSQ_IJLi10EEEEEEENS4_IJNSQ_IJLi1ELi2ELi3EEEENSQ_IJLi4ELi5EEEESW_NSQ_IJLi7ELi8EEEENSQ_IJLi9EEEESZ_NSQ_IJLi11EEEENSQ_IJLi12EEEENSQ_IJLi13EEEEEEENSQ_IJLi11ELi12ELi13EEEENS6_IlLl8192EEEEENS3_INS4_IJNS5_INS4_IJNS6_IiLi16EEES7_S1C_EEENS4_IJS1C_SA_SB_EEELb0EEENSE_INS4_IJS7_S1C_EEELb1EEENSH_IS1C_EENSJ_INS4_IJS1C_SB_EEELb0EEESM_S1I_S1I_SO_S1I_EEES10_S18_S19_S1A_EENS3_INS4_IJSD_SG_SI_SL_SM_SI_SM_SO_SI_NSN_INS4_IJS7_S8_EEEEENSJ_INS4_IJNS6_IiLi2EEESB_S1C_EEELb0EEEEEENS4_IJSR_SS_ST_SU_SV_SW_SX_SY_SZ_NSQ_IJLi11ELi13EEEES16_EEENS4_IJS11_S12_SW_S13_S14_SZ_S15_S16_S17_NSQ_IJLi14EEEENSQ_IJLi15ELi16ELi17EEEEEEENSQ_IJLi15ELi16ELi17ELi14EEEES1A_EENS3_INS4_IJS1F_S1H_S1I_S1K_SM_S1I_S1I_SO_S1I_NSN_INS4_IJS1C_S1C_EEEEENSJ_INS4_IJSB_S1P_S1C_EEELb0EEEEEES1U_S1X_S1Y_S1A_EELi8ELi16ELi32ELi32ELi256ELi16ELi16ELi2ELi1ELi16ELb1EE3RunILb1ELNS_10TailNumberE10ENS3_INS4_IJNS5_INS4_IJiiEEENS4_IJiSB_EEELb0EEENSJ_IS29_Lb0EEENSH_IiEEEEENS4_IJSR_NSQ_IJLi2EEEENSQ_IJLi1EEEEEEENS4_IJNSQ_IJLi1ELi2EEEENSQ_IJLi3ELi4EEEESU_EEENSQ_IJLi3ELi5ELi4EEEElEES1B_NS_35ThreadGroupTensorSliceTransfer_v4r1INS_15ThisThreadBlockILi64EEENS_16tensor_operation12element_wise11PassThroughES2S_LNS_25InMemoryDataOperationEnumE0ENSQ_IJLi32ELi32ELi8EEEENSQ_IJLi32ELi2ELi1EEEENSQ_IJLi1ELi0ELi2EEEEDF16_DF16_RKS2M_KS1B_S2W_NSQ_IJLi0ELi1ELi2EEEELi2ELi2ELi8ELi8ELi1ELi1ELb0ELb1ELi1EiEENS_13DynamicBufferILNS_16AddressSpaceEnumE1EKDF16_lLb1ELNS_22AmdBufferCoherenceEnumE0EiEENS32_ILS33_2EDF16_S1A_Lb1ELS35_0EiEENS4_IJiiiEEES2M_S1M_NS2N_IS2P_S2S_S2S_LS2T_0ENSQ_IJLi16ELi32ELi16EEEENSQ_IJLi16ELi4ELi1EEEES2W_S2_S2_S2Y_KS1M_S2W_S30_Li2ELi2ELi16ELi16ELi1ELi1ELb0ELb1ELi1EiEENS32_ILS33_1EKS2_lLb1ELS35_0EiEENS32_ILS33_2ES2_S1A_Lb1ELS35_0EiEES38_NS_25StaticBufferTupleOfVectorILS33_4EfLi2ELi8ELb1ELb0EEEEEvRKT1_RKT2_RT3_RKT4_RT5_RKT6_RKT7_RKT8_RT9_RKT10_RT11_RKT12_RT13_i.has_recursion)
	.set _ZN2ck27kernel_gemm_xdl_cshuffle_v3INS_28GridwiseGemm_xdl_cshuffle_v3INS_13tensor_layout4gemm8RowMajorENS3_11ColumnMajorES4_DF16_NS_9f8_fnuz_tEfDF16_DF16_NS_16tensor_operation12element_wise11PassThroughES9_S9_LNS7_6device18GemmSpecializationE0ELi64ELi32ELi32ELi256ELi8ELi16ELi16ELi16ELi2ELi1ENS_8SequenceIJLi32ELi2ELi1EEEENSC_IJLi1ELi0ELi2EEEESE_Li2ELi8ELi8ELb0ELi0ENSC_IJLi16ELi4ELi1EEEESE_SE_Li2ELi16ELi16ELb0ELi0ELi1ELi1ENSC_IJLi1ELi16ELi1ELi4EEEELi4ELNS_26BlockGemmPipelineSchedulerE1ELNS_24BlockGemmPipelineVersionE0EDF16_DF16_Lb0ELb0ELb0ELi0ELb0EEELb1ELNS_25InMemoryDataOperationEnumE0ELi2ELNS_10TailNumberE10EEEvNT_8ArgumentE.has_indirect_call, or(0, .L_ZNK2ck31BlockwiseGemmXdlops_pipeline_v1ILNS_26BlockGemmPipelineSchedulerE1ELi64EDF16_NS_9f8_fnuz_tEDF16_fNS_16TensorDescriptorINS_5TupleIJNS_5EmbedINS4_IJNS_17integral_constantIiLi32EEES7_NS6_IiLi8EEEEEENS4_IJS8_NS6_IiLi256EEENS6_IiLi1EEEEEELb0EEENS_3XorINS4_IJS7_S7_EEELb1EEENS_11PassThroughIS8_EENS_7UnMergeINS4_IJS7_SB_EEELb0EEENSH_IS7_EESI_SM_NS_21Merge_v3_division_modISK_EESI_EEENS4_IJNS_8SequenceIJLi0EEEENSQ_IJLi2ELi1EEEENSQ_IJLi3EEEENSQ_IJLi5EEEENSQ_IJLi4EEEENSQ_IJLi6EEEENSQ_IJLi7EEEENSQ_IJLi9ELi8EEEENSQ_IJLi10EEEEEEENS4_IJNSQ_IJLi1ELi2ELi3EEEENSQ_IJLi4ELi5EEEESW_NSQ_IJLi7ELi8EEEENSQ_IJLi9EEEESZ_NSQ_IJLi11EEEENSQ_IJLi12EEEENSQ_IJLi13EEEEEEENSQ_IJLi11ELi12ELi13EEEENS6_IlLl8192EEEEENS3_INS4_IJNS5_INS4_IJNS6_IiLi16EEES7_S1C_EEENS4_IJS1C_SA_SB_EEELb0EEENSE_INS4_IJS7_S1C_EEELb1EEENSH_IS1C_EENSJ_INS4_IJS1C_SB_EEELb0EEESM_S1I_S1I_SO_S1I_EEES10_S18_S19_S1A_EENS3_INS4_IJSD_SG_SI_SL_SM_SI_SM_SO_SI_NSN_INS4_IJS7_S8_EEEEENSJ_INS4_IJNS6_IiLi2EEESB_S1C_EEELb0EEEEEENS4_IJSR_SS_ST_SU_SV_SW_SX_SY_SZ_NSQ_IJLi11ELi13EEEES16_EEENS4_IJS11_S12_SW_S13_S14_SZ_S15_S16_S17_NSQ_IJLi14EEEENSQ_IJLi15ELi16ELi17EEEEEEENSQ_IJLi15ELi16ELi17ELi14EEEES1A_EENS3_INS4_IJS1F_S1H_S1I_S1K_SM_S1I_S1I_SO_S1I_NSN_INS4_IJS1C_S1C_EEEEENSJ_INS4_IJSB_S1P_S1C_EEELb0EEEEEES1U_S1X_S1Y_S1A_EELi8ELi16ELi32ELi32ELi256ELi16ELi16ELi2ELi1ELi16ELb1EE3RunILb1ELNS_10TailNumberE10ENS3_INS4_IJNS5_INS4_IJiiEEENS4_IJiSB_EEELb0EEENSJ_IS29_Lb0EEENSH_IiEEEEENS4_IJSR_NSQ_IJLi2EEEENSQ_IJLi1EEEEEEENS4_IJNSQ_IJLi1ELi2EEEENSQ_IJLi3ELi4EEEESU_EEENSQ_IJLi3ELi5ELi4EEEElEES1B_NS_35ThreadGroupTensorSliceTransfer_v4r1INS_15ThisThreadBlockILi64EEENS_16tensor_operation12element_wise11PassThroughES2S_LNS_25InMemoryDataOperationEnumE0ENSQ_IJLi32ELi32ELi8EEEENSQ_IJLi32ELi2ELi1EEEENSQ_IJLi1ELi0ELi2EEEEDF16_DF16_RKS2M_KS1B_S2W_NSQ_IJLi0ELi1ELi2EEEELi2ELi2ELi8ELi8ELi1ELi1ELb0ELb1ELi1EiEENS_13DynamicBufferILNS_16AddressSpaceEnumE1EKDF16_lLb1ELNS_22AmdBufferCoherenceEnumE0EiEENS32_ILS33_2EDF16_S1A_Lb1ELS35_0EiEENS4_IJiiiEEES2M_S1M_NS2N_IS2P_S2S_S2S_LS2T_0ENSQ_IJLi16ELi32ELi16EEEENSQ_IJLi16ELi4ELi1EEEES2W_S2_S2_S2Y_KS1M_S2W_S30_Li2ELi2ELi16ELi16ELi1ELi1ELb0ELb1ELi1EiEENS32_ILS33_1EKS2_lLb1ELS35_0EiEENS32_ILS33_2ES2_S1A_Lb1ELS35_0EiEES38_NS_25StaticBufferTupleOfVectorILS33_4EfLi2ELi8ELb1ELb0EEEEEvRKT1_RKT2_RT3_RKT4_RT5_RKT6_RKT7_RKT8_RT9_RKT10_RT11_RKT12_RT13_i.has_indirect_call)
	.section	.AMDGPU.csdata,"",@progbits
; Kernel info:
; codeLenInByte = 3896
; TotalNumSgprs: 38
; NumVgprs: 248
; ScratchSize: 2192
; MemoryBound: 0
; FloatMode: 240
; IeeeMode: 1
; LDSByteSize: 24576 bytes/workgroup (compile time only)
; SGPRBlocks: 0
; VGPRBlocks: 30
; NumSGPRsForWavesPerEU: 38
; NumVGPRsForWavesPerEU: 248
; Occupancy: 3
; WaveLimiterHint : 1
; COMPUTE_PGM_RSRC2:SCRATCH_EN: 1
; COMPUTE_PGM_RSRC2:USER_SGPR: 2
; COMPUTE_PGM_RSRC2:TRAP_HANDLER: 0
; COMPUTE_PGM_RSRC2:TGID_X_EN: 1
; COMPUTE_PGM_RSRC2:TGID_Y_EN: 0
; COMPUTE_PGM_RSRC2:TGID_Z_EN: 1
; COMPUTE_PGM_RSRC2:TIDIG_COMP_CNT: 0
	.section	.text._ZN2ck27kernel_gemm_xdl_cshuffle_v3INS_28GridwiseGemm_xdl_cshuffle_v3INS_13tensor_layout4gemm8RowMajorENS3_11ColumnMajorES4_DF16_NS_9f8_fnuz_tEfDF16_DF16_NS_16tensor_operation12element_wise11PassThroughES9_S9_LNS7_6device18GemmSpecializationE0ELi64ELi32ELi32ELi256ELi8ELi16ELi16ELi16ELi2ELi1ENS_8SequenceIJLi32ELi2ELi1EEEENSC_IJLi1ELi0ELi2EEEESE_Li2ELi8ELi8ELb0ELi0ENSC_IJLi16ELi4ELi1EEEESE_SE_Li2ELi16ELi16ELb0ELi0ELi1ELi1ENSC_IJLi1ELi16ELi1ELi4EEEELi4ELNS_26BlockGemmPipelineSchedulerE1ELNS_24BlockGemmPipelineVersionE0EDF16_DF16_Lb0ELb0ELb0ELi0ELb0EEELb0ELNS_25InMemoryDataOperationEnumE1ELi2ELNS_10TailNumberE10EEEvNT_8ArgumentE,"axG",@progbits,_ZN2ck27kernel_gemm_xdl_cshuffle_v3INS_28GridwiseGemm_xdl_cshuffle_v3INS_13tensor_layout4gemm8RowMajorENS3_11ColumnMajorES4_DF16_NS_9f8_fnuz_tEfDF16_DF16_NS_16tensor_operation12element_wise11PassThroughES9_S9_LNS7_6device18GemmSpecializationE0ELi64ELi32ELi32ELi256ELi8ELi16ELi16ELi16ELi2ELi1ENS_8SequenceIJLi32ELi2ELi1EEEENSC_IJLi1ELi0ELi2EEEESE_Li2ELi8ELi8ELb0ELi0ENSC_IJLi16ELi4ELi1EEEESE_SE_Li2ELi16ELi16ELb0ELi0ELi1ELi1ENSC_IJLi1ELi16ELi1ELi4EEEELi4ELNS_26BlockGemmPipelineSchedulerE1ELNS_24BlockGemmPipelineVersionE0EDF16_DF16_Lb0ELb0ELb0ELi0ELb0EEELb0ELNS_25InMemoryDataOperationEnumE1ELi2ELNS_10TailNumberE10EEEvNT_8ArgumentE,comdat
	.protected	_ZN2ck27kernel_gemm_xdl_cshuffle_v3INS_28GridwiseGemm_xdl_cshuffle_v3INS_13tensor_layout4gemm8RowMajorENS3_11ColumnMajorES4_DF16_NS_9f8_fnuz_tEfDF16_DF16_NS_16tensor_operation12element_wise11PassThroughES9_S9_LNS7_6device18GemmSpecializationE0ELi64ELi32ELi32ELi256ELi8ELi16ELi16ELi16ELi2ELi1ENS_8SequenceIJLi32ELi2ELi1EEEENSC_IJLi1ELi0ELi2EEEESE_Li2ELi8ELi8ELb0ELi0ENSC_IJLi16ELi4ELi1EEEESE_SE_Li2ELi16ELi16ELb0ELi0ELi1ELi1ENSC_IJLi1ELi16ELi1ELi4EEEELi4ELNS_26BlockGemmPipelineSchedulerE1ELNS_24BlockGemmPipelineVersionE0EDF16_DF16_Lb0ELb0ELb0ELi0ELb0EEELb0ELNS_25InMemoryDataOperationEnumE1ELi2ELNS_10TailNumberE10EEEvNT_8ArgumentE ; -- Begin function _ZN2ck27kernel_gemm_xdl_cshuffle_v3INS_28GridwiseGemm_xdl_cshuffle_v3INS_13tensor_layout4gemm8RowMajorENS3_11ColumnMajorES4_DF16_NS_9f8_fnuz_tEfDF16_DF16_NS_16tensor_operation12element_wise11PassThroughES9_S9_LNS7_6device18GemmSpecializationE0ELi64ELi32ELi32ELi256ELi8ELi16ELi16ELi16ELi2ELi1ENS_8SequenceIJLi32ELi2ELi1EEEENSC_IJLi1ELi0ELi2EEEESE_Li2ELi8ELi8ELb0ELi0ENSC_IJLi16ELi4ELi1EEEESE_SE_Li2ELi16ELi16ELb0ELi0ELi1ELi1ENSC_IJLi1ELi16ELi1ELi4EEEELi4ELNS_26BlockGemmPipelineSchedulerE1ELNS_24BlockGemmPipelineVersionE0EDF16_DF16_Lb0ELb0ELb0ELi0ELb0EEELb0ELNS_25InMemoryDataOperationEnumE1ELi2ELNS_10TailNumberE10EEEvNT_8ArgumentE
	.globl	_ZN2ck27kernel_gemm_xdl_cshuffle_v3INS_28GridwiseGemm_xdl_cshuffle_v3INS_13tensor_layout4gemm8RowMajorENS3_11ColumnMajorES4_DF16_NS_9f8_fnuz_tEfDF16_DF16_NS_16tensor_operation12element_wise11PassThroughES9_S9_LNS7_6device18GemmSpecializationE0ELi64ELi32ELi32ELi256ELi8ELi16ELi16ELi16ELi2ELi1ENS_8SequenceIJLi32ELi2ELi1EEEENSC_IJLi1ELi0ELi2EEEESE_Li2ELi8ELi8ELb0ELi0ENSC_IJLi16ELi4ELi1EEEESE_SE_Li2ELi16ELi16ELb0ELi0ELi1ELi1ENSC_IJLi1ELi16ELi1ELi4EEEELi4ELNS_26BlockGemmPipelineSchedulerE1ELNS_24BlockGemmPipelineVersionE0EDF16_DF16_Lb0ELb0ELb0ELi0ELb0EEELb0ELNS_25InMemoryDataOperationEnumE1ELi2ELNS_10TailNumberE10EEEvNT_8ArgumentE
	.p2align	8
	.type	_ZN2ck27kernel_gemm_xdl_cshuffle_v3INS_28GridwiseGemm_xdl_cshuffle_v3INS_13tensor_layout4gemm8RowMajorENS3_11ColumnMajorES4_DF16_NS_9f8_fnuz_tEfDF16_DF16_NS_16tensor_operation12element_wise11PassThroughES9_S9_LNS7_6device18GemmSpecializationE0ELi64ELi32ELi32ELi256ELi8ELi16ELi16ELi16ELi2ELi1ENS_8SequenceIJLi32ELi2ELi1EEEENSC_IJLi1ELi0ELi2EEEESE_Li2ELi8ELi8ELb0ELi0ENSC_IJLi16ELi4ELi1EEEESE_SE_Li2ELi16ELi16ELb0ELi0ELi1ELi1ENSC_IJLi1ELi16ELi1ELi4EEEELi4ELNS_26BlockGemmPipelineSchedulerE1ELNS_24BlockGemmPipelineVersionE0EDF16_DF16_Lb0ELb0ELb0ELi0ELb0EEELb0ELNS_25InMemoryDataOperationEnumE1ELi2ELNS_10TailNumberE10EEEvNT_8ArgumentE,@function
_ZN2ck27kernel_gemm_xdl_cshuffle_v3INS_28GridwiseGemm_xdl_cshuffle_v3INS_13tensor_layout4gemm8RowMajorENS3_11ColumnMajorES4_DF16_NS_9f8_fnuz_tEfDF16_DF16_NS_16tensor_operation12element_wise11PassThroughES9_S9_LNS7_6device18GemmSpecializationE0ELi64ELi32ELi32ELi256ELi8ELi16ELi16ELi16ELi2ELi1ENS_8SequenceIJLi32ELi2ELi1EEEENSC_IJLi1ELi0ELi2EEEESE_Li2ELi8ELi8ELb0ELi0ENSC_IJLi16ELi4ELi1EEEESE_SE_Li2ELi16ELi16ELb0ELi0ELi1ELi1ENSC_IJLi1ELi16ELi1ELi4EEEELi4ELNS_26BlockGemmPipelineSchedulerE1ELNS_24BlockGemmPipelineVersionE0EDF16_DF16_Lb0ELb0ELb0ELi0ELb0EEELb0ELNS_25InMemoryDataOperationEnumE1ELi2ELNS_10TailNumberE10EEEvNT_8ArgumentE: ; @_ZN2ck27kernel_gemm_xdl_cshuffle_v3INS_28GridwiseGemm_xdl_cshuffle_v3INS_13tensor_layout4gemm8RowMajorENS3_11ColumnMajorES4_DF16_NS_9f8_fnuz_tEfDF16_DF16_NS_16tensor_operation12element_wise11PassThroughES9_S9_LNS7_6device18GemmSpecializationE0ELi64ELi32ELi32ELi256ELi8ELi16ELi16ELi16ELi2ELi1ENS_8SequenceIJLi32ELi2ELi1EEEENSC_IJLi1ELi0ELi2EEEESE_Li2ELi8ELi8ELb0ELi0ENSC_IJLi16ELi4ELi1EEEESE_SE_Li2ELi16ELi16ELb0ELi0ELi1ELi1ENSC_IJLi1ELi16ELi1ELi4EEEELi4ELNS_26BlockGemmPipelineSchedulerE1ELNS_24BlockGemmPipelineVersionE0EDF16_DF16_Lb0ELb0ELb0ELi0ELb0EEELb0ELNS_25InMemoryDataOperationEnumE1ELi2ELNS_10TailNumberE10EEEvNT_8ArgumentE
; %bb.0:
	s_clause 0x3
	s_load_b96 s[16:18], s[0:1], 0x20
	s_load_b96 s[20:22], s[0:1], 0x60
	s_load_b128 s[4:7], s[0:1], 0x10
	s_load_b128 s[8:11], s[0:1], 0x50
	s_lshr_b32 s2, ttmp7, 16
	s_mov_b32 s3, ttmp9
	s_wait_kmcnt 0x0
	s_cmp_gt_i32 s18, 1
	s_cselect_b32 s12, -1, 0
	s_bitcmp1_b32 s22, 0
	s_mov_b64 s[22:23], 0
	s_cselect_b32 s13, -1, 0
	s_delay_alu instid0(SALU_CYCLE_1) | instskip(NEXT) | instid1(SALU_CYCLE_1)
	s_and_b32 s12, s12, s13
	s_and_not1_b32 vcc_lo, exec_lo, s12
	s_cbranch_vccnz .LBB10_2
; %bb.1:
	s_mul_i32 s12, s4, s2
	s_delay_alu instid0(SALU_CYCLE_1) | instskip(NEXT) | instid1(SALU_CYCLE_1)
	s_mul_i32 s22, s12, s5
	s_ashr_i32 s23, s22, 31
.LBB10_2:
	s_load_b32 s0, s[0:1], 0x34
	s_add_co_i32 s25, s4, -1
	s_mov_b32 s24, 0
	s_cmp_lt_u32 s25, 32
	s_cbranch_scc1 .LBB10_6
; %bb.3:
	s_add_co_i32 s1, s5, -1
	s_delay_alu instid0(SALU_CYCLE_1)
	s_cmp_lt_u32 s1, 32
	s_mov_b32 s1, 0
	s_cbranch_scc1 .LBB10_10
; %bb.4:
	s_add_co_i32 s1, s4, 31
	s_add_co_i32 s12, s5, 31
	s_ashr_i32 s13, s1, 31
	s_ashr_i32 s14, s12, 31
	s_lshr_b32 s13, s13, 27
	s_lshr_b32 s14, s14, 27
	s_add_co_i32 s1, s1, s13
	s_add_co_i32 s13, s12, s14
	s_ashr_i32 s12, s1, 5
	s_ashr_i32 s1, s13, 5
	;; [unrolled: 1-line block ×3, first 2 shown]
	s_mul_i32 s13, s1, s12
	s_delay_alu instid0(SALU_CYCLE_1) | instskip(NEXT) | instid1(SALU_CYCLE_1)
	s_add_co_i32 s14, s13, 7
	s_ashr_i32 s15, s14, 31
	s_delay_alu instid0(SALU_CYCLE_1) | instskip(NEXT) | instid1(SALU_CYCLE_1)
	s_lshr_b32 s15, s15, 29
	s_add_co_i32 s15, s14, s15
	s_lshr_b32 s14, s19, 29
	s_and_b32 s26, s15, -8
	s_add_co_i32 s19, s3, s14
	s_sub_co_i32 s13, s13, s26
	s_and_b32 s14, s19, -8
	s_add_co_i32 s13, s13, 8
	s_sub_co_i32 s14, s3, s14
	s_ashr_i32 s15, s15, 3
	s_cmp_gt_i32 s14, s13
	s_cbranch_scc1 .LBB10_7
; %bb.5:
	s_mul_i32 s3, s15, s14
	s_ashr_i32 s19, s19, 3
	s_cbranch_execz .LBB10_8
	s_branch .LBB10_9
.LBB10_6:
	s_mov_b32 s19, s24
	s_branch .LBB10_11
.LBB10_7:
                                        ; implicit-def: $sgpr3
	s_ashr_i32 s19, s19, 3
.LBB10_8:
	s_add_co_i32 s3, s15, -1
	s_delay_alu instid0(SALU_CYCLE_1) | instskip(NEXT) | instid1(SALU_CYCLE_1)
	s_mul_i32 s3, s3, s14
	s_add_co_i32 s3, s13, s3
.LBB10_9:
	s_abs_i32 s13, s1
	s_add_co_i32 s3, s3, s19
	s_cvt_f32_u32 s14, s13
	s_sub_co_i32 s15, 0, s13
	s_abs_i32 s19, s3
	s_delay_alu instid0(SALU_CYCLE_1) | instskip(NEXT) | instid1(TRANS32_DEP_1)
	v_rcp_iflag_f32_e32 v1, s14
	v_readfirstlane_b32 s14, v1
	s_mul_f32 s14, s14, 0x4f7ffffe
	s_wait_alu 0xfffe
	s_delay_alu instid0(SALU_CYCLE_2) | instskip(SKIP_1) | instid1(SALU_CYCLE_2)
	s_cvt_u32_f32 s14, s14
	s_wait_alu 0xfffe
	s_mul_i32 s15, s15, s14
	s_wait_alu 0xfffe
	s_mul_hi_u32 s15, s14, s15
	s_wait_alu 0xfffe
	s_add_co_i32 s14, s14, s15
	s_xor_b32 s15, s3, s1
	s_wait_alu 0xfffe
	s_mul_hi_u32 s14, s19, s14
	s_ashr_i32 s15, s15, 31
	s_wait_alu 0xfffe
	s_mul_i32 s26, s14, s13
	s_delay_alu instid0(SALU_CYCLE_1)
	s_sub_co_i32 s19, s19, s26
	s_add_co_i32 s26, s14, 1
	s_sub_co_i32 s27, s19, s13
	s_cmp_ge_u32 s19, s13
	s_cselect_b32 s14, s26, s14
	s_cselect_b32 s19, s27, s19
	s_wait_alu 0xfffe
	s_add_co_i32 s26, s14, 1
	s_cmp_ge_u32 s19, s13
	s_cselect_b32 s13, s26, s14
	s_lshr_b32 s14, s12, 30
	s_xor_b32 s13, s13, s15
	s_wait_alu 0xfffe
	s_add_co_i32 s14, s12, s14
	s_sub_co_i32 s13, s13, s15
	s_wait_alu 0xfffe
	s_and_b32 s14, s14, -4
	s_mul_i32 s15, s13, s1
	s_wait_alu 0xfffe
	s_sub_co_i32 s12, s12, s14
	s_sub_co_i32 s3, s3, s15
	s_cmp_ge_i32 s13, s14
	s_cselect_b32 s12, s12, 4
	s_ashr_i32 s19, s13, 31
	s_abs_i32 s14, s12
	s_lshr_b32 s19, s19, 30
	s_wait_alu 0xfffe
	s_cvt_f32_u32 s15, s14
	s_add_co_i32 s19, s13, s19
	s_sub_co_i32 s26, 0, s14
	s_and_b32 s19, s19, -4
	s_wait_alu 0xfffe
	v_rcp_iflag_f32_e32 v1, s15
	s_sub_co_i32 s19, s13, s19
	s_delay_alu instid0(SALU_CYCLE_1) | instskip(NEXT) | instid1(SALU_CYCLE_1)
	s_mul_i32 s1, s19, s1
	s_add_co_i32 s3, s1, s3
	s_delay_alu instid0(TRANS32_DEP_1) | instskip(SKIP_2) | instid1(SALU_CYCLE_2)
	v_readfirstlane_b32 s15, v1
	s_mul_f32 s15, s15, 0x4f7ffffe
	s_wait_alu 0xfffe
	s_cvt_u32_f32 s15, s15
	s_wait_alu 0xfffe
	s_delay_alu instid0(SALU_CYCLE_2) | instskip(NEXT) | instid1(SALU_CYCLE_1)
	s_mul_i32 s26, s26, s15
	s_mul_hi_u32 s1, s15, s26
	s_abs_i32 s26, s3
	s_add_co_i32 s15, s15, s1
	s_wait_alu 0xfffe
	s_mul_hi_u32 s1, s26, s15
	s_xor_b32 s15, s3, s12
	s_mul_i32 s27, s1, s14
	s_wait_alu 0xfffe
	s_ashr_i32 s15, s15, 31
	s_sub_co_i32 s26, s26, s27
	s_add_co_i32 s27, s1, 1
	s_sub_co_i32 s28, s26, s14
	s_cmp_ge_u32 s26, s14
	s_cselect_b32 s1, s27, s1
	s_cselect_b32 s26, s28, s26
	s_add_co_i32 s27, s1, 1
	s_cmp_ge_u32 s26, s14
	s_cselect_b32 s1, s27, s1
	s_wait_alu 0xfffe
	s_xor_b32 s1, s1, s15
	s_delay_alu instid0(SALU_CYCLE_1) | instskip(NEXT) | instid1(SALU_CYCLE_1)
	s_sub_co_i32 s1, s1, s15
	s_mul_i32 s12, s1, s12
	s_delay_alu instid0(SALU_CYCLE_1) | instskip(NEXT) | instid1(SALU_CYCLE_1)
	s_sub_co_i32 s3, s3, s12
	s_add_co_i32 s3, s3, s13
	s_delay_alu instid0(SALU_CYCLE_1)
	s_sub_co_i32 s3, s3, s19
.LBB10_10:
	s_delay_alu instid0(SALU_CYCLE_1)
	s_mov_b32 s19, s3
	s_mov_b32 s3, s1
.LBB10_11:
	v_lshrrev_b32_e32 v99, 1, v0
	v_and_b32_e32 v100, 31, v0
	s_add_co_i32 s1, s18, -1
	s_wait_kmcnt 0x0
	s_mul_i32 s12, s0, s2
	s_mul_i32 s13, s1, s0
	v_and_b32_e32 v2, 16, v99
	s_sub_co_i32 s6, s6, s13
	s_cmp_lt_u32 s2, s1
	s_mov_b32 s14, s7
	s_cselect_b32 s29, s0, s6
	v_lshl_or_b32 v1, s19, 5, v2
	v_cmp_eq_u32_e32 vcc_lo, 0, v2
	s_lshl_b32 s6, s3, 5
	s_mov_b32 s15, s24
	s_mov_b32 s26, s16
	v_mul_lo_u32 v1, v1, s7
	s_mov_b32 s27, s24
	s_mov_b32 s0, s24
	s_ashr_i32 s13, s12, 31
	s_add_co_i32 s1, s5, -1
	s_mov_b32 s28, s24
	s_wait_alu 0xfffe
	s_mul_u64 s[30:31], s[24:25], s[14:15]
	s_lshl_b64 s[34:35], s[12:13], 1
	v_lshl_add_u32 v3, v100, 3, v1
	v_and_b32_e32 v1, 15, v0
	v_and_b32_e32 v161, 24, v99
	s_add_nc_u64 s[12:13], s[10:11], s[12:13]
	s_mul_u64 s[10:11], s[0:1], s[26:27]
	v_add_nc_u32_e32 v4, s7, v3
	v_lshlrev_b32_e32 v3, 1, v3
	v_or_b32_e32 v5, s6, v161
	s_mov_b32 s3, 0x31004000
	s_add_co_i32 s2, s29, s31
	v_add_nc_u32_e32 v11, s7, v4
	s_add_nc_u64 s[0:1], s[8:9], s[34:35]
	v_mul_lo_u32 v5, v5, s16
	s_add_nc_u64 s[8:9], s[28:29], s[10:11]
	v_lshlrev_b32_e32 v7, 1, v4
	v_add_nc_u32_e32 v12, s7, v11
	v_lshlrev_b32_e32 v11, 1, v11
	s_mov_b32 s15, s3
	s_lshl_b32 s2, s2, 1
	s_and_b32 s13, s13, 0xffff
	v_add_nc_u32_e32 v13, s7, v12
	v_lshl_add_u32 v67, v1, 4, v5
	v_lshlrev_b32_e32 v15, 1, v12
	s_and_b32 s1, s1, 0xffff
	s_mov_b32 s14, s9
	v_add_nc_u32_e32 v14, s7, v13
	v_add_nc_u32_e32 v71, s16, v67
	v_lshlrev_b32_e32 v19, 1, v13
	s_clause 0x1
	buffer_load_b128 v[3:6], v3, s[0:3], null offen
	buffer_load_b128 v[7:10], v7, s[0:3], null offen
	v_and_b32_e32 v99, 8, v99
	v_add_nc_u32_e32 v27, s7, v14
	v_add_nc_u32_e32 v75, s16, v71
	v_lshlrev_b32_e32 v23, 1, v14
	s_clause 0x3
	buffer_load_b128 v[11:14], v11, s[0:3], null offen
	buffer_load_b128 v[15:18], v15, s[0:3], null offen
	;; [unrolled: 1-line block ×4, first 2 shown]
	v_add_nc_u32_e32 v28, s7, v27
	v_add_nc_u32_e32 v79, s16, v75
	v_lshlrev_b32_e32 v27, 1, v27
	v_xor_b32_e32 v101, v2, v100
	v_lshlrev_b32_e32 v102, 8, v2
	v_add_nc_u32_e32 v29, s7, v28
	v_add_nc_u32_e32 v83, s16, v79
	v_lshlrev_b32_e32 v31, 1, v28
	v_or_b32_e32 v105, 1, v2
	v_or_b32_e32 v106, 2, v2
	v_add_nc_u32_e32 v30, s7, v29
	v_add_nc_u32_e32 v87, s16, v83
	v_lshlrev_b32_e32 v35, 1, v29
	v_or_b32_e32 v107, 3, v2
	v_or_b32_e32 v108, 4, v2
	v_add_nc_u32_e32 v43, s7, v30
	v_add_nc_u32_e32 v91, s16, v87
	v_lshlrev_b32_e32 v39, 1, v30
	s_clause 0x3
	buffer_load_b128 v[27:30], v27, s[0:3], null offen
	buffer_load_b128 v[31:34], v31, s[0:3], null offen
	;; [unrolled: 1-line block ×4, first 2 shown]
	v_add_nc_u32_e32 v44, s7, v43
	v_lshlrev_b32_e32 v43, 1, v43
	v_add_nc_u32_e32 v95, s16, v91
	v_or_b32_e32 v109, 5, v2
	v_or_b32_e32 v110, 6, v2
	v_add_nc_u32_e32 v45, s7, v44
	v_lshlrev_b32_e32 v48, 1, v44
	v_or_b32_e32 v111, 7, v2
	v_or_b32_e32 v112, 8, v2
	v_or_b32_e32 v113, 9, v2
	v_add_nc_u32_e32 v46, s7, v45
	v_lshlrev_b32_e32 v51, 1, v45
	v_or_b32_e32 v114, 10, v2
	;; [unrolled: 5-line block ×3, first 2 shown]
	v_or_b32_e32 v118, 14, v2
	v_or_b32_e32 v119, 15, v2
	v_lshlrev_b32_e32 v59, 1, v47
	v_add_lshl_u32 v63, v47, s7, 1
	s_clause 0x5
	buffer_load_b128 v[43:46], v43, s[0:3], null offen
	buffer_load_b128 v[47:50], v48, s[0:3], null offen
	;; [unrolled: 1-line block ×6, first 2 shown]
	s_clause 0x7
	buffer_load_b128 v[67:70], v67, s[12:15], null offen
	buffer_load_b128 v[71:74], v71, s[12:15], null offen
	;; [unrolled: 1-line block ×8, first 2 shown]
	v_or_b32_e32 v120, 1, v99
	v_or_b32_e32 v121, 2, v99
	;; [unrolled: 1-line block ×6, first 2 shown]
	v_lshl_or_b32 v102, v101, 3, v102
	v_xor_b32_e32 v105, v105, v100
	v_xor_b32_e32 v106, v106, v100
	;; [unrolled: 1-line block ×3, first 2 shown]
	v_lshlrev_b32_e32 v104, 8, v161
	v_xor_b32_e32 v107, v107, v100
	v_xor_b32_e32 v108, v108, v100
	;; [unrolled: 1-line block ×19, first 2 shown]
	v_lshlrev_b32_e32 v125, 1, v102
	v_sub_nc_u32_e32 v101, v105, v101
	v_sub_nc_u32_e32 v105, v106, v105
	v_or_b32_e32 v99, 7, v99
	v_lshl_or_b32 v104, v103, 4, v104
	v_sub_nc_u32_e32 v106, v107, v106
	v_sub_nc_u32_e32 v107, v108, v107
	;; [unrolled: 1-line block ×16, first 2 shown]
	v_lshl_add_u32 v120, v101, 4, v125
	v_lshlrev_b32_e32 v126, 4, v105
	v_xor_b32_e32 v99, v99, v1
	v_lshlrev_b32_e32 v127, 4, v106
	v_sub_nc_u32_e32 v121, v122, v121
	v_sub_nc_u32_e32 v122, v123, v122
	v_add3_u32 v126, 0x200, v120, v126
	v_sub_nc_u32_e32 v123, v124, v123
	v_sub_nc_u32_e32 v99, v99, v124
	v_lshlrev_b32_e32 v124, 4, v107
	v_lshlrev_b32_e32 v128, 3, v108
	v_add3_u32 v127, 0x200, v126, v127
	v_lshlrev_b32_e32 v108, 4, v108
	v_lshlrev_b32_e32 v129, 3, v109
	v_lshlrev_b32_e32 v109, 4, v109
	v_lshlrev_b32_e32 v101, 3, v101
	v_add3_u32 v124, 0x200, v127, v124
	v_lshlrev_b32_e32 v105, 3, v105
	v_lshlrev_b32_e32 v130, 3, v110
	;; [unrolled: 5-line block ×3, first 2 shown]
	v_lshlrev_b32_e32 v111, 4, v111
	v_add3_u32 v101, v101, v102, v105
	v_add3_u32 v109, 0x200, v108, v109
	v_lshl_add_u32 v103, v103, 4, v104
	v_lshlrev_b32_e32 v132, 3, v112
	v_lshlrev_b32_e32 v133, 3, v113
	v_add3_u32 v101, v101, v106, v107
	v_add3_u32 v102, 0x200, v109, v110
	v_lshlrev_b32_e32 v110, 4, v112
	v_lshlrev_b32_e32 v107, 4, v113
	v_lshl_add_u32 v112, v118, 4, v103
	v_add3_u32 v101, v101, v128, v129
	v_add3_u32 v106, 0x200, v102, v111
	v_lshlrev_b32_e32 v111, 4, v119
	v_lshlrev_b32_e32 v134, 3, v114
	;; [unrolled: 1-line block ×4, first 2 shown]
	v_add3_u32 v110, 0x200, v106, v110
	v_add3_u32 v111, 0x100, v112, v111
	;; [unrolled: 1-line block ×3, first 2 shown]
	v_lshlrev_b32_e32 v135, 3, v115
	v_lshlrev_b32_e32 v115, 4, v115
	v_add3_u32 v107, 0x200, v110, v107
	v_lshlrev_b32_e32 v118, 4, v122
	v_add3_u32 v114, 0x100, v111, v114
	v_add3_u32 v101, v101, v132, v133
	v_lshlrev_b32_e32 v136, 3, v116
	v_add3_u32 v113, 0x200, v107, v113
	v_lshlrev_b32_e32 v105, 3, v117
	v_lshlrev_b32_e32 v116, 4, v116
	;; [unrolled: 1-line block ×3, first 2 shown]
	v_add3_u32 v118, 0x100, v114, v118
	v_add3_u32 v101, v101, v134, v135
	;; [unrolled: 1-line block ×3, first 2 shown]
	v_lshlrev_b32_e32 v100, 4, v100
	v_lshlrev_b32_e32 v117, 4, v117
	v_add3_u32 v119, 0x100, v118, v119
	v_add3_u32 v101, v101, v136, v105
	;; [unrolled: 1-line block ×3, first 2 shown]
	s_mov_b32 s0, 0
	s_mov_b32 s1, exec_lo
	v_lshl_add_u32 v99, v99, 4, v119
	v_lshl_add_u32 v100, v101, 1, v100
	v_add3_u32 v101, 0x200, v105, v117
	s_wait_loadcnt 0x17
	ds_store_b128 v125, v[3:6]
	s_wait_loadcnt 0x16
	ds_store_b128 v120, v[7:10] offset:512
	s_wait_loadcnt 0x15
	ds_store_b128 v126, v[11:14] offset:512
	;; [unrolled: 2-line block ×23, first 2 shown]
	v_lshlrev_b32_e32 v4, 3, v0
	v_lshlrev_b32_e32 v5, 9, v1
	s_wait_dscnt 0x0
	s_barrier_signal -1
	s_barrier_wait -1
	v_and_b32_e32 v4, 0x80, v4
	v_or_b32_e32 v3, v2, v1
	s_delay_alu instid0(VALU_DEP_2)
	v_lshrrev_b32_e32 v7, 3, v4
	v_or_b32_e32 v9, 16, v4
	v_or_b32_e32 v10, 32, v4
	;; [unrolled: 1-line block ×6, first 2 shown]
	v_lshrrev_b32_e32 v15, 3, v9
	v_or_b32_e32 v13, v1, v7
	v_or_b32_e32 v18, 5, v7
	v_xor_b32_e32 v20, v14, v1
	v_xor_b32_e32 v22, v16, v1
	;; [unrolled: 1-line block ×3, first 2 shown]
	v_lshl_or_b32 v5, v13, 4, v5
	v_xor_b32_e32 v24, v18, v1
	v_sub_nc_u32_e32 v20, v20, v13
	v_sub_nc_u32_e32 v22, v22, v13
	;; [unrolled: 1-line block ×3, first 2 shown]
	v_lshrrev_b32_e32 v17, 3, v10
	v_lshrrev_b32_e32 v19, 3, v11
	v_lshl_add_u32 v20, v20, 4, v5
	v_lshl_add_u32 v22, v22, 4, v5
	;; [unrolled: 1-line block ×3, first 2 shown]
	ds_load_b128 v[57:60], v20
	ds_load_b128 v[29:32], v21
	v_sub_nc_u32_e32 v20, v24, v13
	ds_load_b128 v[24:27], v22
	v_xor_b32_e32 v23, v17, v1
	v_xor_b32_e32 v21, v19, v1
	v_or_b32_e32 v65, 7, v7
	v_lshl_add_u32 v20, v20, 4, v5
	v_lshrrev_b32_e32 v66, 3, v12
	v_sub_nc_u32_e32 v23, v23, v13
	v_sub_nc_u32_e32 v21, v21, v13
	v_or_b32_e32 v67, 9, v7
	v_or_b32_e32 v53, 0x50, v4
	v_or_b32_e32 v70, 0x60, v4
	v_lshl_add_u32 v23, v23, 4, v5
	v_lshl_add_u32 v21, v21, 4, v5
	v_lshrrev_b32_e32 v8, 4, v4
	v_lshrrev_b32_e32 v68, 3, v53
	v_or_b32_e32 v69, 11, v7
	v_lshrrev_b32_e32 v71, 3, v70
	v_or_b32_e32 v4, 0x70, v4
	v_or_b32_e32 v72, 13, v7
	v_lshlrev_b32_e32 v6, 8, v3
	s_wait_dscnt 0x0
	scratch_store_b128 off, v[24:27], off offset:64 ; 16-byte Folded Spill
	ds_load_b128 v[22:25], v23
	v_lshrrev_b32_e32 v73, 3, v4
	v_add_nc_u32_e32 v3, -16, v3
	v_or_b32_e32 v74, 15, v7
	v_lshrrev_b32_e32 v9, 4, v9
	v_lshrrev_b32_e32 v10, 4, v10
	;; [unrolled: 1-line block ×3, first 2 shown]
	v_cndmask_b32_e32 v2, v3, v1, vcc_lo
	v_xor_b32_e32 v8, v8, v1
	v_lshrrev_b32_e32 v12, 4, v12
	v_lshrrev_b32_e32 v4, 4, v4
	s_delay_alu instid0(VALU_DEP_4) | instskip(SKIP_3) | instid1(VALU_DEP_4)
	v_xor_b32_e32 v9, v2, v9
	v_xor_b32_e32 v10, v2, v10
	;; [unrolled: 1-line block ×3, first 2 shown]
	v_lshl_or_b32 v6, v8, 4, v6
	v_sub_nc_u32_e32 v9, v9, v8
	s_delay_alu instid0(VALU_DEP_4) | instskip(NEXT) | instid1(VALU_DEP_4)
	v_sub_nc_u32_e32 v10, v10, v8
	v_sub_nc_u32_e32 v11, v11, v8
	s_wait_dscnt 0x0
	scratch_store_b128 off, v[22:25], off   ; 16-byte Folded Spill
	ds_load_b128 v[33:36], v20
	ds_load_b128 v[25:28], v21
	v_xor_b32_e32 v22, v65, v1
	v_xor_b32_e32 v23, v66, v1
	;; [unrolled: 1-line block ×3, first 2 shown]
	v_lshl_add_u32 v9, v9, 4, v6
	s_delay_alu instid0(VALU_DEP_4) | instskip(NEXT) | instid1(VALU_DEP_4)
	v_sub_nc_u32_e32 v22, v22, v13
	v_sub_nc_u32_e32 v23, v23, v13
	s_delay_alu instid0(VALU_DEP_2)
	v_lshl_add_u32 v20, v22, 4, v5
	s_wait_dscnt 0x0
	scratch_store_b128 off, v[25:28], off offset:32 ; 16-byte Folded Spill
	v_lshl_add_u32 v25, v23, 4, v5
	v_sub_nc_u32_e32 v26, v24, v13
	ds_load_b128 v[21:24], v20
	ds_load_b128 v[37:40], v25
	v_xor_b32_e32 v27, v68, v1
	v_lshl_add_u32 v26, v26, 4, v5
	v_xor_b32_e32 v25, v69, v1
	v_xor_b32_e32 v28, v74, v1
	s_delay_alu instid0(VALU_DEP_4) | instskip(SKIP_1) | instid1(VALU_DEP_4)
	v_sub_nc_u32_e32 v20, v27, v13
	v_xor_b32_e32 v27, v71, v1
	v_sub_nc_u32_e32 v25, v25, v13
	s_delay_alu instid0(VALU_DEP_4) | instskip(NEXT) | instid1(VALU_DEP_4)
	v_sub_nc_u32_e32 v54, v28, v13
	v_lshl_add_u32 v20, v20, 4, v5
	s_delay_alu instid0(VALU_DEP_3)
	v_lshl_add_u32 v25, v25, 4, v5
	s_wait_dscnt 0x0
	scratch_store_b128 off, v[37:40], off offset:16 ; 16-byte Folded Spill
	ds_load_b128 v[41:44], v26
	ds_load_b128 v[37:40], v20
	v_xor_b32_e32 v26, v72, v1
	v_sub_nc_u32_e32 v20, v27, v13
	v_xor_b32_e32 v27, v73, v1
	v_or_b32_e32 v1, 16, v1
	s_delay_alu instid0(VALU_DEP_4) | instskip(NEXT) | instid1(VALU_DEP_4)
	v_sub_nc_u32_e32 v26, v26, v13
	v_lshl_add_u32 v20, v20, 4, v5
	s_delay_alu instid0(VALU_DEP_4) | instskip(NEXT) | instid1(VALU_DEP_4)
	v_sub_nc_u32_e32 v27, v27, v13
	v_xor_b32_e32 v7, v1, v7
	s_delay_alu instid0(VALU_DEP_4)
	v_lshl_add_u32 v3, v26, 4, v5
	s_wait_dscnt 0x0
	scratch_store_b128 off, v[37:40], off offset:48 ; 16-byte Folded Spill
	ds_load_b128 v[49:52], v25
	ds_load_b128 v[37:40], v20
	v_lshl_add_u32 v20, v27, 4, v5
	ds_load_b128 v[45:48], v3
	ds_load_b128 v[25:28], v20
	v_lshl_add_u32 v3, v54, 4, v5
	v_lshrrev_b32_e32 v20, 4, v53
	ds_load_b128 v[61:64], v5
	ds_load_b128 v[157:160], v6 offset:16384
	ds_load_b128 v[53:56], v3
	ds_load_b128 v[153:156], v9 offset:16384
	v_lshl_add_u32 v3, v10, 4, v6
	v_lshl_add_u32 v9, v11, 4, v6
	v_xor_b32_e32 v10, v2, v12
	v_xor_b32_e32 v11, v2, v20
	v_lshrrev_b32_e32 v12, 4, v70
	ds_load_b128 v[149:152], v3 offset:16384
	ds_load_b128 v[145:148], v9 offset:16384
	v_sub_nc_u32_e32 v3, v10, v8
	v_sub_nc_u32_e32 v9, v11, v8
	v_xor_b32_e32 v10, v2, v12
	v_xor_b32_e32 v2, v2, v4
	s_delay_alu instid0(VALU_DEP_4) | instskip(NEXT) | instid1(VALU_DEP_4)
	v_lshl_add_u32 v3, v3, 4, v6
	v_lshl_add_u32 v4, v9, 4, v6
	s_delay_alu instid0(VALU_DEP_4) | instskip(NEXT) | instid1(VALU_DEP_4)
	v_sub_nc_u32_e32 v9, v10, v8
	v_sub_nc_u32_e32 v2, v2, v8
	ds_load_b128 v[141:144], v3 offset:16384
	ds_load_b128 v[137:140], v4 offset:16384
	v_sub_nc_u32_e32 v4, v7, v13
	v_lshl_add_u32 v3, v9, 4, v6
	v_xor_b32_e32 v7, v1, v15
	v_lshl_add_u32 v2, v2, 4, v6
	v_xor_b32_e32 v6, v1, v14
	v_xor_b32_e32 v8, v1, v16
	ds_load_b128 v[133:136], v3 offset:16384
	ds_load_b128 v[129:132], v2 offset:16384
	v_lshl_add_u32 v2, v4, 4, v5
	v_sub_nc_u32_e32 v4, v7, v13
	v_xor_b32_e32 v7, v1, v17
	v_sub_nc_u32_e32 v3, v6, v13
	v_sub_nc_u32_e32 v6, v8, v13
	v_xor_b32_e32 v8, v1, v18
	v_lshl_add_u32 v4, v4, 4, v5
	v_sub_nc_u32_e32 v7, v7, v13
	v_lshl_add_u32 v3, v3, 4, v5
	v_lshl_add_u32 v6, v6, 4, v5
	v_sub_nc_u32_e32 v8, v8, v13
	ds_load_b128 v[125:128], v2 offset:8192
	ds_load_b128 v[121:124], v3 offset:8192
	;; [unrolled: 1-line block ×4, first 2 shown]
	v_lshl_add_u32 v2, v7, 4, v5
	v_xor_b32_e32 v4, v1, v19
	v_lshl_add_u32 v3, v8, 4, v5
	v_xor_b32_e32 v6, v1, v65
	v_xor_b32_e32 v7, v1, v66
	;; [unrolled: 1-line block ×3, first 2 shown]
	ds_load_b128 v[117:120], v2 offset:8192
	ds_load_b128 v[101:104], v3 offset:8192
	v_sub_nc_u32_e32 v2, v4, v13
	v_sub_nc_u32_e32 v3, v6, v13
	;; [unrolled: 1-line block ×4, first 2 shown]
	v_xor_b32_e32 v7, v1, v68
	v_lshl_add_u32 v2, v2, 4, v5
	v_lshl_add_u32 v3, v3, 4, v5
	;; [unrolled: 1-line block ×4, first 2 shown]
	v_sub_nc_u32_e32 v7, v7, v13
	ds_load_b128 v[109:112], v2 offset:8192
	ds_load_b128 v[93:96], v3 offset:8192
	;; [unrolled: 1-line block ×4, first 2 shown]
	v_xor_b32_e32 v3, v1, v69
	v_xor_b32_e32 v4, v1, v71
	;; [unrolled: 1-line block ×3, first 2 shown]
	v_lshl_add_u32 v2, v7, 4, v5
	v_xor_b32_e32 v7, v1, v73
	v_xor_b32_e32 v1, v1, v74
	v_sub_nc_u32_e32 v3, v3, v13
	v_sub_nc_u32_e32 v4, v4, v13
	;; [unrolled: 1-line block ×5, first 2 shown]
	v_lshl_add_u32 v3, v3, 4, v5
	v_lshl_add_u32 v4, v4, 4, v5
	;; [unrolled: 1-line block ×5, first 2 shown]
	ds_load_b128 v[105:108], v2 offset:8192
	ds_load_b128 v[89:92], v3 offset:8192
	;; [unrolled: 1-line block ×6, first 2 shown]
	s_wait_dscnt 0x18
	v_and_b32_e32 v1, 0xff, v157
	s_delay_alu instid0(VALU_DEP_1)
	v_cmpx_lt_i16_e32 0x7f, v1
	s_xor_b32 s1, exec_lo, s1
	s_cbranch_execz .LBB10_15
; %bb.12:
	s_mov_b32 s0, -1
	s_mov_b32 s2, exec_lo
	v_cmpx_eq_u16_e32 0x80, v1
; %bb.13:
	s_xor_b32 s0, exec_lo, -1
; %bb.14:
	s_or_b32 exec_lo, exec_lo, s2
	s_delay_alu instid0(SALU_CYCLE_1)
	s_and_b32 s0, s0, exec_lo
                                        ; implicit-def: $vgpr1
.LBB10_15:
	s_or_saveexec_b32 s1, s1
	v_mov_b32_e32 v163, 0x7f800001
	s_xor_b32 exec_lo, exec_lo, s1
; %bb.16:
	v_cmp_ne_u16_e32 vcc_lo, 0, v1
	v_mov_b32_e32 v163, 0
	s_and_not1_b32 s0, s0, exec_lo
	s_and_b32 s2, vcc_lo, exec_lo
	s_delay_alu instid0(SALU_CYCLE_1)
	s_or_b32 s0, s0, s2
; %bb.17:
	s_or_b32 exec_lo, exec_lo, s1
	v_lshrrev_b32_e32 v187, 24, v160
	v_lshrrev_b32_e32 v186, 16, v160
	v_lshrrev_b32_e32 v184, 8, v160
	v_lshrrev_b32_e32 v181, 24, v159
	v_lshrrev_b32_e32 v180, 16, v159
	v_lshrrev_b32_e32 v178, 8, v159
	v_lshrrev_b32_e32 v175, 24, v158
	v_lshrrev_b32_e32 v174, 16, v158
	v_lshrrev_b32_e32 v172, 8, v158
	v_lshrrev_b32_e32 v169, 24, v157
	v_lshrrev_b32_e32 v168, 16, v157
	v_lshrrev_b32_e32 v166, 8, v157
	s_wait_dscnt 0x16
	v_lshrrev_b32_e32 v211, 24, v156
	v_lshrrev_b32_e32 v210, 16, v156
	v_lshrrev_b32_e32 v208, 8, v156
	v_lshrrev_b32_e32 v205, 24, v155
	v_lshrrev_b32_e32 v204, 16, v155
	v_lshrrev_b32_e32 v202, 8, v155
	v_lshrrev_b32_e32 v199, 24, v154
	v_lshrrev_b32_e32 v198, 16, v154
	v_lshrrev_b32_e32 v196, 8, v154
	v_lshrrev_b32_e32 v193, 24, v153
	v_lshrrev_b32_e32 v192, 16, v153
	v_lshrrev_b32_e32 v190, 8, v153
	s_wait_dscnt 0x15
	;; [unrolled: 13-line block ×7, first 2 shown]
	v_lshrrev_b32_e32 v164, 24, v132
	v_lshrrev_b32_e32 v165, 16, v132
	;; [unrolled: 1-line block ×12, first 2 shown]
	s_and_saveexec_b32 s1, s0
	s_cbranch_execz .LBB10_19
; %bb.18:
	v_lshrrev_b16 v7, 3, v157
	v_lshrrev_b16 v9, 7, v157
	s_delay_alu instid0(VALU_DEP_2) | instskip(NEXT) | instid1(VALU_DEP_1)
	v_and_b32_e32 v7, 15, v7
	v_cmp_eq_u16_e32 vcc_lo, 0, v7
	v_and_b32_e32 v5, 7, v157
	s_delay_alu instid0(VALU_DEP_1) | instskip(NEXT) | instid1(VALU_DEP_1)
	v_clz_i32_u32_e32 v6, v5
	v_min_u32_e32 v6, 32, v6
	s_delay_alu instid0(VALU_DEP_1) | instskip(SKIP_2) | instid1(VALU_DEP_1)
	v_subrev_nc_u32_e32 v8, 28, v6
	v_sub_nc_u32_e32 v6, 29, v6
	s_wait_alu 0xfffd
	v_cndmask_b32_e32 v6, v7, v6, vcc_lo
	s_delay_alu instid0(VALU_DEP_3) | instskip(SKIP_1) | instid1(VALU_DEP_3)
	v_lshlrev_b32_e32 v8, v8, v5
	v_lshlrev_b32_e32 v7, 31, v9
	v_lshl_add_u32 v6, v6, 23, 0x3b800000
	s_delay_alu instid0(VALU_DEP_3) | instskip(NEXT) | instid1(VALU_DEP_1)
	v_and_b32_e32 v8, 7, v8
	v_cndmask_b32_e32 v5, v5, v8, vcc_lo
	s_delay_alu instid0(VALU_DEP_1) | instskip(NEXT) | instid1(VALU_DEP_1)
	v_lshlrev_b32_e32 v5, 20, v5
	v_or3_b32 v163, v7, v6, v5
.LBB10_19:
	s_or_b32 exec_lo, exec_lo, s1
	v_and_b32_e32 v254, 0xff, v166
	s_mov_b32 s0, 0
	s_mov_b32 s1, exec_lo
	s_delay_alu instid0(VALU_DEP_1)
	v_cmpx_lt_i16_e64 0x7f, v254
	s_xor_b32 s1, exec_lo, s1
	s_cbranch_execnz .LBB10_528
; %bb.20:
	s_or_saveexec_b32 s1, s1
	v_mov_b32_e32 v157, 0x7f800001
	s_xor_b32 exec_lo, exec_lo, s1
	s_cbranch_execnz .LBB10_531
.LBB10_21:
	s_or_b32 exec_lo, exec_lo, s1
	s_and_saveexec_b32 s1, s0
	s_cbranch_execz .LBB10_23
.LBB10_22:
	v_and_b32_e32 v5, 7, v166
	v_lshrrev_b16 v7, 3, v166
	v_lshrrev_b16 v9, 7, v166
	s_delay_alu instid0(VALU_DEP_3) | instskip(NEXT) | instid1(VALU_DEP_3)
	v_clz_i32_u32_e32 v6, v5
	v_and_b32_e32 v7, 15, v7
	s_delay_alu instid0(VALU_DEP_2) | instskip(NEXT) | instid1(VALU_DEP_2)
	v_min_u32_e32 v6, 32, v6
	v_cmp_eq_u16_e32 vcc_lo, 0, v7
	s_delay_alu instid0(VALU_DEP_2) | instskip(SKIP_1) | instid1(VALU_DEP_2)
	v_subrev_nc_u32_e32 v8, 28, v6
	v_sub_nc_u32_e32 v6, 29, v6
	v_lshlrev_b32_e32 v8, v8, v5
	s_wait_alu 0xfffd
	s_delay_alu instid0(VALU_DEP_2) | instskip(NEXT) | instid1(VALU_DEP_2)
	v_dual_cndmask_b32 v6, v7, v6 :: v_dual_lshlrev_b32 v7, 31, v9
	v_and_b32_e32 v8, 7, v8
	s_delay_alu instid0(VALU_DEP_2) | instskip(NEXT) | instid1(VALU_DEP_2)
	v_lshl_add_u32 v6, v6, 23, 0x3b800000
	v_cndmask_b32_e32 v5, v5, v8, vcc_lo
	s_delay_alu instid0(VALU_DEP_1) | instskip(NEXT) | instid1(VALU_DEP_1)
	v_lshlrev_b32_e32 v5, 20, v5
	v_or3_b32 v157, v7, v6, v5
.LBB10_23:
	s_or_b32 exec_lo, exec_lo, s1
	v_and_b32_e32 v254, 0xff, v168
	s_mov_b32 s0, 0
	s_mov_b32 s1, exec_lo
	s_delay_alu instid0(VALU_DEP_1)
	v_cmpx_lt_i16_e64 0x7f, v254
	s_xor_b32 s1, exec_lo, s1
	s_cbranch_execnz .LBB10_532
; %bb.24:
	s_or_saveexec_b32 s1, s1
	v_mov_b32_e32 v166, 0x7f800001
	s_xor_b32 exec_lo, exec_lo, s1
	s_cbranch_execnz .LBB10_535
.LBB10_25:
	s_or_b32 exec_lo, exec_lo, s1
	s_and_saveexec_b32 s1, s0
	s_cbranch_execz .LBB10_27
.LBB10_26:
	v_lshrrev_b16 v7, 3, v168
	v_lshrrev_b16 v9, 7, v168
	s_delay_alu instid0(VALU_DEP_2) | instskip(NEXT) | instid1(VALU_DEP_1)
	v_and_b32_e32 v7, 15, v7
	v_cmp_eq_u16_e32 vcc_lo, 0, v7
	v_and_b32_e32 v5, 7, v168
	s_delay_alu instid0(VALU_DEP_1) | instskip(NEXT) | instid1(VALU_DEP_1)
	v_clz_i32_u32_e32 v6, v5
	v_min_u32_e32 v6, 32, v6
	s_delay_alu instid0(VALU_DEP_1) | instskip(SKIP_2) | instid1(VALU_DEP_1)
	v_subrev_nc_u32_e32 v8, 28, v6
	v_sub_nc_u32_e32 v6, 29, v6
	s_wait_alu 0xfffd
	v_cndmask_b32_e32 v6, v7, v6, vcc_lo
	s_delay_alu instid0(VALU_DEP_3) | instskip(SKIP_1) | instid1(VALU_DEP_3)
	v_lshlrev_b32_e32 v8, v8, v5
	v_lshlrev_b32_e32 v7, 31, v9
	v_lshl_add_u32 v6, v6, 23, 0x3b800000
	s_delay_alu instid0(VALU_DEP_3) | instskip(NEXT) | instid1(VALU_DEP_1)
	v_and_b32_e32 v8, 7, v8
	v_cndmask_b32_e32 v5, v5, v8, vcc_lo
	s_delay_alu instid0(VALU_DEP_1) | instskip(NEXT) | instid1(VALU_DEP_1)
	v_lshlrev_b32_e32 v5, 20, v5
	v_or3_b32 v166, v7, v6, v5
.LBB10_27:
	s_or_b32 exec_lo, exec_lo, s1
	s_mov_b32 s1, 0
	s_mov_b32 s0, exec_lo
	v_cmpx_lt_i16_e64 0x7f, v169
	s_xor_b32 s0, exec_lo, s0
	s_cbranch_execnz .LBB10_536
; %bb.28:
	s_or_saveexec_b32 s0, s0
	v_mov_b32_e32 v168, 0x7f800001
	s_xor_b32 exec_lo, exec_lo, s0
	s_cbranch_execnz .LBB10_539
.LBB10_29:
	s_or_b32 exec_lo, exec_lo, s0
	s_and_saveexec_b32 s0, s1
	s_cbranch_execz .LBB10_31
.LBB10_30:
	v_lshrrev_b16 v7, 3, v169
	v_lshrrev_b16 v9, 7, v169
	s_delay_alu instid0(VALU_DEP_2) | instskip(NEXT) | instid1(VALU_DEP_1)
	v_and_b32_e32 v7, 15, v7
	v_cmp_eq_u16_e32 vcc_lo, 0, v7
	v_and_b32_e32 v5, 7, v169
	s_delay_alu instid0(VALU_DEP_1) | instskip(NEXT) | instid1(VALU_DEP_1)
	v_clz_i32_u32_e32 v6, v5
	v_min_u32_e32 v6, 32, v6
	s_delay_alu instid0(VALU_DEP_1) | instskip(SKIP_2) | instid1(VALU_DEP_1)
	v_subrev_nc_u32_e32 v8, 28, v6
	v_sub_nc_u32_e32 v6, 29, v6
	s_wait_alu 0xfffd
	v_cndmask_b32_e32 v6, v7, v6, vcc_lo
	s_delay_alu instid0(VALU_DEP_3) | instskip(SKIP_1) | instid1(VALU_DEP_3)
	v_lshlrev_b32_e32 v8, v8, v5
	v_lshlrev_b32_e32 v7, 31, v9
	v_lshl_add_u32 v6, v6, 23, 0x3b800000
	s_delay_alu instid0(VALU_DEP_3) | instskip(NEXT) | instid1(VALU_DEP_1)
	v_and_b32_e32 v8, 7, v8
	v_cndmask_b32_e32 v5, v5, v8, vcc_lo
	s_delay_alu instid0(VALU_DEP_1) | instskip(NEXT) | instid1(VALU_DEP_1)
	v_lshlrev_b32_e32 v5, 20, v5
	v_or3_b32 v168, v7, v6, v5
.LBB10_31:
	s_or_b32 exec_lo, exec_lo, s0
	v_and_b32_e32 v254, 0xff, v158
	s_mov_b32 s0, 0
	s_mov_b32 s1, exec_lo
	s_delay_alu instid0(VALU_DEP_1)
	v_cmpx_lt_i16_e64 0x7f, v254
	s_xor_b32 s1, exec_lo, s1
	s_cbranch_execnz .LBB10_540
; %bb.32:
	s_or_saveexec_b32 s1, s1
	v_mov_b32_e32 v169, 0x7f800001
	s_xor_b32 exec_lo, exec_lo, s1
	s_cbranch_execnz .LBB10_543
.LBB10_33:
	s_or_b32 exec_lo, exec_lo, s1
	s_and_saveexec_b32 s1, s0
	s_cbranch_execz .LBB10_35
.LBB10_34:
	v_and_b32_e32 v5, 7, v158
	v_lshrrev_b16 v7, 3, v158
	v_lshrrev_b16 v9, 7, v158
	s_delay_alu instid0(VALU_DEP_3) | instskip(NEXT) | instid1(VALU_DEP_3)
	v_clz_i32_u32_e32 v6, v5
	v_and_b32_e32 v7, 15, v7
	s_delay_alu instid0(VALU_DEP_2) | instskip(NEXT) | instid1(VALU_DEP_2)
	v_min_u32_e32 v6, 32, v6
	v_cmp_eq_u16_e32 vcc_lo, 0, v7
	s_delay_alu instid0(VALU_DEP_2) | instskip(SKIP_1) | instid1(VALU_DEP_2)
	v_subrev_nc_u32_e32 v8, 28, v6
	v_sub_nc_u32_e32 v6, 29, v6
	v_lshlrev_b32_e32 v8, v8, v5
	s_wait_alu 0xfffd
	s_delay_alu instid0(VALU_DEP_2) | instskip(NEXT) | instid1(VALU_DEP_2)
	v_dual_cndmask_b32 v6, v7, v6 :: v_dual_lshlrev_b32 v7, 31, v9
	v_and_b32_e32 v8, 7, v8
	s_delay_alu instid0(VALU_DEP_2) | instskip(NEXT) | instid1(VALU_DEP_2)
	v_lshl_add_u32 v6, v6, 23, 0x3b800000
	v_cndmask_b32_e32 v5, v5, v8, vcc_lo
	s_delay_alu instid0(VALU_DEP_1) | instskip(NEXT) | instid1(VALU_DEP_1)
	v_lshlrev_b32_e32 v5, 20, v5
	v_or3_b32 v169, v7, v6, v5
.LBB10_35:
	s_or_b32 exec_lo, exec_lo, s1
	v_and_b32_e32 v254, 0xff, v172
	s_mov_b32 s0, 0
	s_mov_b32 s1, exec_lo
	s_delay_alu instid0(VALU_DEP_1)
	v_cmpx_lt_i16_e64 0x7f, v254
	s_xor_b32 s1, exec_lo, s1
	s_cbranch_execnz .LBB10_544
; %bb.36:
	s_or_saveexec_b32 s1, s1
	v_mov_b32_e32 v158, 0x7f800001
	s_xor_b32 exec_lo, exec_lo, s1
	s_cbranch_execnz .LBB10_547
.LBB10_37:
	s_or_b32 exec_lo, exec_lo, s1
	s_and_saveexec_b32 s1, s0
	s_cbranch_execz .LBB10_39
.LBB10_38:
	v_lshrrev_b16 v7, 3, v172
	v_lshrrev_b16 v9, 7, v172
	s_delay_alu instid0(VALU_DEP_2) | instskip(NEXT) | instid1(VALU_DEP_1)
	v_and_b32_e32 v7, 15, v7
	v_cmp_eq_u16_e32 vcc_lo, 0, v7
	v_and_b32_e32 v5, 7, v172
	s_delay_alu instid0(VALU_DEP_1) | instskip(NEXT) | instid1(VALU_DEP_1)
	v_clz_i32_u32_e32 v6, v5
	v_min_u32_e32 v6, 32, v6
	s_delay_alu instid0(VALU_DEP_1) | instskip(SKIP_2) | instid1(VALU_DEP_1)
	v_subrev_nc_u32_e32 v8, 28, v6
	v_sub_nc_u32_e32 v6, 29, v6
	s_wait_alu 0xfffd
	v_cndmask_b32_e32 v6, v7, v6, vcc_lo
	s_delay_alu instid0(VALU_DEP_3) | instskip(SKIP_1) | instid1(VALU_DEP_3)
	v_lshlrev_b32_e32 v8, v8, v5
	v_lshlrev_b32_e32 v7, 31, v9
	v_lshl_add_u32 v6, v6, 23, 0x3b800000
	s_delay_alu instid0(VALU_DEP_3) | instskip(NEXT) | instid1(VALU_DEP_1)
	v_and_b32_e32 v8, 7, v8
	v_cndmask_b32_e32 v5, v5, v8, vcc_lo
	s_delay_alu instid0(VALU_DEP_1) | instskip(NEXT) | instid1(VALU_DEP_1)
	v_lshlrev_b32_e32 v5, 20, v5
	v_or3_b32 v158, v7, v6, v5
.LBB10_39:
	s_or_b32 exec_lo, exec_lo, s1
	v_and_b32_e32 v254, 0xff, v174
	s_mov_b32 s0, 0
	s_mov_b32 s1, exec_lo
	s_delay_alu instid0(VALU_DEP_1)
	v_cmpx_lt_i16_e64 0x7f, v254
	s_xor_b32 s1, exec_lo, s1
	s_cbranch_execnz .LBB10_548
; %bb.40:
	s_or_saveexec_b32 s1, s1
	v_mov_b32_e32 v172, 0x7f800001
	s_xor_b32 exec_lo, exec_lo, s1
	s_cbranch_execnz .LBB10_551
.LBB10_41:
	s_or_b32 exec_lo, exec_lo, s1
	s_and_saveexec_b32 s1, s0
	s_cbranch_execz .LBB10_43
.LBB10_42:
	v_and_b32_e32 v5, 7, v174
	v_lshrrev_b16 v7, 3, v174
	v_lshrrev_b16 v9, 7, v174
	s_delay_alu instid0(VALU_DEP_3) | instskip(NEXT) | instid1(VALU_DEP_3)
	v_clz_i32_u32_e32 v6, v5
	v_and_b32_e32 v7, 15, v7
	s_delay_alu instid0(VALU_DEP_2) | instskip(NEXT) | instid1(VALU_DEP_2)
	v_min_u32_e32 v6, 32, v6
	v_cmp_eq_u16_e32 vcc_lo, 0, v7
	s_delay_alu instid0(VALU_DEP_2) | instskip(SKIP_1) | instid1(VALU_DEP_2)
	v_subrev_nc_u32_e32 v8, 28, v6
	v_sub_nc_u32_e32 v6, 29, v6
	v_lshlrev_b32_e32 v8, v8, v5
	s_wait_alu 0xfffd
	s_delay_alu instid0(VALU_DEP_2) | instskip(NEXT) | instid1(VALU_DEP_2)
	v_dual_cndmask_b32 v6, v7, v6 :: v_dual_lshlrev_b32 v7, 31, v9
	v_and_b32_e32 v8, 7, v8
	s_delay_alu instid0(VALU_DEP_2) | instskip(NEXT) | instid1(VALU_DEP_2)
	v_lshl_add_u32 v6, v6, 23, 0x3b800000
	v_cndmask_b32_e32 v5, v5, v8, vcc_lo
	s_delay_alu instid0(VALU_DEP_1) | instskip(NEXT) | instid1(VALU_DEP_1)
	v_lshlrev_b32_e32 v5, 20, v5
	v_or3_b32 v172, v7, v6, v5
.LBB10_43:
	s_or_b32 exec_lo, exec_lo, s1
	s_mov_b32 s1, 0
	s_mov_b32 s0, exec_lo
	v_cmpx_lt_i16_e64 0x7f, v175
	s_xor_b32 s0, exec_lo, s0
	s_cbranch_execnz .LBB10_552
; %bb.44:
	s_or_saveexec_b32 s0, s0
	v_mov_b32_e32 v174, 0x7f800001
	s_xor_b32 exec_lo, exec_lo, s0
	s_cbranch_execnz .LBB10_555
.LBB10_45:
	s_or_b32 exec_lo, exec_lo, s0
	s_and_saveexec_b32 s0, s1
	s_cbranch_execz .LBB10_47
.LBB10_46:
	v_lshrrev_b16 v7, 3, v175
	v_lshrrev_b16 v9, 7, v175
	s_delay_alu instid0(VALU_DEP_2) | instskip(NEXT) | instid1(VALU_DEP_1)
	v_and_b32_e32 v7, 15, v7
	v_cmp_eq_u16_e32 vcc_lo, 0, v7
	v_and_b32_e32 v5, 7, v175
	s_delay_alu instid0(VALU_DEP_1) | instskip(NEXT) | instid1(VALU_DEP_1)
	v_clz_i32_u32_e32 v6, v5
	v_min_u32_e32 v6, 32, v6
	s_delay_alu instid0(VALU_DEP_1) | instskip(SKIP_2) | instid1(VALU_DEP_1)
	v_subrev_nc_u32_e32 v8, 28, v6
	v_sub_nc_u32_e32 v6, 29, v6
	s_wait_alu 0xfffd
	v_cndmask_b32_e32 v6, v7, v6, vcc_lo
	s_delay_alu instid0(VALU_DEP_3) | instskip(SKIP_1) | instid1(VALU_DEP_3)
	v_lshlrev_b32_e32 v8, v8, v5
	v_lshlrev_b32_e32 v7, 31, v9
	v_lshl_add_u32 v6, v6, 23, 0x3b800000
	s_delay_alu instid0(VALU_DEP_3) | instskip(NEXT) | instid1(VALU_DEP_1)
	v_and_b32_e32 v8, 7, v8
	v_cndmask_b32_e32 v5, v5, v8, vcc_lo
	s_delay_alu instid0(VALU_DEP_1) | instskip(NEXT) | instid1(VALU_DEP_1)
	v_lshlrev_b32_e32 v5, 20, v5
	v_or3_b32 v174, v7, v6, v5
.LBB10_47:
	s_or_b32 exec_lo, exec_lo, s0
	v_and_b32_e32 v254, 0xff, v159
	s_mov_b32 s0, 0
	s_mov_b32 s1, exec_lo
	s_delay_alu instid0(VALU_DEP_1)
	v_cmpx_lt_i16_e64 0x7f, v254
	s_xor_b32 s1, exec_lo, s1
	s_cbranch_execnz .LBB10_556
; %bb.48:
	s_or_saveexec_b32 s1, s1
	v_mov_b32_e32 v175, 0x7f800001
	s_xor_b32 exec_lo, exec_lo, s1
	s_cbranch_execnz .LBB10_559
.LBB10_49:
	s_or_b32 exec_lo, exec_lo, s1
	s_and_saveexec_b32 s1, s0
	s_cbranch_execz .LBB10_51
.LBB10_50:
	v_lshrrev_b16 v7, 3, v159
	v_lshrrev_b16 v9, 7, v159
	s_delay_alu instid0(VALU_DEP_2) | instskip(NEXT) | instid1(VALU_DEP_1)
	v_and_b32_e32 v7, 15, v7
	v_cmp_eq_u16_e32 vcc_lo, 0, v7
	v_and_b32_e32 v5, 7, v159
	s_delay_alu instid0(VALU_DEP_1) | instskip(NEXT) | instid1(VALU_DEP_1)
	v_clz_i32_u32_e32 v6, v5
	v_min_u32_e32 v6, 32, v6
	s_delay_alu instid0(VALU_DEP_1) | instskip(SKIP_2) | instid1(VALU_DEP_1)
	v_subrev_nc_u32_e32 v8, 28, v6
	v_sub_nc_u32_e32 v6, 29, v6
	s_wait_alu 0xfffd
	v_cndmask_b32_e32 v6, v7, v6, vcc_lo
	s_delay_alu instid0(VALU_DEP_3) | instskip(SKIP_1) | instid1(VALU_DEP_3)
	v_lshlrev_b32_e32 v8, v8, v5
	v_lshlrev_b32_e32 v7, 31, v9
	v_lshl_add_u32 v6, v6, 23, 0x3b800000
	s_delay_alu instid0(VALU_DEP_3) | instskip(NEXT) | instid1(VALU_DEP_1)
	v_and_b32_e32 v8, 7, v8
	v_cndmask_b32_e32 v5, v5, v8, vcc_lo
	s_delay_alu instid0(VALU_DEP_1) | instskip(NEXT) | instid1(VALU_DEP_1)
	v_lshlrev_b32_e32 v5, 20, v5
	v_or3_b32 v175, v7, v6, v5
.LBB10_51:
	s_or_b32 exec_lo, exec_lo, s1
	v_and_b32_e32 v254, 0xff, v178
	s_mov_b32 s0, 0
	s_mov_b32 s1, exec_lo
	s_delay_alu instid0(VALU_DEP_1)
	v_cmpx_lt_i16_e64 0x7f, v254
	s_xor_b32 s1, exec_lo, s1
	s_cbranch_execnz .LBB10_560
; %bb.52:
	s_or_saveexec_b32 s1, s1
	v_mov_b32_e32 v159, 0x7f800001
	s_xor_b32 exec_lo, exec_lo, s1
	s_cbranch_execnz .LBB10_563
.LBB10_53:
	s_or_b32 exec_lo, exec_lo, s1
	s_and_saveexec_b32 s1, s0
	s_cbranch_execz .LBB10_55
.LBB10_54:
	v_and_b32_e32 v5, 7, v178
	v_lshrrev_b16 v7, 3, v178
	v_lshrrev_b16 v9, 7, v178
	s_delay_alu instid0(VALU_DEP_3) | instskip(NEXT) | instid1(VALU_DEP_3)
	v_clz_i32_u32_e32 v6, v5
	v_and_b32_e32 v7, 15, v7
	s_delay_alu instid0(VALU_DEP_2) | instskip(NEXT) | instid1(VALU_DEP_2)
	v_min_u32_e32 v6, 32, v6
	v_cmp_eq_u16_e32 vcc_lo, 0, v7
	s_delay_alu instid0(VALU_DEP_2) | instskip(SKIP_1) | instid1(VALU_DEP_2)
	v_subrev_nc_u32_e32 v8, 28, v6
	v_sub_nc_u32_e32 v6, 29, v6
	v_lshlrev_b32_e32 v8, v8, v5
	s_wait_alu 0xfffd
	s_delay_alu instid0(VALU_DEP_2) | instskip(NEXT) | instid1(VALU_DEP_2)
	v_dual_cndmask_b32 v6, v7, v6 :: v_dual_lshlrev_b32 v7, 31, v9
	v_and_b32_e32 v8, 7, v8
	s_delay_alu instid0(VALU_DEP_2) | instskip(NEXT) | instid1(VALU_DEP_2)
	v_lshl_add_u32 v6, v6, 23, 0x3b800000
	v_cndmask_b32_e32 v5, v5, v8, vcc_lo
	s_delay_alu instid0(VALU_DEP_1) | instskip(NEXT) | instid1(VALU_DEP_1)
	v_lshlrev_b32_e32 v5, 20, v5
	v_or3_b32 v159, v7, v6, v5
.LBB10_55:
	s_or_b32 exec_lo, exec_lo, s1
	v_and_b32_e32 v254, 0xff, v180
	s_mov_b32 s0, 0
	s_mov_b32 s1, exec_lo
	s_delay_alu instid0(VALU_DEP_1)
	v_cmpx_lt_i16_e64 0x7f, v254
	s_xor_b32 s1, exec_lo, s1
	s_cbranch_execnz .LBB10_564
; %bb.56:
	s_or_saveexec_b32 s1, s1
	v_mov_b32_e32 v178, 0x7f800001
	s_xor_b32 exec_lo, exec_lo, s1
	s_cbranch_execnz .LBB10_567
.LBB10_57:
	s_or_b32 exec_lo, exec_lo, s1
	s_and_saveexec_b32 s1, s0
	s_cbranch_execz .LBB10_59
.LBB10_58:
	v_lshrrev_b16 v7, 3, v180
	v_lshrrev_b16 v9, 7, v180
	s_delay_alu instid0(VALU_DEP_2) | instskip(NEXT) | instid1(VALU_DEP_1)
	v_and_b32_e32 v7, 15, v7
	v_cmp_eq_u16_e32 vcc_lo, 0, v7
	v_and_b32_e32 v5, 7, v180
	s_delay_alu instid0(VALU_DEP_1) | instskip(NEXT) | instid1(VALU_DEP_1)
	v_clz_i32_u32_e32 v6, v5
	v_min_u32_e32 v6, 32, v6
	s_delay_alu instid0(VALU_DEP_1) | instskip(SKIP_2) | instid1(VALU_DEP_1)
	v_subrev_nc_u32_e32 v8, 28, v6
	v_sub_nc_u32_e32 v6, 29, v6
	s_wait_alu 0xfffd
	v_cndmask_b32_e32 v6, v7, v6, vcc_lo
	s_delay_alu instid0(VALU_DEP_3) | instskip(SKIP_1) | instid1(VALU_DEP_3)
	v_lshlrev_b32_e32 v8, v8, v5
	v_lshlrev_b32_e32 v7, 31, v9
	v_lshl_add_u32 v6, v6, 23, 0x3b800000
	s_delay_alu instid0(VALU_DEP_3) | instskip(NEXT) | instid1(VALU_DEP_1)
	v_and_b32_e32 v8, 7, v8
	v_cndmask_b32_e32 v5, v5, v8, vcc_lo
	s_delay_alu instid0(VALU_DEP_1) | instskip(NEXT) | instid1(VALU_DEP_1)
	v_lshlrev_b32_e32 v5, 20, v5
	v_or3_b32 v178, v7, v6, v5
.LBB10_59:
	s_or_b32 exec_lo, exec_lo, s1
	s_mov_b32 s1, 0
	s_mov_b32 s0, exec_lo
	v_cmpx_lt_i16_e64 0x7f, v181
	s_xor_b32 s0, exec_lo, s0
	s_cbranch_execnz .LBB10_568
; %bb.60:
	s_or_saveexec_b32 s0, s0
	v_mov_b32_e32 v180, 0x7f800001
	s_xor_b32 exec_lo, exec_lo, s0
	s_cbranch_execnz .LBB10_571
.LBB10_61:
	s_or_b32 exec_lo, exec_lo, s0
	s_and_saveexec_b32 s0, s1
	s_cbranch_execz .LBB10_63
.LBB10_62:
	v_lshrrev_b16 v7, 3, v181
	v_lshrrev_b16 v9, 7, v181
	s_delay_alu instid0(VALU_DEP_2) | instskip(NEXT) | instid1(VALU_DEP_1)
	v_and_b32_e32 v7, 15, v7
	v_cmp_eq_u16_e32 vcc_lo, 0, v7
	v_and_b32_e32 v5, 7, v181
	s_delay_alu instid0(VALU_DEP_1) | instskip(NEXT) | instid1(VALU_DEP_1)
	v_clz_i32_u32_e32 v6, v5
	v_min_u32_e32 v6, 32, v6
	s_delay_alu instid0(VALU_DEP_1) | instskip(SKIP_2) | instid1(VALU_DEP_1)
	v_subrev_nc_u32_e32 v8, 28, v6
	v_sub_nc_u32_e32 v6, 29, v6
	s_wait_alu 0xfffd
	v_cndmask_b32_e32 v6, v7, v6, vcc_lo
	s_delay_alu instid0(VALU_DEP_3) | instskip(SKIP_1) | instid1(VALU_DEP_3)
	v_lshlrev_b32_e32 v8, v8, v5
	v_lshlrev_b32_e32 v7, 31, v9
	v_lshl_add_u32 v6, v6, 23, 0x3b800000
	s_delay_alu instid0(VALU_DEP_3) | instskip(NEXT) | instid1(VALU_DEP_1)
	v_and_b32_e32 v8, 7, v8
	v_cndmask_b32_e32 v5, v5, v8, vcc_lo
	s_delay_alu instid0(VALU_DEP_1) | instskip(NEXT) | instid1(VALU_DEP_1)
	v_lshlrev_b32_e32 v5, 20, v5
	v_or3_b32 v180, v7, v6, v5
.LBB10_63:
	s_or_b32 exec_lo, exec_lo, s0
	v_and_b32_e32 v254, 0xff, v160
	s_mov_b32 s0, 0
	s_mov_b32 s1, exec_lo
	s_delay_alu instid0(VALU_DEP_1)
	v_cmpx_lt_i16_e64 0x7f, v254
	s_xor_b32 s1, exec_lo, s1
	s_cbranch_execnz .LBB10_572
; %bb.64:
	s_or_saveexec_b32 s1, s1
	v_mov_b32_e32 v181, 0x7f800001
	s_xor_b32 exec_lo, exec_lo, s1
	s_cbranch_execnz .LBB10_575
.LBB10_65:
	s_or_b32 exec_lo, exec_lo, s1
	s_and_saveexec_b32 s1, s0
	s_cbranch_execz .LBB10_67
.LBB10_66:
	v_lshrrev_b16 v7, 3, v160
	v_lshrrev_b16 v9, 7, v160
	s_delay_alu instid0(VALU_DEP_2) | instskip(NEXT) | instid1(VALU_DEP_1)
	v_and_b32_e32 v7, 15, v7
	v_cmp_eq_u16_e32 vcc_lo, 0, v7
	v_and_b32_e32 v5, 7, v160
	s_delay_alu instid0(VALU_DEP_1) | instskip(NEXT) | instid1(VALU_DEP_1)
	v_clz_i32_u32_e32 v6, v5
	v_min_u32_e32 v6, 32, v6
	s_delay_alu instid0(VALU_DEP_1) | instskip(SKIP_2) | instid1(VALU_DEP_1)
	v_subrev_nc_u32_e32 v8, 28, v6
	v_sub_nc_u32_e32 v6, 29, v6
	s_wait_alu 0xfffd
	v_cndmask_b32_e32 v6, v7, v6, vcc_lo
	s_delay_alu instid0(VALU_DEP_3) | instskip(SKIP_1) | instid1(VALU_DEP_3)
	v_lshlrev_b32_e32 v8, v8, v5
	v_lshlrev_b32_e32 v7, 31, v9
	v_lshl_add_u32 v6, v6, 23, 0x3b800000
	s_delay_alu instid0(VALU_DEP_3) | instskip(NEXT) | instid1(VALU_DEP_1)
	v_and_b32_e32 v8, 7, v8
	v_cndmask_b32_e32 v5, v5, v8, vcc_lo
	s_delay_alu instid0(VALU_DEP_1) | instskip(NEXT) | instid1(VALU_DEP_1)
	v_lshlrev_b32_e32 v5, 20, v5
	v_or3_b32 v181, v7, v6, v5
.LBB10_67:
	s_or_b32 exec_lo, exec_lo, s1
	v_and_b32_e32 v254, 0xff, v184
	s_mov_b32 s0, 0
	s_mov_b32 s1, exec_lo
	s_delay_alu instid0(VALU_DEP_1)
	v_cmpx_lt_i16_e64 0x7f, v254
	s_xor_b32 s1, exec_lo, s1
	s_cbranch_execnz .LBB10_576
; %bb.68:
	s_or_saveexec_b32 s1, s1
	v_mov_b32_e32 v160, 0x7f800001
	s_xor_b32 exec_lo, exec_lo, s1
	s_cbranch_execnz .LBB10_579
.LBB10_69:
	s_or_b32 exec_lo, exec_lo, s1
	s_and_saveexec_b32 s1, s0
	s_cbranch_execz .LBB10_71
.LBB10_70:
	v_lshrrev_b16 v7, 3, v184
	v_lshrrev_b16 v9, 7, v184
	s_delay_alu instid0(VALU_DEP_2) | instskip(NEXT) | instid1(VALU_DEP_1)
	v_and_b32_e32 v7, 15, v7
	v_cmp_eq_u16_e32 vcc_lo, 0, v7
	v_and_b32_e32 v5, 7, v184
	s_delay_alu instid0(VALU_DEP_1) | instskip(NEXT) | instid1(VALU_DEP_1)
	v_clz_i32_u32_e32 v6, v5
	v_min_u32_e32 v6, 32, v6
	s_delay_alu instid0(VALU_DEP_1) | instskip(SKIP_2) | instid1(VALU_DEP_1)
	v_subrev_nc_u32_e32 v8, 28, v6
	v_sub_nc_u32_e32 v6, 29, v6
	s_wait_alu 0xfffd
	v_cndmask_b32_e32 v6, v7, v6, vcc_lo
	s_delay_alu instid0(VALU_DEP_3) | instskip(SKIP_1) | instid1(VALU_DEP_3)
	v_lshlrev_b32_e32 v8, v8, v5
	v_lshlrev_b32_e32 v7, 31, v9
	v_lshl_add_u32 v6, v6, 23, 0x3b800000
	s_delay_alu instid0(VALU_DEP_3) | instskip(NEXT) | instid1(VALU_DEP_1)
	v_and_b32_e32 v8, 7, v8
	v_cndmask_b32_e32 v5, v5, v8, vcc_lo
	s_delay_alu instid0(VALU_DEP_1) | instskip(NEXT) | instid1(VALU_DEP_1)
	v_lshlrev_b32_e32 v5, 20, v5
	v_or3_b32 v160, v7, v6, v5
.LBB10_71:
	s_or_b32 exec_lo, exec_lo, s1
	v_and_b32_e32 v254, 0xff, v186
	s_mov_b32 s0, 0
	s_mov_b32 s1, exec_lo
	s_delay_alu instid0(VALU_DEP_1)
	v_cmpx_lt_i16_e64 0x7f, v254
	s_xor_b32 s1, exec_lo, s1
	s_cbranch_execnz .LBB10_580
; %bb.72:
	s_or_saveexec_b32 s1, s1
	v_mov_b32_e32 v184, 0x7f800001
	s_xor_b32 exec_lo, exec_lo, s1
	s_cbranch_execnz .LBB10_583
.LBB10_73:
	s_or_b32 exec_lo, exec_lo, s1
	s_and_saveexec_b32 s1, s0
	s_cbranch_execz .LBB10_75
.LBB10_74:
	v_and_b32_e32 v5, 7, v186
	v_lshrrev_b16 v7, 3, v186
	v_lshrrev_b16 v9, 7, v186
	s_delay_alu instid0(VALU_DEP_3) | instskip(NEXT) | instid1(VALU_DEP_3)
	v_clz_i32_u32_e32 v6, v5
	v_and_b32_e32 v7, 15, v7
	s_delay_alu instid0(VALU_DEP_2) | instskip(NEXT) | instid1(VALU_DEP_2)
	v_min_u32_e32 v6, 32, v6
	v_cmp_eq_u16_e32 vcc_lo, 0, v7
	s_delay_alu instid0(VALU_DEP_2) | instskip(SKIP_1) | instid1(VALU_DEP_2)
	v_subrev_nc_u32_e32 v8, 28, v6
	v_sub_nc_u32_e32 v6, 29, v6
	v_lshlrev_b32_e32 v8, v8, v5
	s_wait_alu 0xfffd
	s_delay_alu instid0(VALU_DEP_2) | instskip(NEXT) | instid1(VALU_DEP_2)
	v_dual_cndmask_b32 v6, v7, v6 :: v_dual_lshlrev_b32 v7, 31, v9
	v_and_b32_e32 v8, 7, v8
	s_delay_alu instid0(VALU_DEP_2) | instskip(NEXT) | instid1(VALU_DEP_2)
	v_lshl_add_u32 v6, v6, 23, 0x3b800000
	v_cndmask_b32_e32 v5, v5, v8, vcc_lo
	s_delay_alu instid0(VALU_DEP_1) | instskip(NEXT) | instid1(VALU_DEP_1)
	v_lshlrev_b32_e32 v5, 20, v5
	v_or3_b32 v184, v7, v6, v5
.LBB10_75:
	s_or_b32 exec_lo, exec_lo, s1
	s_mov_b32 s1, 0
	s_mov_b32 s0, exec_lo
	v_cmpx_lt_i16_e64 0x7f, v187
	s_xor_b32 s0, exec_lo, s0
	s_cbranch_execnz .LBB10_584
; %bb.76:
	s_or_saveexec_b32 s0, s0
	v_mov_b32_e32 v186, 0x7f800001
	s_xor_b32 exec_lo, exec_lo, s0
	s_cbranch_execnz .LBB10_587
.LBB10_77:
	s_or_b32 exec_lo, exec_lo, s0
	s_and_saveexec_b32 s0, s1
	s_cbranch_execz .LBB10_79
.LBB10_78:
	v_lshrrev_b16 v7, 3, v187
	v_lshrrev_b16 v9, 7, v187
	s_delay_alu instid0(VALU_DEP_2) | instskip(NEXT) | instid1(VALU_DEP_1)
	v_and_b32_e32 v7, 15, v7
	v_cmp_eq_u16_e32 vcc_lo, 0, v7
	v_and_b32_e32 v5, 7, v187
	s_delay_alu instid0(VALU_DEP_1) | instskip(NEXT) | instid1(VALU_DEP_1)
	v_clz_i32_u32_e32 v6, v5
	v_min_u32_e32 v6, 32, v6
	s_delay_alu instid0(VALU_DEP_1) | instskip(SKIP_2) | instid1(VALU_DEP_1)
	v_subrev_nc_u32_e32 v8, 28, v6
	v_sub_nc_u32_e32 v6, 29, v6
	s_wait_alu 0xfffd
	v_cndmask_b32_e32 v6, v7, v6, vcc_lo
	s_delay_alu instid0(VALU_DEP_3) | instskip(SKIP_1) | instid1(VALU_DEP_3)
	v_lshlrev_b32_e32 v8, v8, v5
	v_lshlrev_b32_e32 v7, 31, v9
	v_lshl_add_u32 v6, v6, 23, 0x3b800000
	s_delay_alu instid0(VALU_DEP_3) | instskip(NEXT) | instid1(VALU_DEP_1)
	v_and_b32_e32 v8, 7, v8
	v_cndmask_b32_e32 v5, v5, v8, vcc_lo
	s_delay_alu instid0(VALU_DEP_1) | instskip(NEXT) | instid1(VALU_DEP_1)
	v_lshlrev_b32_e32 v5, 20, v5
	v_or3_b32 v186, v7, v6, v5
.LBB10_79:
	s_or_b32 exec_lo, exec_lo, s0
	v_and_b32_e32 v254, 0xff, v153
	s_mov_b32 s0, 0
	s_mov_b32 s1, exec_lo
	s_delay_alu instid0(VALU_DEP_1)
	v_cmpx_lt_i16_e64 0x7f, v254
	s_xor_b32 s1, exec_lo, s1
	s_cbranch_execnz .LBB10_588
; %bb.80:
	s_or_saveexec_b32 s1, s1
	v_mov_b32_e32 v187, 0x7f800001
	s_xor_b32 exec_lo, exec_lo, s1
	s_cbranch_execnz .LBB10_591
.LBB10_81:
	s_or_b32 exec_lo, exec_lo, s1
	s_and_saveexec_b32 s1, s0
	s_cbranch_execz .LBB10_83
.LBB10_82:
	v_lshrrev_b16 v7, 3, v153
	v_lshrrev_b16 v9, 7, v153
	s_delay_alu instid0(VALU_DEP_2) | instskip(NEXT) | instid1(VALU_DEP_1)
	v_and_b32_e32 v7, 15, v7
	v_cmp_eq_u16_e32 vcc_lo, 0, v7
	v_and_b32_e32 v5, 7, v153
	s_delay_alu instid0(VALU_DEP_1) | instskip(NEXT) | instid1(VALU_DEP_1)
	v_clz_i32_u32_e32 v6, v5
	v_min_u32_e32 v6, 32, v6
	s_delay_alu instid0(VALU_DEP_1) | instskip(SKIP_2) | instid1(VALU_DEP_1)
	v_subrev_nc_u32_e32 v8, 28, v6
	v_sub_nc_u32_e32 v6, 29, v6
	s_wait_alu 0xfffd
	v_cndmask_b32_e32 v6, v7, v6, vcc_lo
	s_delay_alu instid0(VALU_DEP_3) | instskip(SKIP_1) | instid1(VALU_DEP_3)
	v_lshlrev_b32_e32 v8, v8, v5
	v_lshlrev_b32_e32 v7, 31, v9
	v_lshl_add_u32 v6, v6, 23, 0x3b800000
	s_delay_alu instid0(VALU_DEP_3) | instskip(NEXT) | instid1(VALU_DEP_1)
	v_and_b32_e32 v8, 7, v8
	v_cndmask_b32_e32 v5, v5, v8, vcc_lo
	s_delay_alu instid0(VALU_DEP_1) | instskip(NEXT) | instid1(VALU_DEP_1)
	v_lshlrev_b32_e32 v5, 20, v5
	v_or3_b32 v187, v7, v6, v5
.LBB10_83:
	s_or_b32 exec_lo, exec_lo, s1
	v_and_b32_e32 v254, 0xff, v190
	s_mov_b32 s0, 0
	s_mov_b32 s1, exec_lo
	s_delay_alu instid0(VALU_DEP_1)
	v_cmpx_lt_i16_e64 0x7f, v254
	s_xor_b32 s1, exec_lo, s1
	s_cbranch_execnz .LBB10_592
; %bb.84:
	s_or_saveexec_b32 s1, s1
	v_mov_b32_e32 v153, 0x7f800001
	s_xor_b32 exec_lo, exec_lo, s1
	s_cbranch_execnz .LBB10_595
.LBB10_85:
	s_or_b32 exec_lo, exec_lo, s1
	s_and_saveexec_b32 s1, s0
	s_cbranch_execz .LBB10_87
.LBB10_86:
	v_and_b32_e32 v5, 7, v190
	v_lshrrev_b16 v7, 3, v190
	v_lshrrev_b16 v9, 7, v190
	s_delay_alu instid0(VALU_DEP_3) | instskip(NEXT) | instid1(VALU_DEP_3)
	v_clz_i32_u32_e32 v6, v5
	v_and_b32_e32 v7, 15, v7
	s_delay_alu instid0(VALU_DEP_2) | instskip(NEXT) | instid1(VALU_DEP_2)
	v_min_u32_e32 v6, 32, v6
	v_cmp_eq_u16_e32 vcc_lo, 0, v7
	s_delay_alu instid0(VALU_DEP_2) | instskip(SKIP_1) | instid1(VALU_DEP_2)
	v_subrev_nc_u32_e32 v8, 28, v6
	v_sub_nc_u32_e32 v6, 29, v6
	v_lshlrev_b32_e32 v8, v8, v5
	s_wait_alu 0xfffd
	s_delay_alu instid0(VALU_DEP_2) | instskip(NEXT) | instid1(VALU_DEP_2)
	v_dual_cndmask_b32 v6, v7, v6 :: v_dual_lshlrev_b32 v7, 31, v9
	v_and_b32_e32 v8, 7, v8
	s_delay_alu instid0(VALU_DEP_2) | instskip(NEXT) | instid1(VALU_DEP_2)
	v_lshl_add_u32 v6, v6, 23, 0x3b800000
	v_cndmask_b32_e32 v5, v5, v8, vcc_lo
	s_delay_alu instid0(VALU_DEP_1) | instskip(NEXT) | instid1(VALU_DEP_1)
	v_lshlrev_b32_e32 v5, 20, v5
	v_or3_b32 v153, v7, v6, v5
.LBB10_87:
	s_or_b32 exec_lo, exec_lo, s1
	v_and_b32_e32 v254, 0xff, v192
	s_mov_b32 s0, 0
	s_mov_b32 s1, exec_lo
	s_delay_alu instid0(VALU_DEP_1)
	v_cmpx_lt_i16_e64 0x7f, v254
	s_xor_b32 s1, exec_lo, s1
	s_cbranch_execnz .LBB10_596
; %bb.88:
	s_or_saveexec_b32 s1, s1
	v_mov_b32_e32 v190, 0x7f800001
	s_xor_b32 exec_lo, exec_lo, s1
	s_cbranch_execnz .LBB10_599
.LBB10_89:
	s_or_b32 exec_lo, exec_lo, s1
	s_and_saveexec_b32 s1, s0
	s_cbranch_execz .LBB10_91
.LBB10_90:
	v_lshrrev_b16 v7, 3, v192
	v_lshrrev_b16 v9, 7, v192
	s_delay_alu instid0(VALU_DEP_2) | instskip(NEXT) | instid1(VALU_DEP_1)
	v_and_b32_e32 v7, 15, v7
	v_cmp_eq_u16_e32 vcc_lo, 0, v7
	v_and_b32_e32 v5, 7, v192
	s_delay_alu instid0(VALU_DEP_1) | instskip(NEXT) | instid1(VALU_DEP_1)
	v_clz_i32_u32_e32 v6, v5
	v_min_u32_e32 v6, 32, v6
	s_delay_alu instid0(VALU_DEP_1) | instskip(SKIP_2) | instid1(VALU_DEP_1)
	v_subrev_nc_u32_e32 v8, 28, v6
	v_sub_nc_u32_e32 v6, 29, v6
	s_wait_alu 0xfffd
	v_cndmask_b32_e32 v6, v7, v6, vcc_lo
	s_delay_alu instid0(VALU_DEP_3) | instskip(SKIP_1) | instid1(VALU_DEP_3)
	v_lshlrev_b32_e32 v8, v8, v5
	v_lshlrev_b32_e32 v7, 31, v9
	v_lshl_add_u32 v6, v6, 23, 0x3b800000
	s_delay_alu instid0(VALU_DEP_3) | instskip(NEXT) | instid1(VALU_DEP_1)
	v_and_b32_e32 v8, 7, v8
	v_cndmask_b32_e32 v5, v5, v8, vcc_lo
	s_delay_alu instid0(VALU_DEP_1) | instskip(NEXT) | instid1(VALU_DEP_1)
	v_lshlrev_b32_e32 v5, 20, v5
	v_or3_b32 v190, v7, v6, v5
.LBB10_91:
	s_or_b32 exec_lo, exec_lo, s1
	s_mov_b32 s1, 0
	s_mov_b32 s0, exec_lo
	v_cmpx_lt_i16_e64 0x7f, v193
	s_xor_b32 s0, exec_lo, s0
	s_cbranch_execnz .LBB10_600
; %bb.92:
	s_or_saveexec_b32 s0, s0
	v_mov_b32_e32 v192, 0x7f800001
	s_xor_b32 exec_lo, exec_lo, s0
	s_cbranch_execnz .LBB10_603
.LBB10_93:
	s_or_b32 exec_lo, exec_lo, s0
	s_and_saveexec_b32 s0, s1
	s_cbranch_execz .LBB10_95
.LBB10_94:
	v_lshrrev_b16 v7, 3, v193
	v_lshrrev_b16 v9, 7, v193
	s_delay_alu instid0(VALU_DEP_2) | instskip(NEXT) | instid1(VALU_DEP_1)
	v_and_b32_e32 v7, 15, v7
	v_cmp_eq_u16_e32 vcc_lo, 0, v7
	v_and_b32_e32 v5, 7, v193
	s_delay_alu instid0(VALU_DEP_1) | instskip(NEXT) | instid1(VALU_DEP_1)
	v_clz_i32_u32_e32 v6, v5
	v_min_u32_e32 v6, 32, v6
	s_delay_alu instid0(VALU_DEP_1) | instskip(SKIP_2) | instid1(VALU_DEP_1)
	v_subrev_nc_u32_e32 v8, 28, v6
	v_sub_nc_u32_e32 v6, 29, v6
	s_wait_alu 0xfffd
	v_cndmask_b32_e32 v6, v7, v6, vcc_lo
	s_delay_alu instid0(VALU_DEP_3) | instskip(SKIP_1) | instid1(VALU_DEP_3)
	v_lshlrev_b32_e32 v8, v8, v5
	v_lshlrev_b32_e32 v7, 31, v9
	v_lshl_add_u32 v6, v6, 23, 0x3b800000
	s_delay_alu instid0(VALU_DEP_3) | instskip(NEXT) | instid1(VALU_DEP_1)
	v_and_b32_e32 v8, 7, v8
	v_cndmask_b32_e32 v5, v5, v8, vcc_lo
	s_delay_alu instid0(VALU_DEP_1) | instskip(NEXT) | instid1(VALU_DEP_1)
	v_lshlrev_b32_e32 v5, 20, v5
	v_or3_b32 v192, v7, v6, v5
.LBB10_95:
	s_or_b32 exec_lo, exec_lo, s0
	v_and_b32_e32 v254, 0xff, v154
	s_mov_b32 s0, 0
	s_mov_b32 s1, exec_lo
	s_delay_alu instid0(VALU_DEP_1)
	v_cmpx_lt_i16_e64 0x7f, v254
	s_xor_b32 s1, exec_lo, s1
	s_cbranch_execnz .LBB10_604
; %bb.96:
	s_or_saveexec_b32 s1, s1
	v_mov_b32_e32 v193, 0x7f800001
	s_xor_b32 exec_lo, exec_lo, s1
	s_cbranch_execnz .LBB10_607
.LBB10_97:
	s_or_b32 exec_lo, exec_lo, s1
	s_and_saveexec_b32 s1, s0
	s_cbranch_execz .LBB10_99
.LBB10_98:
	v_and_b32_e32 v5, 7, v154
	v_lshrrev_b16 v7, 3, v154
	v_lshrrev_b16 v9, 7, v154
	s_delay_alu instid0(VALU_DEP_3) | instskip(NEXT) | instid1(VALU_DEP_3)
	v_clz_i32_u32_e32 v6, v5
	v_and_b32_e32 v7, 15, v7
	s_delay_alu instid0(VALU_DEP_2) | instskip(NEXT) | instid1(VALU_DEP_2)
	v_min_u32_e32 v6, 32, v6
	v_cmp_eq_u16_e32 vcc_lo, 0, v7
	s_delay_alu instid0(VALU_DEP_2) | instskip(SKIP_1) | instid1(VALU_DEP_2)
	v_subrev_nc_u32_e32 v8, 28, v6
	v_sub_nc_u32_e32 v6, 29, v6
	v_lshlrev_b32_e32 v8, v8, v5
	s_wait_alu 0xfffd
	s_delay_alu instid0(VALU_DEP_2) | instskip(NEXT) | instid1(VALU_DEP_2)
	v_dual_cndmask_b32 v6, v7, v6 :: v_dual_lshlrev_b32 v7, 31, v9
	v_and_b32_e32 v8, 7, v8
	s_delay_alu instid0(VALU_DEP_2) | instskip(NEXT) | instid1(VALU_DEP_2)
	v_lshl_add_u32 v6, v6, 23, 0x3b800000
	v_cndmask_b32_e32 v5, v5, v8, vcc_lo
	s_delay_alu instid0(VALU_DEP_1) | instskip(NEXT) | instid1(VALU_DEP_1)
	v_lshlrev_b32_e32 v5, 20, v5
	v_or3_b32 v193, v7, v6, v5
.LBB10_99:
	s_or_b32 exec_lo, exec_lo, s1
	v_and_b32_e32 v254, 0xff, v196
	s_mov_b32 s0, 0
	s_mov_b32 s1, exec_lo
	s_delay_alu instid0(VALU_DEP_1)
	v_cmpx_lt_i16_e64 0x7f, v254
	s_xor_b32 s1, exec_lo, s1
	s_cbranch_execnz .LBB10_608
; %bb.100:
	s_or_saveexec_b32 s1, s1
	v_mov_b32_e32 v154, 0x7f800001
	s_xor_b32 exec_lo, exec_lo, s1
	s_cbranch_execnz .LBB10_611
.LBB10_101:
	s_or_b32 exec_lo, exec_lo, s1
	s_and_saveexec_b32 s1, s0
	s_cbranch_execz .LBB10_103
.LBB10_102:
	v_lshrrev_b16 v7, 3, v196
	v_lshrrev_b16 v9, 7, v196
	s_delay_alu instid0(VALU_DEP_2) | instskip(NEXT) | instid1(VALU_DEP_1)
	v_and_b32_e32 v7, 15, v7
	v_cmp_eq_u16_e32 vcc_lo, 0, v7
	v_and_b32_e32 v5, 7, v196
	s_delay_alu instid0(VALU_DEP_1) | instskip(NEXT) | instid1(VALU_DEP_1)
	v_clz_i32_u32_e32 v6, v5
	v_min_u32_e32 v6, 32, v6
	s_delay_alu instid0(VALU_DEP_1) | instskip(SKIP_2) | instid1(VALU_DEP_1)
	v_subrev_nc_u32_e32 v8, 28, v6
	v_sub_nc_u32_e32 v6, 29, v6
	s_wait_alu 0xfffd
	v_cndmask_b32_e32 v6, v7, v6, vcc_lo
	s_delay_alu instid0(VALU_DEP_3) | instskip(SKIP_1) | instid1(VALU_DEP_3)
	v_lshlrev_b32_e32 v8, v8, v5
	v_lshlrev_b32_e32 v7, 31, v9
	v_lshl_add_u32 v6, v6, 23, 0x3b800000
	s_delay_alu instid0(VALU_DEP_3) | instskip(NEXT) | instid1(VALU_DEP_1)
	v_and_b32_e32 v8, 7, v8
	v_cndmask_b32_e32 v5, v5, v8, vcc_lo
	s_delay_alu instid0(VALU_DEP_1) | instskip(NEXT) | instid1(VALU_DEP_1)
	v_lshlrev_b32_e32 v5, 20, v5
	v_or3_b32 v154, v7, v6, v5
.LBB10_103:
	s_or_b32 exec_lo, exec_lo, s1
	v_and_b32_e32 v254, 0xff, v198
	s_mov_b32 s0, 0
	s_mov_b32 s1, exec_lo
	s_delay_alu instid0(VALU_DEP_1)
	v_cmpx_lt_i16_e64 0x7f, v254
	s_xor_b32 s1, exec_lo, s1
	s_cbranch_execnz .LBB10_612
; %bb.104:
	s_or_saveexec_b32 s1, s1
	v_mov_b32_e32 v196, 0x7f800001
	s_xor_b32 exec_lo, exec_lo, s1
	s_cbranch_execnz .LBB10_615
.LBB10_105:
	s_or_b32 exec_lo, exec_lo, s1
	s_and_saveexec_b32 s1, s0
	s_cbranch_execz .LBB10_107
.LBB10_106:
	v_and_b32_e32 v5, 7, v198
	v_lshrrev_b16 v7, 3, v198
	v_lshrrev_b16 v9, 7, v198
	s_delay_alu instid0(VALU_DEP_3) | instskip(NEXT) | instid1(VALU_DEP_3)
	v_clz_i32_u32_e32 v6, v5
	v_and_b32_e32 v7, 15, v7
	s_delay_alu instid0(VALU_DEP_2) | instskip(NEXT) | instid1(VALU_DEP_2)
	v_min_u32_e32 v6, 32, v6
	v_cmp_eq_u16_e32 vcc_lo, 0, v7
	s_delay_alu instid0(VALU_DEP_2) | instskip(SKIP_1) | instid1(VALU_DEP_2)
	v_subrev_nc_u32_e32 v8, 28, v6
	v_sub_nc_u32_e32 v6, 29, v6
	v_lshlrev_b32_e32 v8, v8, v5
	s_wait_alu 0xfffd
	s_delay_alu instid0(VALU_DEP_2) | instskip(NEXT) | instid1(VALU_DEP_2)
	v_dual_cndmask_b32 v6, v7, v6 :: v_dual_lshlrev_b32 v7, 31, v9
	v_and_b32_e32 v8, 7, v8
	s_delay_alu instid0(VALU_DEP_2) | instskip(NEXT) | instid1(VALU_DEP_2)
	v_lshl_add_u32 v6, v6, 23, 0x3b800000
	v_cndmask_b32_e32 v5, v5, v8, vcc_lo
	s_delay_alu instid0(VALU_DEP_1) | instskip(NEXT) | instid1(VALU_DEP_1)
	v_lshlrev_b32_e32 v5, 20, v5
	v_or3_b32 v196, v7, v6, v5
.LBB10_107:
	s_or_b32 exec_lo, exec_lo, s1
	s_mov_b32 s1, 0
	s_mov_b32 s0, exec_lo
	v_cmpx_lt_i16_e64 0x7f, v199
	s_xor_b32 s0, exec_lo, s0
	s_cbranch_execnz .LBB10_616
; %bb.108:
	s_or_saveexec_b32 s0, s0
	v_mov_b32_e32 v198, 0x7f800001
	s_xor_b32 exec_lo, exec_lo, s0
	s_cbranch_execnz .LBB10_619
.LBB10_109:
	s_or_b32 exec_lo, exec_lo, s0
	s_and_saveexec_b32 s0, s1
	s_cbranch_execz .LBB10_111
.LBB10_110:
	v_lshrrev_b16 v7, 3, v199
	v_lshrrev_b16 v9, 7, v199
	s_delay_alu instid0(VALU_DEP_2) | instskip(NEXT) | instid1(VALU_DEP_1)
	v_and_b32_e32 v7, 15, v7
	v_cmp_eq_u16_e32 vcc_lo, 0, v7
	v_and_b32_e32 v5, 7, v199
	s_delay_alu instid0(VALU_DEP_1) | instskip(NEXT) | instid1(VALU_DEP_1)
	v_clz_i32_u32_e32 v6, v5
	v_min_u32_e32 v6, 32, v6
	s_delay_alu instid0(VALU_DEP_1) | instskip(SKIP_2) | instid1(VALU_DEP_1)
	v_subrev_nc_u32_e32 v8, 28, v6
	v_sub_nc_u32_e32 v6, 29, v6
	s_wait_alu 0xfffd
	v_cndmask_b32_e32 v6, v7, v6, vcc_lo
	s_delay_alu instid0(VALU_DEP_3) | instskip(SKIP_1) | instid1(VALU_DEP_3)
	v_lshlrev_b32_e32 v8, v8, v5
	v_lshlrev_b32_e32 v7, 31, v9
	v_lshl_add_u32 v6, v6, 23, 0x3b800000
	s_delay_alu instid0(VALU_DEP_3) | instskip(NEXT) | instid1(VALU_DEP_1)
	v_and_b32_e32 v8, 7, v8
	v_cndmask_b32_e32 v5, v5, v8, vcc_lo
	s_delay_alu instid0(VALU_DEP_1) | instskip(NEXT) | instid1(VALU_DEP_1)
	v_lshlrev_b32_e32 v5, 20, v5
	v_or3_b32 v198, v7, v6, v5
.LBB10_111:
	s_or_b32 exec_lo, exec_lo, s0
	v_and_b32_e32 v254, 0xff, v155
	s_mov_b32 s0, 0
	s_mov_b32 s1, exec_lo
	s_delay_alu instid0(VALU_DEP_1)
	v_cmpx_lt_i16_e64 0x7f, v254
	s_xor_b32 s1, exec_lo, s1
	s_cbranch_execnz .LBB10_620
; %bb.112:
	s_or_saveexec_b32 s1, s1
	v_mov_b32_e32 v199, 0x7f800001
	s_xor_b32 exec_lo, exec_lo, s1
	s_cbranch_execnz .LBB10_623
.LBB10_113:
	s_or_b32 exec_lo, exec_lo, s1
	s_and_saveexec_b32 s1, s0
	s_cbranch_execz .LBB10_115
.LBB10_114:
	v_lshrrev_b16 v7, 3, v155
	v_lshrrev_b16 v9, 7, v155
	s_delay_alu instid0(VALU_DEP_2) | instskip(NEXT) | instid1(VALU_DEP_1)
	v_and_b32_e32 v7, 15, v7
	v_cmp_eq_u16_e32 vcc_lo, 0, v7
	v_and_b32_e32 v5, 7, v155
	s_delay_alu instid0(VALU_DEP_1) | instskip(NEXT) | instid1(VALU_DEP_1)
	v_clz_i32_u32_e32 v6, v5
	v_min_u32_e32 v6, 32, v6
	s_delay_alu instid0(VALU_DEP_1) | instskip(SKIP_2) | instid1(VALU_DEP_1)
	v_subrev_nc_u32_e32 v8, 28, v6
	v_sub_nc_u32_e32 v6, 29, v6
	s_wait_alu 0xfffd
	v_cndmask_b32_e32 v6, v7, v6, vcc_lo
	s_delay_alu instid0(VALU_DEP_3) | instskip(SKIP_1) | instid1(VALU_DEP_3)
	v_lshlrev_b32_e32 v8, v8, v5
	v_lshlrev_b32_e32 v7, 31, v9
	v_lshl_add_u32 v6, v6, 23, 0x3b800000
	s_delay_alu instid0(VALU_DEP_3) | instskip(NEXT) | instid1(VALU_DEP_1)
	v_and_b32_e32 v8, 7, v8
	v_cndmask_b32_e32 v5, v5, v8, vcc_lo
	s_delay_alu instid0(VALU_DEP_1) | instskip(NEXT) | instid1(VALU_DEP_1)
	v_lshlrev_b32_e32 v5, 20, v5
	v_or3_b32 v199, v7, v6, v5
.LBB10_115:
	s_or_b32 exec_lo, exec_lo, s1
	v_and_b32_e32 v254, 0xff, v202
	s_mov_b32 s0, 0
	s_mov_b32 s1, exec_lo
	s_delay_alu instid0(VALU_DEP_1)
	v_cmpx_lt_i16_e64 0x7f, v254
	s_xor_b32 s1, exec_lo, s1
	s_cbranch_execnz .LBB10_624
; %bb.116:
	s_or_saveexec_b32 s1, s1
	v_mov_b32_e32 v155, 0x7f800001
	s_xor_b32 exec_lo, exec_lo, s1
	s_cbranch_execnz .LBB10_627
.LBB10_117:
	s_or_b32 exec_lo, exec_lo, s1
	s_and_saveexec_b32 s1, s0
	s_cbranch_execz .LBB10_119
.LBB10_118:
	v_and_b32_e32 v5, 7, v202
	v_lshrrev_b16 v7, 3, v202
	v_lshrrev_b16 v9, 7, v202
	s_delay_alu instid0(VALU_DEP_3) | instskip(NEXT) | instid1(VALU_DEP_3)
	v_clz_i32_u32_e32 v6, v5
	v_and_b32_e32 v7, 15, v7
	s_delay_alu instid0(VALU_DEP_2) | instskip(NEXT) | instid1(VALU_DEP_2)
	v_min_u32_e32 v6, 32, v6
	v_cmp_eq_u16_e32 vcc_lo, 0, v7
	s_delay_alu instid0(VALU_DEP_2) | instskip(SKIP_1) | instid1(VALU_DEP_2)
	v_subrev_nc_u32_e32 v8, 28, v6
	v_sub_nc_u32_e32 v6, 29, v6
	v_lshlrev_b32_e32 v8, v8, v5
	s_wait_alu 0xfffd
	s_delay_alu instid0(VALU_DEP_2) | instskip(NEXT) | instid1(VALU_DEP_2)
	v_dual_cndmask_b32 v6, v7, v6 :: v_dual_lshlrev_b32 v7, 31, v9
	v_and_b32_e32 v8, 7, v8
	s_delay_alu instid0(VALU_DEP_2) | instskip(NEXT) | instid1(VALU_DEP_2)
	v_lshl_add_u32 v6, v6, 23, 0x3b800000
	v_cndmask_b32_e32 v5, v5, v8, vcc_lo
	s_delay_alu instid0(VALU_DEP_1) | instskip(NEXT) | instid1(VALU_DEP_1)
	v_lshlrev_b32_e32 v5, 20, v5
	v_or3_b32 v155, v7, v6, v5
.LBB10_119:
	s_or_b32 exec_lo, exec_lo, s1
	v_and_b32_e32 v254, 0xff, v204
	s_mov_b32 s0, 0
	s_mov_b32 s1, exec_lo
	s_delay_alu instid0(VALU_DEP_1)
	v_cmpx_lt_i16_e64 0x7f, v254
	s_xor_b32 s1, exec_lo, s1
	s_cbranch_execnz .LBB10_628
; %bb.120:
	s_or_saveexec_b32 s1, s1
	v_mov_b32_e32 v202, 0x7f800001
	s_xor_b32 exec_lo, exec_lo, s1
	s_cbranch_execnz .LBB10_631
.LBB10_121:
	s_or_b32 exec_lo, exec_lo, s1
	s_and_saveexec_b32 s1, s0
	s_cbranch_execz .LBB10_123
.LBB10_122:
	v_lshrrev_b16 v7, 3, v204
	v_lshrrev_b16 v9, 7, v204
	s_delay_alu instid0(VALU_DEP_2) | instskip(NEXT) | instid1(VALU_DEP_1)
	v_and_b32_e32 v7, 15, v7
	v_cmp_eq_u16_e32 vcc_lo, 0, v7
	v_and_b32_e32 v5, 7, v204
	s_delay_alu instid0(VALU_DEP_1) | instskip(NEXT) | instid1(VALU_DEP_1)
	v_clz_i32_u32_e32 v6, v5
	v_min_u32_e32 v6, 32, v6
	s_delay_alu instid0(VALU_DEP_1) | instskip(SKIP_2) | instid1(VALU_DEP_1)
	v_subrev_nc_u32_e32 v8, 28, v6
	v_sub_nc_u32_e32 v6, 29, v6
	s_wait_alu 0xfffd
	v_cndmask_b32_e32 v6, v7, v6, vcc_lo
	s_delay_alu instid0(VALU_DEP_3) | instskip(SKIP_1) | instid1(VALU_DEP_3)
	v_lshlrev_b32_e32 v8, v8, v5
	v_lshlrev_b32_e32 v7, 31, v9
	v_lshl_add_u32 v6, v6, 23, 0x3b800000
	s_delay_alu instid0(VALU_DEP_3) | instskip(NEXT) | instid1(VALU_DEP_1)
	v_and_b32_e32 v8, 7, v8
	v_cndmask_b32_e32 v5, v5, v8, vcc_lo
	s_delay_alu instid0(VALU_DEP_1) | instskip(NEXT) | instid1(VALU_DEP_1)
	v_lshlrev_b32_e32 v5, 20, v5
	v_or3_b32 v202, v7, v6, v5
.LBB10_123:
	s_or_b32 exec_lo, exec_lo, s1
	s_mov_b32 s1, 0
	s_mov_b32 s0, exec_lo
	v_cmpx_lt_i16_e64 0x7f, v205
	s_xor_b32 s0, exec_lo, s0
	s_cbranch_execnz .LBB10_632
; %bb.124:
	s_or_saveexec_b32 s0, s0
	v_mov_b32_e32 v204, 0x7f800001
	s_xor_b32 exec_lo, exec_lo, s0
	s_cbranch_execnz .LBB10_635
.LBB10_125:
	s_or_b32 exec_lo, exec_lo, s0
	s_and_saveexec_b32 s0, s1
	s_cbranch_execz .LBB10_127
.LBB10_126:
	v_lshrrev_b16 v7, 3, v205
	v_lshrrev_b16 v9, 7, v205
	s_delay_alu instid0(VALU_DEP_2) | instskip(NEXT) | instid1(VALU_DEP_1)
	v_and_b32_e32 v7, 15, v7
	v_cmp_eq_u16_e32 vcc_lo, 0, v7
	v_and_b32_e32 v5, 7, v205
	s_delay_alu instid0(VALU_DEP_1) | instskip(NEXT) | instid1(VALU_DEP_1)
	v_clz_i32_u32_e32 v6, v5
	v_min_u32_e32 v6, 32, v6
	s_delay_alu instid0(VALU_DEP_1) | instskip(SKIP_2) | instid1(VALU_DEP_1)
	v_subrev_nc_u32_e32 v8, 28, v6
	v_sub_nc_u32_e32 v6, 29, v6
	s_wait_alu 0xfffd
	v_cndmask_b32_e32 v6, v7, v6, vcc_lo
	s_delay_alu instid0(VALU_DEP_3) | instskip(SKIP_1) | instid1(VALU_DEP_3)
	v_lshlrev_b32_e32 v8, v8, v5
	v_lshlrev_b32_e32 v7, 31, v9
	v_lshl_add_u32 v6, v6, 23, 0x3b800000
	s_delay_alu instid0(VALU_DEP_3) | instskip(NEXT) | instid1(VALU_DEP_1)
	v_and_b32_e32 v8, 7, v8
	v_cndmask_b32_e32 v5, v5, v8, vcc_lo
	s_delay_alu instid0(VALU_DEP_1) | instskip(NEXT) | instid1(VALU_DEP_1)
	v_lshlrev_b32_e32 v5, 20, v5
	v_or3_b32 v204, v7, v6, v5
.LBB10_127:
	s_or_b32 exec_lo, exec_lo, s0
	v_and_b32_e32 v254, 0xff, v156
	s_mov_b32 s0, 0
	s_mov_b32 s1, exec_lo
	s_delay_alu instid0(VALU_DEP_1)
	v_cmpx_lt_i16_e64 0x7f, v254
	s_xor_b32 s1, exec_lo, s1
	s_cbranch_execnz .LBB10_636
; %bb.128:
	s_or_saveexec_b32 s1, s1
	v_mov_b32_e32 v205, 0x7f800001
	s_xor_b32 exec_lo, exec_lo, s1
	s_cbranch_execnz .LBB10_639
.LBB10_129:
	s_or_b32 exec_lo, exec_lo, s1
	s_and_saveexec_b32 s1, s0
	s_cbranch_execz .LBB10_131
.LBB10_130:
	v_lshrrev_b16 v7, 3, v156
	v_lshrrev_b16 v9, 7, v156
	s_delay_alu instid0(VALU_DEP_2) | instskip(NEXT) | instid1(VALU_DEP_1)
	v_and_b32_e32 v7, 15, v7
	v_cmp_eq_u16_e32 vcc_lo, 0, v7
	v_and_b32_e32 v5, 7, v156
	s_delay_alu instid0(VALU_DEP_1) | instskip(NEXT) | instid1(VALU_DEP_1)
	v_clz_i32_u32_e32 v6, v5
	v_min_u32_e32 v6, 32, v6
	s_delay_alu instid0(VALU_DEP_1) | instskip(SKIP_2) | instid1(VALU_DEP_1)
	v_subrev_nc_u32_e32 v8, 28, v6
	v_sub_nc_u32_e32 v6, 29, v6
	s_wait_alu 0xfffd
	v_cndmask_b32_e32 v6, v7, v6, vcc_lo
	s_delay_alu instid0(VALU_DEP_3) | instskip(SKIP_1) | instid1(VALU_DEP_3)
	v_lshlrev_b32_e32 v8, v8, v5
	v_lshlrev_b32_e32 v7, 31, v9
	v_lshl_add_u32 v6, v6, 23, 0x3b800000
	s_delay_alu instid0(VALU_DEP_3) | instskip(NEXT) | instid1(VALU_DEP_1)
	v_and_b32_e32 v8, 7, v8
	v_cndmask_b32_e32 v5, v5, v8, vcc_lo
	s_delay_alu instid0(VALU_DEP_1) | instskip(NEXT) | instid1(VALU_DEP_1)
	v_lshlrev_b32_e32 v5, 20, v5
	v_or3_b32 v205, v7, v6, v5
.LBB10_131:
	s_or_b32 exec_lo, exec_lo, s1
	v_and_b32_e32 v254, 0xff, v208
	s_mov_b32 s0, 0
	s_mov_b32 s1, exec_lo
	s_delay_alu instid0(VALU_DEP_1)
	v_cmpx_lt_i16_e64 0x7f, v254
	s_xor_b32 s1, exec_lo, s1
	s_cbranch_execnz .LBB10_640
; %bb.132:
	s_or_saveexec_b32 s1, s1
	v_mov_b32_e32 v156, 0x7f800001
	s_xor_b32 exec_lo, exec_lo, s1
	s_cbranch_execnz .LBB10_643
.LBB10_133:
	s_or_b32 exec_lo, exec_lo, s1
	s_and_saveexec_b32 s1, s0
	s_cbranch_execz .LBB10_135
.LBB10_134:
	v_lshrrev_b16 v7, 3, v208
	v_lshrrev_b16 v9, 7, v208
	s_delay_alu instid0(VALU_DEP_2) | instskip(NEXT) | instid1(VALU_DEP_1)
	v_and_b32_e32 v7, 15, v7
	v_cmp_eq_u16_e32 vcc_lo, 0, v7
	v_and_b32_e32 v5, 7, v208
	s_delay_alu instid0(VALU_DEP_1) | instskip(NEXT) | instid1(VALU_DEP_1)
	v_clz_i32_u32_e32 v6, v5
	v_min_u32_e32 v6, 32, v6
	s_delay_alu instid0(VALU_DEP_1) | instskip(SKIP_2) | instid1(VALU_DEP_1)
	v_subrev_nc_u32_e32 v8, 28, v6
	v_sub_nc_u32_e32 v6, 29, v6
	s_wait_alu 0xfffd
	v_cndmask_b32_e32 v6, v7, v6, vcc_lo
	s_delay_alu instid0(VALU_DEP_3) | instskip(SKIP_1) | instid1(VALU_DEP_3)
	v_lshlrev_b32_e32 v8, v8, v5
	v_lshlrev_b32_e32 v7, 31, v9
	v_lshl_add_u32 v6, v6, 23, 0x3b800000
	s_delay_alu instid0(VALU_DEP_3) | instskip(NEXT) | instid1(VALU_DEP_1)
	v_and_b32_e32 v8, 7, v8
	v_cndmask_b32_e32 v5, v5, v8, vcc_lo
	s_delay_alu instid0(VALU_DEP_1) | instskip(NEXT) | instid1(VALU_DEP_1)
	v_lshlrev_b32_e32 v5, 20, v5
	v_or3_b32 v156, v7, v6, v5
.LBB10_135:
	s_or_b32 exec_lo, exec_lo, s1
	v_and_b32_e32 v254, 0xff, v210
	s_mov_b32 s0, 0
	s_mov_b32 s1, exec_lo
	s_delay_alu instid0(VALU_DEP_1)
	v_cmpx_lt_i16_e64 0x7f, v254
	s_xor_b32 s1, exec_lo, s1
	s_cbranch_execnz .LBB10_644
; %bb.136:
	s_or_saveexec_b32 s1, s1
	v_mov_b32_e32 v208, 0x7f800001
	s_xor_b32 exec_lo, exec_lo, s1
	s_cbranch_execnz .LBB10_647
.LBB10_137:
	s_or_b32 exec_lo, exec_lo, s1
	s_and_saveexec_b32 s1, s0
	s_cbranch_execz .LBB10_139
.LBB10_138:
	v_and_b32_e32 v5, 7, v210
	v_lshrrev_b16 v7, 3, v210
	v_lshrrev_b16 v9, 7, v210
	s_delay_alu instid0(VALU_DEP_3) | instskip(NEXT) | instid1(VALU_DEP_3)
	v_clz_i32_u32_e32 v6, v5
	v_and_b32_e32 v7, 15, v7
	s_delay_alu instid0(VALU_DEP_2) | instskip(NEXT) | instid1(VALU_DEP_2)
	v_min_u32_e32 v6, 32, v6
	v_cmp_eq_u16_e32 vcc_lo, 0, v7
	s_delay_alu instid0(VALU_DEP_2) | instskip(SKIP_1) | instid1(VALU_DEP_2)
	v_subrev_nc_u32_e32 v8, 28, v6
	v_sub_nc_u32_e32 v6, 29, v6
	v_lshlrev_b32_e32 v8, v8, v5
	s_wait_alu 0xfffd
	s_delay_alu instid0(VALU_DEP_2) | instskip(NEXT) | instid1(VALU_DEP_2)
	v_dual_cndmask_b32 v6, v7, v6 :: v_dual_lshlrev_b32 v7, 31, v9
	v_and_b32_e32 v8, 7, v8
	s_delay_alu instid0(VALU_DEP_2) | instskip(NEXT) | instid1(VALU_DEP_2)
	v_lshl_add_u32 v6, v6, 23, 0x3b800000
	v_cndmask_b32_e32 v5, v5, v8, vcc_lo
	s_delay_alu instid0(VALU_DEP_1) | instskip(NEXT) | instid1(VALU_DEP_1)
	v_lshlrev_b32_e32 v5, 20, v5
	v_or3_b32 v208, v7, v6, v5
.LBB10_139:
	s_or_b32 exec_lo, exec_lo, s1
	s_mov_b32 s1, 0
	s_mov_b32 s0, exec_lo
	v_cmpx_lt_i16_e64 0x7f, v211
	s_xor_b32 s0, exec_lo, s0
	s_cbranch_execnz .LBB10_648
; %bb.140:
	s_or_saveexec_b32 s0, s0
	v_mov_b32_e32 v210, 0x7f800001
	s_xor_b32 exec_lo, exec_lo, s0
	s_cbranch_execnz .LBB10_651
.LBB10_141:
	s_or_b32 exec_lo, exec_lo, s0
	s_and_saveexec_b32 s0, s1
	s_cbranch_execz .LBB10_143
.LBB10_142:
	v_lshrrev_b16 v7, 3, v211
	v_lshrrev_b16 v9, 7, v211
	s_delay_alu instid0(VALU_DEP_2) | instskip(NEXT) | instid1(VALU_DEP_1)
	v_and_b32_e32 v7, 15, v7
	v_cmp_eq_u16_e32 vcc_lo, 0, v7
	v_and_b32_e32 v5, 7, v211
	s_delay_alu instid0(VALU_DEP_1) | instskip(NEXT) | instid1(VALU_DEP_1)
	v_clz_i32_u32_e32 v6, v5
	v_min_u32_e32 v6, 32, v6
	s_delay_alu instid0(VALU_DEP_1) | instskip(SKIP_2) | instid1(VALU_DEP_1)
	v_subrev_nc_u32_e32 v8, 28, v6
	v_sub_nc_u32_e32 v6, 29, v6
	s_wait_alu 0xfffd
	v_cndmask_b32_e32 v6, v7, v6, vcc_lo
	s_delay_alu instid0(VALU_DEP_3) | instskip(SKIP_1) | instid1(VALU_DEP_3)
	v_lshlrev_b32_e32 v8, v8, v5
	v_lshlrev_b32_e32 v7, 31, v9
	v_lshl_add_u32 v6, v6, 23, 0x3b800000
	s_delay_alu instid0(VALU_DEP_3) | instskip(NEXT) | instid1(VALU_DEP_1)
	v_and_b32_e32 v8, 7, v8
	v_cndmask_b32_e32 v5, v5, v8, vcc_lo
	s_delay_alu instid0(VALU_DEP_1) | instskip(NEXT) | instid1(VALU_DEP_1)
	v_lshlrev_b32_e32 v5, 20, v5
	v_or3_b32 v210, v7, v6, v5
.LBB10_143:
	s_or_b32 exec_lo, exec_lo, s0
	v_and_b32_e32 v254, 0xff, v149
	s_mov_b32 s0, 0
	s_mov_b32 s1, exec_lo
	s_delay_alu instid0(VALU_DEP_1)
	v_cmpx_lt_i16_e64 0x7f, v254
	s_xor_b32 s1, exec_lo, s1
	s_cbranch_execnz .LBB10_652
; %bb.144:
	s_or_saveexec_b32 s1, s1
	v_mov_b32_e32 v211, 0x7f800001
	s_xor_b32 exec_lo, exec_lo, s1
	s_cbranch_execnz .LBB10_655
.LBB10_145:
	s_or_b32 exec_lo, exec_lo, s1
	s_and_saveexec_b32 s1, s0
	s_cbranch_execz .LBB10_147
.LBB10_146:
	v_lshrrev_b16 v7, 3, v149
	v_lshrrev_b16 v9, 7, v149
	s_delay_alu instid0(VALU_DEP_2) | instskip(NEXT) | instid1(VALU_DEP_1)
	v_and_b32_e32 v7, 15, v7
	v_cmp_eq_u16_e32 vcc_lo, 0, v7
	v_and_b32_e32 v5, 7, v149
	s_delay_alu instid0(VALU_DEP_1) | instskip(NEXT) | instid1(VALU_DEP_1)
	v_clz_i32_u32_e32 v6, v5
	v_min_u32_e32 v6, 32, v6
	s_delay_alu instid0(VALU_DEP_1) | instskip(SKIP_2) | instid1(VALU_DEP_1)
	v_subrev_nc_u32_e32 v8, 28, v6
	v_sub_nc_u32_e32 v6, 29, v6
	s_wait_alu 0xfffd
	v_cndmask_b32_e32 v6, v7, v6, vcc_lo
	s_delay_alu instid0(VALU_DEP_3) | instskip(SKIP_1) | instid1(VALU_DEP_3)
	v_lshlrev_b32_e32 v8, v8, v5
	v_lshlrev_b32_e32 v7, 31, v9
	v_lshl_add_u32 v6, v6, 23, 0x3b800000
	s_delay_alu instid0(VALU_DEP_3) | instskip(NEXT) | instid1(VALU_DEP_1)
	v_and_b32_e32 v8, 7, v8
	v_cndmask_b32_e32 v5, v5, v8, vcc_lo
	s_delay_alu instid0(VALU_DEP_1) | instskip(NEXT) | instid1(VALU_DEP_1)
	v_lshlrev_b32_e32 v5, 20, v5
	v_or3_b32 v211, v7, v6, v5
.LBB10_147:
	s_or_b32 exec_lo, exec_lo, s1
	v_and_b32_e32 v254, 0xff, v214
	s_mov_b32 s0, 0
	s_mov_b32 s1, exec_lo
	s_delay_alu instid0(VALU_DEP_1)
	v_cmpx_lt_i16_e64 0x7f, v254
	s_xor_b32 s1, exec_lo, s1
	s_cbranch_execnz .LBB10_656
; %bb.148:
	s_or_saveexec_b32 s1, s1
	v_mov_b32_e32 v149, 0x7f800001
	s_xor_b32 exec_lo, exec_lo, s1
	s_cbranch_execnz .LBB10_659
.LBB10_149:
	s_or_b32 exec_lo, exec_lo, s1
	s_and_saveexec_b32 s1, s0
	s_cbranch_execz .LBB10_151
.LBB10_150:
	v_and_b32_e32 v5, 7, v214
	v_lshrrev_b16 v7, 3, v214
	v_lshrrev_b16 v9, 7, v214
	s_delay_alu instid0(VALU_DEP_3) | instskip(NEXT) | instid1(VALU_DEP_3)
	v_clz_i32_u32_e32 v6, v5
	v_and_b32_e32 v7, 15, v7
	s_delay_alu instid0(VALU_DEP_2) | instskip(NEXT) | instid1(VALU_DEP_2)
	v_min_u32_e32 v6, 32, v6
	v_cmp_eq_u16_e32 vcc_lo, 0, v7
	s_delay_alu instid0(VALU_DEP_2) | instskip(SKIP_1) | instid1(VALU_DEP_2)
	v_subrev_nc_u32_e32 v8, 28, v6
	v_sub_nc_u32_e32 v6, 29, v6
	v_lshlrev_b32_e32 v8, v8, v5
	s_wait_alu 0xfffd
	s_delay_alu instid0(VALU_DEP_2) | instskip(NEXT) | instid1(VALU_DEP_2)
	v_dual_cndmask_b32 v6, v7, v6 :: v_dual_lshlrev_b32 v7, 31, v9
	v_and_b32_e32 v8, 7, v8
	s_delay_alu instid0(VALU_DEP_2) | instskip(NEXT) | instid1(VALU_DEP_2)
	v_lshl_add_u32 v6, v6, 23, 0x3b800000
	v_cndmask_b32_e32 v5, v5, v8, vcc_lo
	s_delay_alu instid0(VALU_DEP_1) | instskip(NEXT) | instid1(VALU_DEP_1)
	v_lshlrev_b32_e32 v5, 20, v5
	v_or3_b32 v149, v7, v6, v5
.LBB10_151:
	s_or_b32 exec_lo, exec_lo, s1
	v_and_b32_e32 v254, 0xff, v216
	s_mov_b32 s0, 0
	s_mov_b32 s1, exec_lo
	s_delay_alu instid0(VALU_DEP_1)
	v_cmpx_lt_i16_e64 0x7f, v254
	s_xor_b32 s1, exec_lo, s1
	s_cbranch_execnz .LBB10_660
; %bb.152:
	s_or_saveexec_b32 s1, s1
	v_mov_b32_e32 v214, 0x7f800001
	s_xor_b32 exec_lo, exec_lo, s1
	s_cbranch_execnz .LBB10_663
.LBB10_153:
	s_or_b32 exec_lo, exec_lo, s1
	s_and_saveexec_b32 s1, s0
	s_cbranch_execz .LBB10_155
.LBB10_154:
	v_lshrrev_b16 v7, 3, v216
	v_lshrrev_b16 v9, 7, v216
	s_delay_alu instid0(VALU_DEP_2) | instskip(NEXT) | instid1(VALU_DEP_1)
	v_and_b32_e32 v7, 15, v7
	v_cmp_eq_u16_e32 vcc_lo, 0, v7
	v_and_b32_e32 v5, 7, v216
	s_delay_alu instid0(VALU_DEP_1) | instskip(NEXT) | instid1(VALU_DEP_1)
	v_clz_i32_u32_e32 v6, v5
	v_min_u32_e32 v6, 32, v6
	s_delay_alu instid0(VALU_DEP_1) | instskip(SKIP_2) | instid1(VALU_DEP_1)
	v_subrev_nc_u32_e32 v8, 28, v6
	v_sub_nc_u32_e32 v6, 29, v6
	s_wait_alu 0xfffd
	v_cndmask_b32_e32 v6, v7, v6, vcc_lo
	s_delay_alu instid0(VALU_DEP_3) | instskip(SKIP_1) | instid1(VALU_DEP_3)
	v_lshlrev_b32_e32 v8, v8, v5
	v_lshlrev_b32_e32 v7, 31, v9
	v_lshl_add_u32 v6, v6, 23, 0x3b800000
	s_delay_alu instid0(VALU_DEP_3) | instskip(NEXT) | instid1(VALU_DEP_1)
	v_and_b32_e32 v8, 7, v8
	v_cndmask_b32_e32 v5, v5, v8, vcc_lo
	s_delay_alu instid0(VALU_DEP_1) | instskip(NEXT) | instid1(VALU_DEP_1)
	v_lshlrev_b32_e32 v5, 20, v5
	v_or3_b32 v214, v7, v6, v5
.LBB10_155:
	s_or_b32 exec_lo, exec_lo, s1
	s_mov_b32 s1, 0
	s_mov_b32 s0, exec_lo
	v_cmpx_lt_i16_e64 0x7f, v217
	s_xor_b32 s0, exec_lo, s0
	s_cbranch_execnz .LBB10_664
; %bb.156:
	s_or_saveexec_b32 s0, s0
	v_mov_b32_e32 v216, 0x7f800001
	s_xor_b32 exec_lo, exec_lo, s0
	s_cbranch_execnz .LBB10_667
.LBB10_157:
	s_or_b32 exec_lo, exec_lo, s0
	s_and_saveexec_b32 s0, s1
	s_cbranch_execz .LBB10_159
.LBB10_158:
	v_lshrrev_b16 v7, 3, v217
	v_lshrrev_b16 v9, 7, v217
	s_delay_alu instid0(VALU_DEP_2) | instskip(NEXT) | instid1(VALU_DEP_1)
	v_and_b32_e32 v7, 15, v7
	v_cmp_eq_u16_e32 vcc_lo, 0, v7
	v_and_b32_e32 v5, 7, v217
	s_delay_alu instid0(VALU_DEP_1) | instskip(NEXT) | instid1(VALU_DEP_1)
	v_clz_i32_u32_e32 v6, v5
	v_min_u32_e32 v6, 32, v6
	s_delay_alu instid0(VALU_DEP_1) | instskip(SKIP_2) | instid1(VALU_DEP_1)
	v_subrev_nc_u32_e32 v8, 28, v6
	v_sub_nc_u32_e32 v6, 29, v6
	s_wait_alu 0xfffd
	v_cndmask_b32_e32 v6, v7, v6, vcc_lo
	s_delay_alu instid0(VALU_DEP_3) | instskip(SKIP_1) | instid1(VALU_DEP_3)
	v_lshlrev_b32_e32 v8, v8, v5
	v_lshlrev_b32_e32 v7, 31, v9
	v_lshl_add_u32 v6, v6, 23, 0x3b800000
	s_delay_alu instid0(VALU_DEP_3) | instskip(NEXT) | instid1(VALU_DEP_1)
	v_and_b32_e32 v8, 7, v8
	v_cndmask_b32_e32 v5, v5, v8, vcc_lo
	s_delay_alu instid0(VALU_DEP_1) | instskip(NEXT) | instid1(VALU_DEP_1)
	v_lshlrev_b32_e32 v5, 20, v5
	v_or3_b32 v216, v7, v6, v5
.LBB10_159:
	s_or_b32 exec_lo, exec_lo, s0
	v_and_b32_e32 v254, 0xff, v150
	s_mov_b32 s0, 0
	s_mov_b32 s1, exec_lo
	s_delay_alu instid0(VALU_DEP_1)
	v_cmpx_lt_i16_e64 0x7f, v254
	s_xor_b32 s1, exec_lo, s1
	s_cbranch_execnz .LBB10_668
; %bb.160:
	s_or_saveexec_b32 s1, s1
	v_mov_b32_e32 v217, 0x7f800001
	s_xor_b32 exec_lo, exec_lo, s1
	s_cbranch_execnz .LBB10_671
.LBB10_161:
	s_or_b32 exec_lo, exec_lo, s1
	s_and_saveexec_b32 s1, s0
	s_cbranch_execz .LBB10_163
.LBB10_162:
	v_and_b32_e32 v5, 7, v150
	v_lshrrev_b16 v7, 3, v150
	v_lshrrev_b16 v9, 7, v150
	s_delay_alu instid0(VALU_DEP_3) | instskip(NEXT) | instid1(VALU_DEP_3)
	v_clz_i32_u32_e32 v6, v5
	v_and_b32_e32 v7, 15, v7
	s_delay_alu instid0(VALU_DEP_2) | instskip(NEXT) | instid1(VALU_DEP_2)
	v_min_u32_e32 v6, 32, v6
	v_cmp_eq_u16_e32 vcc_lo, 0, v7
	s_delay_alu instid0(VALU_DEP_2) | instskip(SKIP_1) | instid1(VALU_DEP_2)
	v_subrev_nc_u32_e32 v8, 28, v6
	v_sub_nc_u32_e32 v6, 29, v6
	v_lshlrev_b32_e32 v8, v8, v5
	s_wait_alu 0xfffd
	s_delay_alu instid0(VALU_DEP_2) | instskip(NEXT) | instid1(VALU_DEP_2)
	v_dual_cndmask_b32 v6, v7, v6 :: v_dual_lshlrev_b32 v7, 31, v9
	v_and_b32_e32 v8, 7, v8
	s_delay_alu instid0(VALU_DEP_2) | instskip(NEXT) | instid1(VALU_DEP_2)
	v_lshl_add_u32 v6, v6, 23, 0x3b800000
	v_cndmask_b32_e32 v5, v5, v8, vcc_lo
	s_delay_alu instid0(VALU_DEP_1) | instskip(NEXT) | instid1(VALU_DEP_1)
	v_lshlrev_b32_e32 v5, 20, v5
	v_or3_b32 v217, v7, v6, v5
.LBB10_163:
	s_or_b32 exec_lo, exec_lo, s1
	v_and_b32_e32 v254, 0xff, v220
	s_mov_b32 s0, 0
	s_mov_b32 s1, exec_lo
	s_delay_alu instid0(VALU_DEP_1)
	v_cmpx_lt_i16_e64 0x7f, v254
	s_xor_b32 s1, exec_lo, s1
	s_cbranch_execnz .LBB10_672
; %bb.164:
	s_or_saveexec_b32 s1, s1
	v_mov_b32_e32 v150, 0x7f800001
	s_xor_b32 exec_lo, exec_lo, s1
	s_cbranch_execnz .LBB10_675
.LBB10_165:
	s_or_b32 exec_lo, exec_lo, s1
	s_and_saveexec_b32 s1, s0
	s_cbranch_execz .LBB10_167
.LBB10_166:
	v_lshrrev_b16 v7, 3, v220
	v_lshrrev_b16 v9, 7, v220
	s_delay_alu instid0(VALU_DEP_2) | instskip(NEXT) | instid1(VALU_DEP_1)
	v_and_b32_e32 v7, 15, v7
	v_cmp_eq_u16_e32 vcc_lo, 0, v7
	v_and_b32_e32 v5, 7, v220
	s_delay_alu instid0(VALU_DEP_1) | instskip(NEXT) | instid1(VALU_DEP_1)
	v_clz_i32_u32_e32 v6, v5
	v_min_u32_e32 v6, 32, v6
	s_delay_alu instid0(VALU_DEP_1) | instskip(SKIP_2) | instid1(VALU_DEP_1)
	v_subrev_nc_u32_e32 v8, 28, v6
	v_sub_nc_u32_e32 v6, 29, v6
	s_wait_alu 0xfffd
	v_cndmask_b32_e32 v6, v7, v6, vcc_lo
	s_delay_alu instid0(VALU_DEP_3) | instskip(SKIP_1) | instid1(VALU_DEP_3)
	v_lshlrev_b32_e32 v8, v8, v5
	v_lshlrev_b32_e32 v7, 31, v9
	v_lshl_add_u32 v6, v6, 23, 0x3b800000
	s_delay_alu instid0(VALU_DEP_3) | instskip(NEXT) | instid1(VALU_DEP_1)
	v_and_b32_e32 v8, 7, v8
	v_cndmask_b32_e32 v5, v5, v8, vcc_lo
	s_delay_alu instid0(VALU_DEP_1) | instskip(NEXT) | instid1(VALU_DEP_1)
	v_lshlrev_b32_e32 v5, 20, v5
	v_or3_b32 v150, v7, v6, v5
.LBB10_167:
	s_or_b32 exec_lo, exec_lo, s1
	v_and_b32_e32 v254, 0xff, v222
	s_mov_b32 s0, 0
	s_mov_b32 s1, exec_lo
	s_delay_alu instid0(VALU_DEP_1)
	v_cmpx_lt_i16_e64 0x7f, v254
	s_xor_b32 s1, exec_lo, s1
	s_cbranch_execnz .LBB10_676
; %bb.168:
	s_or_saveexec_b32 s1, s1
	v_mov_b32_e32 v220, 0x7f800001
	s_xor_b32 exec_lo, exec_lo, s1
	s_cbranch_execnz .LBB10_679
.LBB10_169:
	s_or_b32 exec_lo, exec_lo, s1
	s_and_saveexec_b32 s1, s0
	s_cbranch_execz .LBB10_171
.LBB10_170:
	v_and_b32_e32 v5, 7, v222
	v_lshrrev_b16 v7, 3, v222
	v_lshrrev_b16 v9, 7, v222
	s_delay_alu instid0(VALU_DEP_3) | instskip(NEXT) | instid1(VALU_DEP_3)
	v_clz_i32_u32_e32 v6, v5
	v_and_b32_e32 v7, 15, v7
	s_delay_alu instid0(VALU_DEP_2) | instskip(NEXT) | instid1(VALU_DEP_2)
	v_min_u32_e32 v6, 32, v6
	v_cmp_eq_u16_e32 vcc_lo, 0, v7
	s_delay_alu instid0(VALU_DEP_2) | instskip(SKIP_1) | instid1(VALU_DEP_2)
	v_subrev_nc_u32_e32 v8, 28, v6
	v_sub_nc_u32_e32 v6, 29, v6
	v_lshlrev_b32_e32 v8, v8, v5
	s_wait_alu 0xfffd
	s_delay_alu instid0(VALU_DEP_2) | instskip(NEXT) | instid1(VALU_DEP_2)
	v_dual_cndmask_b32 v6, v7, v6 :: v_dual_lshlrev_b32 v7, 31, v9
	v_and_b32_e32 v8, 7, v8
	s_delay_alu instid0(VALU_DEP_2) | instskip(NEXT) | instid1(VALU_DEP_2)
	v_lshl_add_u32 v6, v6, 23, 0x3b800000
	v_cndmask_b32_e32 v5, v5, v8, vcc_lo
	s_delay_alu instid0(VALU_DEP_1) | instskip(NEXT) | instid1(VALU_DEP_1)
	v_lshlrev_b32_e32 v5, 20, v5
	v_or3_b32 v220, v7, v6, v5
.LBB10_171:
	s_or_b32 exec_lo, exec_lo, s1
	s_mov_b32 s1, 0
	s_mov_b32 s0, exec_lo
	v_cmpx_lt_i16_e64 0x7f, v223
	s_xor_b32 s0, exec_lo, s0
	s_cbranch_execnz .LBB10_680
; %bb.172:
	s_or_saveexec_b32 s0, s0
	v_mov_b32_e32 v222, 0x7f800001
	s_xor_b32 exec_lo, exec_lo, s0
	s_cbranch_execnz .LBB10_683
.LBB10_173:
	s_or_b32 exec_lo, exec_lo, s0
	s_and_saveexec_b32 s0, s1
	s_cbranch_execz .LBB10_175
.LBB10_174:
	v_lshrrev_b16 v7, 3, v223
	v_lshrrev_b16 v9, 7, v223
	s_delay_alu instid0(VALU_DEP_2) | instskip(NEXT) | instid1(VALU_DEP_1)
	v_and_b32_e32 v7, 15, v7
	v_cmp_eq_u16_e32 vcc_lo, 0, v7
	v_and_b32_e32 v5, 7, v223
	s_delay_alu instid0(VALU_DEP_1) | instskip(NEXT) | instid1(VALU_DEP_1)
	v_clz_i32_u32_e32 v6, v5
	v_min_u32_e32 v6, 32, v6
	s_delay_alu instid0(VALU_DEP_1) | instskip(SKIP_2) | instid1(VALU_DEP_1)
	v_subrev_nc_u32_e32 v8, 28, v6
	v_sub_nc_u32_e32 v6, 29, v6
	s_wait_alu 0xfffd
	v_cndmask_b32_e32 v6, v7, v6, vcc_lo
	s_delay_alu instid0(VALU_DEP_3) | instskip(SKIP_1) | instid1(VALU_DEP_3)
	v_lshlrev_b32_e32 v8, v8, v5
	v_lshlrev_b32_e32 v7, 31, v9
	v_lshl_add_u32 v6, v6, 23, 0x3b800000
	s_delay_alu instid0(VALU_DEP_3) | instskip(NEXT) | instid1(VALU_DEP_1)
	v_and_b32_e32 v8, 7, v8
	v_cndmask_b32_e32 v5, v5, v8, vcc_lo
	s_delay_alu instid0(VALU_DEP_1) | instskip(NEXT) | instid1(VALU_DEP_1)
	v_lshlrev_b32_e32 v5, 20, v5
	v_or3_b32 v222, v7, v6, v5
.LBB10_175:
	s_or_b32 exec_lo, exec_lo, s0
	v_and_b32_e32 v254, 0xff, v151
	s_mov_b32 s0, 0
	s_mov_b32 s1, exec_lo
	s_delay_alu instid0(VALU_DEP_1)
	v_cmpx_lt_i16_e64 0x7f, v254
	s_xor_b32 s1, exec_lo, s1
	s_cbranch_execnz .LBB10_684
; %bb.176:
	s_or_saveexec_b32 s1, s1
	v_mov_b32_e32 v223, 0x7f800001
	s_xor_b32 exec_lo, exec_lo, s1
	s_cbranch_execnz .LBB10_687
.LBB10_177:
	s_or_b32 exec_lo, exec_lo, s1
	s_and_saveexec_b32 s1, s0
	s_cbranch_execz .LBB10_179
.LBB10_178:
	v_lshrrev_b16 v7, 3, v151
	v_lshrrev_b16 v9, 7, v151
	s_delay_alu instid0(VALU_DEP_2) | instskip(NEXT) | instid1(VALU_DEP_1)
	v_and_b32_e32 v7, 15, v7
	v_cmp_eq_u16_e32 vcc_lo, 0, v7
	v_and_b32_e32 v5, 7, v151
	s_delay_alu instid0(VALU_DEP_1) | instskip(NEXT) | instid1(VALU_DEP_1)
	v_clz_i32_u32_e32 v6, v5
	v_min_u32_e32 v6, 32, v6
	s_delay_alu instid0(VALU_DEP_1) | instskip(SKIP_2) | instid1(VALU_DEP_1)
	v_subrev_nc_u32_e32 v8, 28, v6
	v_sub_nc_u32_e32 v6, 29, v6
	s_wait_alu 0xfffd
	v_cndmask_b32_e32 v6, v7, v6, vcc_lo
	s_delay_alu instid0(VALU_DEP_3) | instskip(SKIP_1) | instid1(VALU_DEP_3)
	v_lshlrev_b32_e32 v8, v8, v5
	v_lshlrev_b32_e32 v7, 31, v9
	v_lshl_add_u32 v6, v6, 23, 0x3b800000
	s_delay_alu instid0(VALU_DEP_3) | instskip(NEXT) | instid1(VALU_DEP_1)
	v_and_b32_e32 v8, 7, v8
	v_cndmask_b32_e32 v5, v5, v8, vcc_lo
	s_delay_alu instid0(VALU_DEP_1) | instskip(NEXT) | instid1(VALU_DEP_1)
	v_lshlrev_b32_e32 v5, 20, v5
	v_or3_b32 v223, v7, v6, v5
.LBB10_179:
	s_or_b32 exec_lo, exec_lo, s1
	v_and_b32_e32 v254, 0xff, v226
	s_mov_b32 s0, 0
	s_mov_b32 s1, exec_lo
	s_delay_alu instid0(VALU_DEP_1)
	v_cmpx_lt_i16_e64 0x7f, v254
	s_xor_b32 s1, exec_lo, s1
	s_cbranch_execnz .LBB10_688
; %bb.180:
	s_or_saveexec_b32 s1, s1
	v_mov_b32_e32 v151, 0x7f800001
	s_xor_b32 exec_lo, exec_lo, s1
	s_cbranch_execnz .LBB10_691
.LBB10_181:
	s_or_b32 exec_lo, exec_lo, s1
	s_and_saveexec_b32 s1, s0
	s_cbranch_execz .LBB10_183
.LBB10_182:
	v_and_b32_e32 v5, 7, v226
	v_lshrrev_b16 v7, 3, v226
	v_lshrrev_b16 v9, 7, v226
	s_delay_alu instid0(VALU_DEP_3) | instskip(NEXT) | instid1(VALU_DEP_3)
	v_clz_i32_u32_e32 v6, v5
	v_and_b32_e32 v7, 15, v7
	s_delay_alu instid0(VALU_DEP_2) | instskip(NEXT) | instid1(VALU_DEP_2)
	v_min_u32_e32 v6, 32, v6
	v_cmp_eq_u16_e32 vcc_lo, 0, v7
	s_delay_alu instid0(VALU_DEP_2) | instskip(SKIP_1) | instid1(VALU_DEP_2)
	v_subrev_nc_u32_e32 v8, 28, v6
	v_sub_nc_u32_e32 v6, 29, v6
	v_lshlrev_b32_e32 v8, v8, v5
	s_wait_alu 0xfffd
	s_delay_alu instid0(VALU_DEP_2) | instskip(NEXT) | instid1(VALU_DEP_2)
	v_dual_cndmask_b32 v6, v7, v6 :: v_dual_lshlrev_b32 v7, 31, v9
	v_and_b32_e32 v8, 7, v8
	s_delay_alu instid0(VALU_DEP_2) | instskip(NEXT) | instid1(VALU_DEP_2)
	v_lshl_add_u32 v6, v6, 23, 0x3b800000
	v_cndmask_b32_e32 v5, v5, v8, vcc_lo
	s_delay_alu instid0(VALU_DEP_1) | instskip(NEXT) | instid1(VALU_DEP_1)
	v_lshlrev_b32_e32 v5, 20, v5
	v_or3_b32 v151, v7, v6, v5
.LBB10_183:
	s_or_b32 exec_lo, exec_lo, s1
	v_and_b32_e32 v254, 0xff, v228
	s_mov_b32 s0, 0
	s_mov_b32 s1, exec_lo
	s_delay_alu instid0(VALU_DEP_1)
	v_cmpx_lt_i16_e64 0x7f, v254
	s_xor_b32 s1, exec_lo, s1
	s_cbranch_execnz .LBB10_692
; %bb.184:
	s_or_saveexec_b32 s1, s1
	v_mov_b32_e32 v226, 0x7f800001
	s_xor_b32 exec_lo, exec_lo, s1
	s_cbranch_execnz .LBB10_695
.LBB10_185:
	s_or_b32 exec_lo, exec_lo, s1
	s_and_saveexec_b32 s1, s0
	s_cbranch_execz .LBB10_187
.LBB10_186:
	v_lshrrev_b16 v7, 3, v228
	v_lshrrev_b16 v9, 7, v228
	s_delay_alu instid0(VALU_DEP_2) | instskip(NEXT) | instid1(VALU_DEP_1)
	v_and_b32_e32 v7, 15, v7
	v_cmp_eq_u16_e32 vcc_lo, 0, v7
	v_and_b32_e32 v5, 7, v228
	s_delay_alu instid0(VALU_DEP_1) | instskip(NEXT) | instid1(VALU_DEP_1)
	v_clz_i32_u32_e32 v6, v5
	v_min_u32_e32 v6, 32, v6
	s_delay_alu instid0(VALU_DEP_1) | instskip(SKIP_2) | instid1(VALU_DEP_1)
	v_subrev_nc_u32_e32 v8, 28, v6
	v_sub_nc_u32_e32 v6, 29, v6
	s_wait_alu 0xfffd
	v_cndmask_b32_e32 v6, v7, v6, vcc_lo
	s_delay_alu instid0(VALU_DEP_3) | instskip(SKIP_1) | instid1(VALU_DEP_3)
	v_lshlrev_b32_e32 v8, v8, v5
	v_lshlrev_b32_e32 v7, 31, v9
	v_lshl_add_u32 v6, v6, 23, 0x3b800000
	s_delay_alu instid0(VALU_DEP_3) | instskip(NEXT) | instid1(VALU_DEP_1)
	v_and_b32_e32 v8, 7, v8
	v_cndmask_b32_e32 v5, v5, v8, vcc_lo
	s_delay_alu instid0(VALU_DEP_1) | instskip(NEXT) | instid1(VALU_DEP_1)
	v_lshlrev_b32_e32 v5, 20, v5
	v_or3_b32 v226, v7, v6, v5
.LBB10_187:
	s_or_b32 exec_lo, exec_lo, s1
	s_mov_b32 s1, 0
	s_mov_b32 s0, exec_lo
	v_cmpx_lt_i16_e64 0x7f, v229
	s_xor_b32 s0, exec_lo, s0
	s_cbranch_execnz .LBB10_696
; %bb.188:
	s_or_saveexec_b32 s0, s0
	v_mov_b32_e32 v228, 0x7f800001
	s_xor_b32 exec_lo, exec_lo, s0
	s_cbranch_execnz .LBB10_699
.LBB10_189:
	s_or_b32 exec_lo, exec_lo, s0
	s_and_saveexec_b32 s0, s1
	s_cbranch_execz .LBB10_191
.LBB10_190:
	v_lshrrev_b16 v7, 3, v229
	v_lshrrev_b16 v9, 7, v229
	s_delay_alu instid0(VALU_DEP_2) | instskip(NEXT) | instid1(VALU_DEP_1)
	v_and_b32_e32 v7, 15, v7
	v_cmp_eq_u16_e32 vcc_lo, 0, v7
	v_and_b32_e32 v5, 7, v229
	s_delay_alu instid0(VALU_DEP_1) | instskip(NEXT) | instid1(VALU_DEP_1)
	v_clz_i32_u32_e32 v6, v5
	v_min_u32_e32 v6, 32, v6
	s_delay_alu instid0(VALU_DEP_1) | instskip(SKIP_2) | instid1(VALU_DEP_1)
	v_subrev_nc_u32_e32 v8, 28, v6
	v_sub_nc_u32_e32 v6, 29, v6
	s_wait_alu 0xfffd
	v_cndmask_b32_e32 v6, v7, v6, vcc_lo
	s_delay_alu instid0(VALU_DEP_3) | instskip(SKIP_1) | instid1(VALU_DEP_3)
	v_lshlrev_b32_e32 v8, v8, v5
	v_lshlrev_b32_e32 v7, 31, v9
	v_lshl_add_u32 v6, v6, 23, 0x3b800000
	s_delay_alu instid0(VALU_DEP_3) | instskip(NEXT) | instid1(VALU_DEP_1)
	v_and_b32_e32 v8, 7, v8
	v_cndmask_b32_e32 v5, v5, v8, vcc_lo
	s_delay_alu instid0(VALU_DEP_1) | instskip(NEXT) | instid1(VALU_DEP_1)
	v_lshlrev_b32_e32 v5, 20, v5
	v_or3_b32 v228, v7, v6, v5
.LBB10_191:
	s_or_b32 exec_lo, exec_lo, s0
	v_and_b32_e32 v254, 0xff, v152
	s_mov_b32 s0, 0
	s_mov_b32 s1, exec_lo
	s_delay_alu instid0(VALU_DEP_1)
	v_cmpx_lt_i16_e64 0x7f, v254
	s_xor_b32 s1, exec_lo, s1
	s_cbranch_execnz .LBB10_700
; %bb.192:
	s_or_saveexec_b32 s1, s1
	v_mov_b32_e32 v229, 0x7f800001
	s_xor_b32 exec_lo, exec_lo, s1
	s_cbranch_execnz .LBB10_703
.LBB10_193:
	s_or_b32 exec_lo, exec_lo, s1
	s_and_saveexec_b32 s1, s0
	s_cbranch_execz .LBB10_195
.LBB10_194:
	v_lshrrev_b16 v7, 3, v152
	v_lshrrev_b16 v9, 7, v152
	s_delay_alu instid0(VALU_DEP_2) | instskip(NEXT) | instid1(VALU_DEP_1)
	v_and_b32_e32 v7, 15, v7
	v_cmp_eq_u16_e32 vcc_lo, 0, v7
	v_and_b32_e32 v5, 7, v152
	s_delay_alu instid0(VALU_DEP_1) | instskip(NEXT) | instid1(VALU_DEP_1)
	v_clz_i32_u32_e32 v6, v5
	v_min_u32_e32 v6, 32, v6
	s_delay_alu instid0(VALU_DEP_1) | instskip(SKIP_2) | instid1(VALU_DEP_1)
	v_subrev_nc_u32_e32 v8, 28, v6
	v_sub_nc_u32_e32 v6, 29, v6
	s_wait_alu 0xfffd
	v_cndmask_b32_e32 v6, v7, v6, vcc_lo
	s_delay_alu instid0(VALU_DEP_3) | instskip(SKIP_1) | instid1(VALU_DEP_3)
	v_lshlrev_b32_e32 v8, v8, v5
	v_lshlrev_b32_e32 v7, 31, v9
	v_lshl_add_u32 v6, v6, 23, 0x3b800000
	s_delay_alu instid0(VALU_DEP_3) | instskip(NEXT) | instid1(VALU_DEP_1)
	v_and_b32_e32 v8, 7, v8
	v_cndmask_b32_e32 v5, v5, v8, vcc_lo
	s_delay_alu instid0(VALU_DEP_1) | instskip(NEXT) | instid1(VALU_DEP_1)
	v_lshlrev_b32_e32 v5, 20, v5
	v_or3_b32 v229, v7, v6, v5
.LBB10_195:
	s_or_b32 exec_lo, exec_lo, s1
	v_and_b32_e32 v254, 0xff, v232
	s_mov_b32 s0, 0
	s_mov_b32 s1, exec_lo
	s_delay_alu instid0(VALU_DEP_1)
	v_cmpx_lt_i16_e64 0x7f, v254
	s_xor_b32 s1, exec_lo, s1
	s_cbranch_execnz .LBB10_704
; %bb.196:
	s_or_saveexec_b32 s1, s1
	v_mov_b32_e32 v152, 0x7f800001
	s_xor_b32 exec_lo, exec_lo, s1
	s_cbranch_execnz .LBB10_707
.LBB10_197:
	s_or_b32 exec_lo, exec_lo, s1
	s_and_saveexec_b32 s1, s0
	s_cbranch_execz .LBB10_199
.LBB10_198:
	v_lshrrev_b16 v7, 3, v232
	v_lshrrev_b16 v9, 7, v232
	s_delay_alu instid0(VALU_DEP_2) | instskip(NEXT) | instid1(VALU_DEP_1)
	v_and_b32_e32 v7, 15, v7
	v_cmp_eq_u16_e32 vcc_lo, 0, v7
	v_and_b32_e32 v5, 7, v232
	s_delay_alu instid0(VALU_DEP_1) | instskip(NEXT) | instid1(VALU_DEP_1)
	v_clz_i32_u32_e32 v6, v5
	v_min_u32_e32 v6, 32, v6
	s_delay_alu instid0(VALU_DEP_1) | instskip(SKIP_2) | instid1(VALU_DEP_1)
	v_subrev_nc_u32_e32 v8, 28, v6
	v_sub_nc_u32_e32 v6, 29, v6
	s_wait_alu 0xfffd
	v_cndmask_b32_e32 v6, v7, v6, vcc_lo
	s_delay_alu instid0(VALU_DEP_3) | instskip(SKIP_1) | instid1(VALU_DEP_3)
	v_lshlrev_b32_e32 v8, v8, v5
	v_lshlrev_b32_e32 v7, 31, v9
	v_lshl_add_u32 v6, v6, 23, 0x3b800000
	s_delay_alu instid0(VALU_DEP_3) | instskip(NEXT) | instid1(VALU_DEP_1)
	v_and_b32_e32 v8, 7, v8
	v_cndmask_b32_e32 v5, v5, v8, vcc_lo
	s_delay_alu instid0(VALU_DEP_1) | instskip(NEXT) | instid1(VALU_DEP_1)
	v_lshlrev_b32_e32 v5, 20, v5
	v_or3_b32 v152, v7, v6, v5
.LBB10_199:
	s_or_b32 exec_lo, exec_lo, s1
	v_and_b32_e32 v254, 0xff, v234
	s_mov_b32 s0, 0
	s_mov_b32 s1, exec_lo
	s_delay_alu instid0(VALU_DEP_1)
	v_cmpx_lt_i16_e64 0x7f, v254
	s_xor_b32 s1, exec_lo, s1
	s_cbranch_execnz .LBB10_708
; %bb.200:
	s_or_saveexec_b32 s1, s1
	v_mov_b32_e32 v232, 0x7f800001
	s_xor_b32 exec_lo, exec_lo, s1
	s_cbranch_execnz .LBB10_711
.LBB10_201:
	s_or_b32 exec_lo, exec_lo, s1
	s_and_saveexec_b32 s1, s0
	s_cbranch_execz .LBB10_203
.LBB10_202:
	v_and_b32_e32 v5, 7, v234
	v_lshrrev_b16 v7, 3, v234
	v_lshrrev_b16 v9, 7, v234
	s_delay_alu instid0(VALU_DEP_3) | instskip(NEXT) | instid1(VALU_DEP_3)
	v_clz_i32_u32_e32 v6, v5
	v_and_b32_e32 v7, 15, v7
	s_delay_alu instid0(VALU_DEP_2) | instskip(NEXT) | instid1(VALU_DEP_2)
	v_min_u32_e32 v6, 32, v6
	v_cmp_eq_u16_e32 vcc_lo, 0, v7
	s_delay_alu instid0(VALU_DEP_2) | instskip(SKIP_1) | instid1(VALU_DEP_2)
	v_subrev_nc_u32_e32 v8, 28, v6
	v_sub_nc_u32_e32 v6, 29, v6
	v_lshlrev_b32_e32 v8, v8, v5
	s_wait_alu 0xfffd
	s_delay_alu instid0(VALU_DEP_2) | instskip(NEXT) | instid1(VALU_DEP_2)
	v_dual_cndmask_b32 v6, v7, v6 :: v_dual_lshlrev_b32 v7, 31, v9
	v_and_b32_e32 v8, 7, v8
	s_delay_alu instid0(VALU_DEP_2) | instskip(NEXT) | instid1(VALU_DEP_2)
	v_lshl_add_u32 v6, v6, 23, 0x3b800000
	v_cndmask_b32_e32 v5, v5, v8, vcc_lo
	s_delay_alu instid0(VALU_DEP_1) | instskip(NEXT) | instid1(VALU_DEP_1)
	v_lshlrev_b32_e32 v5, 20, v5
	v_or3_b32 v232, v7, v6, v5
.LBB10_203:
	s_or_b32 exec_lo, exec_lo, s1
	s_mov_b32 s1, 0
	s_mov_b32 s0, exec_lo
	v_cmpx_lt_i16_e64 0x7f, v236
	s_xor_b32 s0, exec_lo, s0
	s_cbranch_execnz .LBB10_712
; %bb.204:
	s_or_saveexec_b32 s0, s0
	v_mov_b32_e32 v234, 0x7f800001
	s_xor_b32 exec_lo, exec_lo, s0
	s_cbranch_execnz .LBB10_715
.LBB10_205:
	s_or_b32 exec_lo, exec_lo, s0
	s_and_saveexec_b32 s0, s1
	s_cbranch_execz .LBB10_207
.LBB10_206:
	v_lshrrev_b16 v7, 3, v236
	v_lshrrev_b16 v9, 7, v236
	s_delay_alu instid0(VALU_DEP_2) | instskip(NEXT) | instid1(VALU_DEP_1)
	v_and_b32_e32 v7, 15, v7
	v_cmp_eq_u16_e32 vcc_lo, 0, v7
	v_and_b32_e32 v5, 7, v236
	s_delay_alu instid0(VALU_DEP_1) | instskip(NEXT) | instid1(VALU_DEP_1)
	v_clz_i32_u32_e32 v6, v5
	v_min_u32_e32 v6, 32, v6
	s_delay_alu instid0(VALU_DEP_1) | instskip(SKIP_2) | instid1(VALU_DEP_1)
	v_subrev_nc_u32_e32 v8, 28, v6
	v_sub_nc_u32_e32 v6, 29, v6
	s_wait_alu 0xfffd
	v_cndmask_b32_e32 v6, v7, v6, vcc_lo
	s_delay_alu instid0(VALU_DEP_3) | instskip(SKIP_1) | instid1(VALU_DEP_3)
	v_lshlrev_b32_e32 v8, v8, v5
	v_lshlrev_b32_e32 v7, 31, v9
	v_lshl_add_u32 v6, v6, 23, 0x3b800000
	s_delay_alu instid0(VALU_DEP_3) | instskip(NEXT) | instid1(VALU_DEP_1)
	v_and_b32_e32 v8, 7, v8
	v_cndmask_b32_e32 v5, v5, v8, vcc_lo
	s_delay_alu instid0(VALU_DEP_1) | instskip(NEXT) | instid1(VALU_DEP_1)
	v_lshlrev_b32_e32 v5, 20, v5
	v_or3_b32 v234, v7, v6, v5
.LBB10_207:
	s_or_b32 exec_lo, exec_lo, s0
	v_and_b32_e32 v254, 0xff, v145
	s_mov_b32 s0, 0
	s_mov_b32 s1, exec_lo
	s_delay_alu instid0(VALU_DEP_1)
	v_cmpx_lt_i16_e64 0x7f, v254
	s_xor_b32 s1, exec_lo, s1
	s_cbranch_execnz .LBB10_716
; %bb.208:
	s_or_saveexec_b32 s1, s1
	v_mov_b32_e32 v236, 0x7f800001
	s_xor_b32 exec_lo, exec_lo, s1
	s_cbranch_execnz .LBB10_719
.LBB10_209:
	s_or_b32 exec_lo, exec_lo, s1
	s_and_saveexec_b32 s1, s0
	s_cbranch_execz .LBB10_211
.LBB10_210:
	v_lshrrev_b16 v7, 3, v145
	v_lshrrev_b16 v9, 7, v145
	s_delay_alu instid0(VALU_DEP_2) | instskip(NEXT) | instid1(VALU_DEP_1)
	v_and_b32_e32 v7, 15, v7
	v_cmp_eq_u16_e32 vcc_lo, 0, v7
	v_and_b32_e32 v5, 7, v145
	s_delay_alu instid0(VALU_DEP_1) | instskip(NEXT) | instid1(VALU_DEP_1)
	v_clz_i32_u32_e32 v6, v5
	v_min_u32_e32 v6, 32, v6
	s_delay_alu instid0(VALU_DEP_1) | instskip(SKIP_2) | instid1(VALU_DEP_1)
	v_subrev_nc_u32_e32 v8, 28, v6
	v_sub_nc_u32_e32 v6, 29, v6
	s_wait_alu 0xfffd
	v_cndmask_b32_e32 v6, v7, v6, vcc_lo
	s_delay_alu instid0(VALU_DEP_3) | instskip(SKIP_1) | instid1(VALU_DEP_3)
	v_lshlrev_b32_e32 v8, v8, v5
	v_lshlrev_b32_e32 v7, 31, v9
	v_lshl_add_u32 v6, v6, 23, 0x3b800000
	s_delay_alu instid0(VALU_DEP_3) | instskip(NEXT) | instid1(VALU_DEP_1)
	v_and_b32_e32 v8, 7, v8
	v_cndmask_b32_e32 v5, v5, v8, vcc_lo
	s_delay_alu instid0(VALU_DEP_1) | instskip(NEXT) | instid1(VALU_DEP_1)
	v_lshlrev_b32_e32 v5, 20, v5
	v_or3_b32 v236, v7, v6, v5
.LBB10_211:
	s_or_b32 exec_lo, exec_lo, s1
	v_and_b32_e32 v254, 0xff, v239
	s_mov_b32 s0, 0
	s_mov_b32 s1, exec_lo
	s_delay_alu instid0(VALU_DEP_1)
	v_cmpx_lt_i16_e64 0x7f, v254
	s_xor_b32 s1, exec_lo, s1
	s_cbranch_execnz .LBB10_720
; %bb.212:
	s_or_saveexec_b32 s1, s1
	v_mov_b32_e32 v145, 0x7f800001
	s_xor_b32 exec_lo, exec_lo, s1
	s_cbranch_execnz .LBB10_723
.LBB10_213:
	s_or_b32 exec_lo, exec_lo, s1
	s_and_saveexec_b32 s1, s0
	s_cbranch_execz .LBB10_215
.LBB10_214:
	v_lshrrev_b16 v7, 3, v239
	v_lshrrev_b16 v9, 7, v239
	s_delay_alu instid0(VALU_DEP_2) | instskip(NEXT) | instid1(VALU_DEP_1)
	v_and_b32_e32 v7, 15, v7
	v_cmp_eq_u16_e32 vcc_lo, 0, v7
	v_and_b32_e32 v5, 7, v239
	s_delay_alu instid0(VALU_DEP_1) | instskip(NEXT) | instid1(VALU_DEP_1)
	v_clz_i32_u32_e32 v6, v5
	v_min_u32_e32 v6, 32, v6
	s_delay_alu instid0(VALU_DEP_1) | instskip(SKIP_2) | instid1(VALU_DEP_1)
	v_subrev_nc_u32_e32 v8, 28, v6
	v_sub_nc_u32_e32 v6, 29, v6
	s_wait_alu 0xfffd
	v_cndmask_b32_e32 v6, v7, v6, vcc_lo
	s_delay_alu instid0(VALU_DEP_3) | instskip(SKIP_1) | instid1(VALU_DEP_3)
	v_lshlrev_b32_e32 v8, v8, v5
	v_lshlrev_b32_e32 v7, 31, v9
	v_lshl_add_u32 v6, v6, 23, 0x3b800000
	s_delay_alu instid0(VALU_DEP_3) | instskip(NEXT) | instid1(VALU_DEP_1)
	v_and_b32_e32 v8, 7, v8
	v_cndmask_b32_e32 v5, v5, v8, vcc_lo
	s_delay_alu instid0(VALU_DEP_1) | instskip(NEXT) | instid1(VALU_DEP_1)
	v_lshlrev_b32_e32 v5, 20, v5
	v_or3_b32 v145, v7, v6, v5
.LBB10_215:
	s_or_b32 exec_lo, exec_lo, s1
	v_and_b32_e32 v254, 0xff, v240
	s_mov_b32 s0, 0
	s_mov_b32 s1, exec_lo
	s_delay_alu instid0(VALU_DEP_1)
	v_cmpx_lt_i16_e64 0x7f, v254
	s_xor_b32 s1, exec_lo, s1
	s_cbranch_execnz .LBB10_724
; %bb.216:
	s_or_saveexec_b32 s1, s1
	v_mov_b32_e32 v239, 0x7f800001
	s_xor_b32 exec_lo, exec_lo, s1
	s_cbranch_execnz .LBB10_727
.LBB10_217:
	s_or_b32 exec_lo, exec_lo, s1
	s_and_saveexec_b32 s1, s0
	s_cbranch_execz .LBB10_219
.LBB10_218:
	v_lshrrev_b16 v7, 3, v240
	v_lshrrev_b16 v9, 7, v240
	s_delay_alu instid0(VALU_DEP_2) | instskip(NEXT) | instid1(VALU_DEP_1)
	v_and_b32_e32 v7, 15, v7
	v_cmp_eq_u16_e32 vcc_lo, 0, v7
	v_and_b32_e32 v5, 7, v240
	s_delay_alu instid0(VALU_DEP_1) | instskip(NEXT) | instid1(VALU_DEP_1)
	v_clz_i32_u32_e32 v6, v5
	v_min_u32_e32 v6, 32, v6
	s_delay_alu instid0(VALU_DEP_1) | instskip(SKIP_2) | instid1(VALU_DEP_1)
	v_subrev_nc_u32_e32 v8, 28, v6
	v_sub_nc_u32_e32 v6, 29, v6
	s_wait_alu 0xfffd
	v_cndmask_b32_e32 v6, v7, v6, vcc_lo
	s_delay_alu instid0(VALU_DEP_3) | instskip(SKIP_1) | instid1(VALU_DEP_3)
	v_lshlrev_b32_e32 v8, v8, v5
	v_lshlrev_b32_e32 v7, 31, v9
	v_lshl_add_u32 v6, v6, 23, 0x3b800000
	s_delay_alu instid0(VALU_DEP_3) | instskip(NEXT) | instid1(VALU_DEP_1)
	v_and_b32_e32 v8, 7, v8
	v_cndmask_b32_e32 v5, v5, v8, vcc_lo
	s_delay_alu instid0(VALU_DEP_1) | instskip(NEXT) | instid1(VALU_DEP_1)
	v_lshlrev_b32_e32 v5, 20, v5
	v_or3_b32 v239, v7, v6, v5
.LBB10_219:
	s_or_b32 exec_lo, exec_lo, s1
	s_mov_b32 s1, 0
	s_mov_b32 s0, exec_lo
	v_cmpx_lt_i16_e64 0x7f, v242
	s_xor_b32 s0, exec_lo, s0
	s_cbranch_execnz .LBB10_728
; %bb.220:
	s_or_saveexec_b32 s0, s0
	v_mov_b32_e32 v240, 0x7f800001
	s_xor_b32 exec_lo, exec_lo, s0
	s_cbranch_execnz .LBB10_731
.LBB10_221:
	s_or_b32 exec_lo, exec_lo, s0
	s_and_saveexec_b32 s0, s1
	s_cbranch_execz .LBB10_223
.LBB10_222:
	v_and_b32_e32 v5, 7, v242
	v_lshrrev_b16 v7, 3, v242
	v_lshrrev_b16 v9, 7, v242
	s_delay_alu instid0(VALU_DEP_3) | instskip(NEXT) | instid1(VALU_DEP_3)
	v_clz_i32_u32_e32 v6, v5
	v_and_b32_e32 v7, 15, v7
	s_delay_alu instid0(VALU_DEP_2) | instskip(NEXT) | instid1(VALU_DEP_2)
	v_min_u32_e32 v6, 32, v6
	v_cmp_eq_u16_e32 vcc_lo, 0, v7
	s_delay_alu instid0(VALU_DEP_2) | instskip(SKIP_1) | instid1(VALU_DEP_2)
	v_subrev_nc_u32_e32 v8, 28, v6
	v_sub_nc_u32_e32 v6, 29, v6
	v_lshlrev_b32_e32 v8, v8, v5
	s_wait_alu 0xfffd
	s_delay_alu instid0(VALU_DEP_2) | instskip(NEXT) | instid1(VALU_DEP_2)
	v_dual_cndmask_b32 v6, v7, v6 :: v_dual_lshlrev_b32 v7, 31, v9
	v_and_b32_e32 v8, 7, v8
	s_delay_alu instid0(VALU_DEP_2) | instskip(NEXT) | instid1(VALU_DEP_2)
	v_lshl_add_u32 v6, v6, 23, 0x3b800000
	v_cndmask_b32_e32 v5, v5, v8, vcc_lo
	s_delay_alu instid0(VALU_DEP_1) | instskip(NEXT) | instid1(VALU_DEP_1)
	v_lshlrev_b32_e32 v5, 20, v5
	v_or3_b32 v240, v7, v6, v5
.LBB10_223:
	s_or_b32 exec_lo, exec_lo, s0
	v_and_b32_e32 v254, 0xff, v146
	s_mov_b32 s0, 0
	s_mov_b32 s1, exec_lo
	s_delay_alu instid0(VALU_DEP_1)
	v_cmpx_lt_i16_e64 0x7f, v254
	s_xor_b32 s1, exec_lo, s1
	s_cbranch_execnz .LBB10_732
; %bb.224:
	s_or_saveexec_b32 s1, s1
	v_mov_b32_e32 v242, 0x7f800001
	s_xor_b32 exec_lo, exec_lo, s1
	s_cbranch_execnz .LBB10_735
.LBB10_225:
	s_or_b32 exec_lo, exec_lo, s1
	s_and_saveexec_b32 s1, s0
	s_cbranch_execz .LBB10_227
.LBB10_226:
	v_and_b32_e32 v5, 7, v146
	v_lshrrev_b16 v7, 3, v146
	v_lshrrev_b16 v9, 7, v146
	s_delay_alu instid0(VALU_DEP_3) | instskip(NEXT) | instid1(VALU_DEP_3)
	v_clz_i32_u32_e32 v6, v5
	v_and_b32_e32 v7, 15, v7
	s_delay_alu instid0(VALU_DEP_2) | instskip(NEXT) | instid1(VALU_DEP_2)
	v_min_u32_e32 v6, 32, v6
	v_cmp_eq_u16_e32 vcc_lo, 0, v7
	s_delay_alu instid0(VALU_DEP_2) | instskip(SKIP_1) | instid1(VALU_DEP_2)
	v_subrev_nc_u32_e32 v8, 28, v6
	v_sub_nc_u32_e32 v6, 29, v6
	v_lshlrev_b32_e32 v8, v8, v5
	s_wait_alu 0xfffd
	s_delay_alu instid0(VALU_DEP_2) | instskip(NEXT) | instid1(VALU_DEP_2)
	v_dual_cndmask_b32 v6, v7, v6 :: v_dual_lshlrev_b32 v7, 31, v9
	v_and_b32_e32 v8, 7, v8
	s_delay_alu instid0(VALU_DEP_2) | instskip(NEXT) | instid1(VALU_DEP_2)
	v_lshl_add_u32 v6, v6, 23, 0x3b800000
	v_cndmask_b32_e32 v5, v5, v8, vcc_lo
	s_delay_alu instid0(VALU_DEP_1) | instskip(NEXT) | instid1(VALU_DEP_1)
	v_lshlrev_b32_e32 v5, 20, v5
	v_or3_b32 v242, v7, v6, v5
.LBB10_227:
	s_or_b32 exec_lo, exec_lo, s1
	v_and_b32_e32 v254, 0xff, v245
	s_mov_b32 s0, 0
	s_mov_b32 s1, exec_lo
	s_delay_alu instid0(VALU_DEP_1)
	v_cmpx_lt_i16_e64 0x7f, v254
	s_xor_b32 s1, exec_lo, s1
	s_cbranch_execnz .LBB10_736
; %bb.228:
	s_or_saveexec_b32 s1, s1
	v_mov_b32_e32 v146, 0x7f800001
	s_xor_b32 exec_lo, exec_lo, s1
	s_cbranch_execnz .LBB10_739
.LBB10_229:
	s_or_b32 exec_lo, exec_lo, s1
	s_and_saveexec_b32 s1, s0
	s_cbranch_execz .LBB10_231
.LBB10_230:
	v_lshrrev_b16 v7, 3, v245
	v_lshrrev_b16 v9, 7, v245
	s_delay_alu instid0(VALU_DEP_2) | instskip(NEXT) | instid1(VALU_DEP_1)
	v_and_b32_e32 v7, 15, v7
	v_cmp_eq_u16_e32 vcc_lo, 0, v7
	v_and_b32_e32 v5, 7, v245
	s_delay_alu instid0(VALU_DEP_1) | instskip(NEXT) | instid1(VALU_DEP_1)
	v_clz_i32_u32_e32 v6, v5
	v_min_u32_e32 v6, 32, v6
	s_delay_alu instid0(VALU_DEP_1) | instskip(SKIP_2) | instid1(VALU_DEP_1)
	v_subrev_nc_u32_e32 v8, 28, v6
	v_sub_nc_u32_e32 v6, 29, v6
	s_wait_alu 0xfffd
	v_cndmask_b32_e32 v6, v7, v6, vcc_lo
	s_delay_alu instid0(VALU_DEP_3) | instskip(SKIP_1) | instid1(VALU_DEP_3)
	v_lshlrev_b32_e32 v8, v8, v5
	v_lshlrev_b32_e32 v7, 31, v9
	v_lshl_add_u32 v6, v6, 23, 0x3b800000
	s_delay_alu instid0(VALU_DEP_3) | instskip(NEXT) | instid1(VALU_DEP_1)
	v_and_b32_e32 v8, 7, v8
	v_cndmask_b32_e32 v5, v5, v8, vcc_lo
	s_delay_alu instid0(VALU_DEP_1) | instskip(NEXT) | instid1(VALU_DEP_1)
	v_lshlrev_b32_e32 v5, 20, v5
	v_or3_b32 v146, v7, v6, v5
.LBB10_231:
	s_or_b32 exec_lo, exec_lo, s1
	v_and_b32_e32 v254, 0xff, v246
	s_mov_b32 s0, 0
	s_mov_b32 s1, exec_lo
	s_delay_alu instid0(VALU_DEP_1)
	v_cmpx_lt_i16_e64 0x7f, v254
	s_xor_b32 s1, exec_lo, s1
	s_cbranch_execnz .LBB10_740
; %bb.232:
	s_or_saveexec_b32 s1, s1
	v_mov_b32_e32 v245, 0x7f800001
	s_xor_b32 exec_lo, exec_lo, s1
	s_cbranch_execnz .LBB10_743
.LBB10_233:
	s_or_b32 exec_lo, exec_lo, s1
	s_and_saveexec_b32 s1, s0
	s_cbranch_execz .LBB10_235
.LBB10_234:
	v_and_b32_e32 v5, 7, v246
	v_lshrrev_b16 v7, 3, v246
	v_lshrrev_b16 v9, 7, v246
	s_delay_alu instid0(VALU_DEP_3) | instskip(NEXT) | instid1(VALU_DEP_3)
	v_clz_i32_u32_e32 v6, v5
	v_and_b32_e32 v7, 15, v7
	s_delay_alu instid0(VALU_DEP_2) | instskip(NEXT) | instid1(VALU_DEP_2)
	v_min_u32_e32 v6, 32, v6
	v_cmp_eq_u16_e32 vcc_lo, 0, v7
	s_delay_alu instid0(VALU_DEP_2) | instskip(SKIP_1) | instid1(VALU_DEP_2)
	v_subrev_nc_u32_e32 v8, 28, v6
	v_sub_nc_u32_e32 v6, 29, v6
	v_lshlrev_b32_e32 v8, v8, v5
	s_wait_alu 0xfffd
	s_delay_alu instid0(VALU_DEP_2) | instskip(NEXT) | instid1(VALU_DEP_2)
	v_dual_cndmask_b32 v6, v7, v6 :: v_dual_lshlrev_b32 v7, 31, v9
	v_and_b32_e32 v8, 7, v8
	s_delay_alu instid0(VALU_DEP_2) | instskip(NEXT) | instid1(VALU_DEP_2)
	v_lshl_add_u32 v6, v6, 23, 0x3b800000
	v_cndmask_b32_e32 v5, v5, v8, vcc_lo
	s_delay_alu instid0(VALU_DEP_1) | instskip(NEXT) | instid1(VALU_DEP_1)
	v_lshlrev_b32_e32 v5, 20, v5
	v_or3_b32 v245, v7, v6, v5
.LBB10_235:
	s_or_b32 exec_lo, exec_lo, s1
	s_mov_b32 s1, 0
	s_mov_b32 s0, exec_lo
	v_cmpx_lt_i16_e64 0x7f, v248
	s_xor_b32 s0, exec_lo, s0
	s_cbranch_execnz .LBB10_744
; %bb.236:
	s_or_saveexec_b32 s0, s0
	v_mov_b32_e32 v246, 0x7f800001
	s_xor_b32 exec_lo, exec_lo, s0
	s_cbranch_execnz .LBB10_747
.LBB10_237:
	s_or_b32 exec_lo, exec_lo, s0
	s_and_saveexec_b32 s0, s1
	s_cbranch_execz .LBB10_239
.LBB10_238:
	v_lshrrev_b16 v7, 3, v248
	v_lshrrev_b16 v9, 7, v248
	s_delay_alu instid0(VALU_DEP_2) | instskip(NEXT) | instid1(VALU_DEP_1)
	v_and_b32_e32 v7, 15, v7
	v_cmp_eq_u16_e32 vcc_lo, 0, v7
	v_and_b32_e32 v5, 7, v248
	s_delay_alu instid0(VALU_DEP_1) | instskip(NEXT) | instid1(VALU_DEP_1)
	v_clz_i32_u32_e32 v6, v5
	v_min_u32_e32 v6, 32, v6
	s_delay_alu instid0(VALU_DEP_1) | instskip(SKIP_2) | instid1(VALU_DEP_1)
	v_subrev_nc_u32_e32 v8, 28, v6
	v_sub_nc_u32_e32 v6, 29, v6
	s_wait_alu 0xfffd
	v_cndmask_b32_e32 v6, v7, v6, vcc_lo
	s_delay_alu instid0(VALU_DEP_3) | instskip(SKIP_1) | instid1(VALU_DEP_3)
	v_lshlrev_b32_e32 v8, v8, v5
	v_lshlrev_b32_e32 v7, 31, v9
	v_lshl_add_u32 v6, v6, 23, 0x3b800000
	s_delay_alu instid0(VALU_DEP_3) | instskip(NEXT) | instid1(VALU_DEP_1)
	v_and_b32_e32 v8, 7, v8
	v_cndmask_b32_e32 v5, v5, v8, vcc_lo
	s_delay_alu instid0(VALU_DEP_1) | instskip(NEXT) | instid1(VALU_DEP_1)
	v_lshlrev_b32_e32 v5, 20, v5
	v_or3_b32 v246, v7, v6, v5
.LBB10_239:
	s_or_b32 exec_lo, exec_lo, s0
	v_and_b32_e32 v254, 0xff, v147
	s_mov_b32 s0, 0
	s_mov_b32 s1, exec_lo
	s_delay_alu instid0(VALU_DEP_1)
	v_cmpx_lt_i16_e64 0x7f, v254
	s_xor_b32 s1, exec_lo, s1
	s_cbranch_execnz .LBB10_748
; %bb.240:
	s_or_saveexec_b32 s1, s1
	v_mov_b32_e32 v248, 0x7f800001
	s_xor_b32 exec_lo, exec_lo, s1
	s_cbranch_execnz .LBB10_751
.LBB10_241:
	s_or_b32 exec_lo, exec_lo, s1
	s_and_saveexec_b32 s1, s0
	s_cbranch_execz .LBB10_243
.LBB10_242:
	v_lshrrev_b16 v7, 3, v147
	v_lshrrev_b16 v9, 7, v147
	s_delay_alu instid0(VALU_DEP_2) | instskip(NEXT) | instid1(VALU_DEP_1)
	v_and_b32_e32 v7, 15, v7
	v_cmp_eq_u16_e32 vcc_lo, 0, v7
	v_and_b32_e32 v5, 7, v147
	s_delay_alu instid0(VALU_DEP_1) | instskip(NEXT) | instid1(VALU_DEP_1)
	v_clz_i32_u32_e32 v6, v5
	v_min_u32_e32 v6, 32, v6
	s_delay_alu instid0(VALU_DEP_1) | instskip(SKIP_2) | instid1(VALU_DEP_1)
	v_subrev_nc_u32_e32 v8, 28, v6
	v_sub_nc_u32_e32 v6, 29, v6
	s_wait_alu 0xfffd
	v_cndmask_b32_e32 v6, v7, v6, vcc_lo
	s_delay_alu instid0(VALU_DEP_3) | instskip(SKIP_1) | instid1(VALU_DEP_3)
	v_lshlrev_b32_e32 v8, v8, v5
	v_lshlrev_b32_e32 v7, 31, v9
	v_lshl_add_u32 v6, v6, 23, 0x3b800000
	s_delay_alu instid0(VALU_DEP_3) | instskip(NEXT) | instid1(VALU_DEP_1)
	v_and_b32_e32 v8, 7, v8
	v_cndmask_b32_e32 v5, v5, v8, vcc_lo
	s_delay_alu instid0(VALU_DEP_1) | instskip(NEXT) | instid1(VALU_DEP_1)
	v_lshlrev_b32_e32 v5, 20, v5
	v_or3_b32 v248, v7, v6, v5
.LBB10_243:
	s_or_b32 exec_lo, exec_lo, s1
	v_and_b32_e32 v254, 0xff, v251
	s_mov_b32 s0, 0
	s_mov_b32 s1, exec_lo
	s_delay_alu instid0(VALU_DEP_1)
	v_cmpx_lt_i16_e64 0x7f, v254
	s_xor_b32 s1, exec_lo, s1
	s_cbranch_execnz .LBB10_752
; %bb.244:
	s_or_saveexec_b32 s1, s1
	v_mov_b32_e32 v147, 0x7f800001
	s_xor_b32 exec_lo, exec_lo, s1
	s_cbranch_execnz .LBB10_755
.LBB10_245:
	s_or_b32 exec_lo, exec_lo, s1
	s_and_saveexec_b32 s1, s0
	s_cbranch_execz .LBB10_247
.LBB10_246:
	v_lshrrev_b16 v7, 3, v251
	v_lshrrev_b16 v9, 7, v251
	s_delay_alu instid0(VALU_DEP_2) | instskip(NEXT) | instid1(VALU_DEP_1)
	v_and_b32_e32 v7, 15, v7
	v_cmp_eq_u16_e32 vcc_lo, 0, v7
	v_and_b32_e32 v5, 7, v251
	s_delay_alu instid0(VALU_DEP_1) | instskip(NEXT) | instid1(VALU_DEP_1)
	v_clz_i32_u32_e32 v6, v5
	v_min_u32_e32 v6, 32, v6
	s_delay_alu instid0(VALU_DEP_1) | instskip(SKIP_2) | instid1(VALU_DEP_1)
	v_subrev_nc_u32_e32 v8, 28, v6
	v_sub_nc_u32_e32 v6, 29, v6
	s_wait_alu 0xfffd
	v_cndmask_b32_e32 v6, v7, v6, vcc_lo
	s_delay_alu instid0(VALU_DEP_3) | instskip(SKIP_1) | instid1(VALU_DEP_3)
	v_lshlrev_b32_e32 v8, v8, v5
	v_lshlrev_b32_e32 v7, 31, v9
	v_lshl_add_u32 v6, v6, 23, 0x3b800000
	s_delay_alu instid0(VALU_DEP_3) | instskip(NEXT) | instid1(VALU_DEP_1)
	v_and_b32_e32 v8, 7, v8
	v_cndmask_b32_e32 v5, v5, v8, vcc_lo
	s_delay_alu instid0(VALU_DEP_1) | instskip(NEXT) | instid1(VALU_DEP_1)
	v_lshlrev_b32_e32 v5, 20, v5
	v_or3_b32 v147, v7, v6, v5
.LBB10_247:
	s_or_b32 exec_lo, exec_lo, s1
	v_and_b32_e32 v254, 0xff, v252
	s_mov_b32 s0, 0
	s_mov_b32 s1, exec_lo
	s_delay_alu instid0(VALU_DEP_1)
	v_cmpx_lt_i16_e64 0x7f, v254
	s_xor_b32 s1, exec_lo, s1
	s_cbranch_execnz .LBB10_756
; %bb.248:
	s_or_saveexec_b32 s1, s1
	v_mov_b32_e32 v251, 0x7f800001
	s_xor_b32 exec_lo, exec_lo, s1
	s_cbranch_execnz .LBB10_759
.LBB10_249:
	s_or_b32 exec_lo, exec_lo, s1
	s_and_saveexec_b32 s1, s0
	s_cbranch_execz .LBB10_251
.LBB10_250:
	v_lshrrev_b16 v7, 3, v252
	v_lshrrev_b16 v9, 7, v252
	s_delay_alu instid0(VALU_DEP_2) | instskip(NEXT) | instid1(VALU_DEP_1)
	v_and_b32_e32 v7, 15, v7
	v_cmp_eq_u16_e32 vcc_lo, 0, v7
	v_and_b32_e32 v5, 7, v252
	s_delay_alu instid0(VALU_DEP_1) | instskip(NEXT) | instid1(VALU_DEP_1)
	v_clz_i32_u32_e32 v6, v5
	v_min_u32_e32 v6, 32, v6
	s_delay_alu instid0(VALU_DEP_1) | instskip(SKIP_2) | instid1(VALU_DEP_1)
	v_subrev_nc_u32_e32 v8, 28, v6
	v_sub_nc_u32_e32 v6, 29, v6
	s_wait_alu 0xfffd
	v_cndmask_b32_e32 v6, v7, v6, vcc_lo
	s_delay_alu instid0(VALU_DEP_3) | instskip(SKIP_1) | instid1(VALU_DEP_3)
	v_lshlrev_b32_e32 v8, v8, v5
	v_lshlrev_b32_e32 v7, 31, v9
	v_lshl_add_u32 v6, v6, 23, 0x3b800000
	s_delay_alu instid0(VALU_DEP_3) | instskip(NEXT) | instid1(VALU_DEP_1)
	v_and_b32_e32 v8, 7, v8
	v_cndmask_b32_e32 v5, v5, v8, vcc_lo
	s_delay_alu instid0(VALU_DEP_1) | instskip(NEXT) | instid1(VALU_DEP_1)
	v_lshlrev_b32_e32 v5, 20, v5
	v_or3_b32 v251, v7, v6, v5
.LBB10_251:
	s_or_b32 exec_lo, exec_lo, s1
	s_mov_b32 s1, 0
	s_mov_b32 s0, exec_lo
	v_cmpx_lt_i16_e32 0x7f, v4
	s_xor_b32 s0, exec_lo, s0
	s_cbranch_execnz .LBB10_760
; %bb.252:
	s_or_saveexec_b32 s0, s0
	v_mov_b32_e32 v252, 0x7f800001
	s_xor_b32 exec_lo, exec_lo, s0
	s_cbranch_execnz .LBB10_763
.LBB10_253:
	s_or_b32 exec_lo, exec_lo, s0
	s_and_saveexec_b32 s0, s1
	s_cbranch_execz .LBB10_255
.LBB10_254:
	v_lshrrev_b16 v7, 3, v4
	s_delay_alu instid0(VALU_DEP_1) | instskip(NEXT) | instid1(VALU_DEP_1)
	v_and_b32_e32 v7, 15, v7
	v_cmp_eq_u16_e32 vcc_lo, 0, v7
	v_and_b32_e32 v5, 7, v4
	v_lshrrev_b16 v4, 7, v4
	s_delay_alu instid0(VALU_DEP_2) | instskip(NEXT) | instid1(VALU_DEP_2)
	v_clz_i32_u32_e32 v6, v5
	v_lshlrev_b32_e32 v4, 31, v4
	s_delay_alu instid0(VALU_DEP_2) | instskip(NEXT) | instid1(VALU_DEP_1)
	v_min_u32_e32 v6, 32, v6
	v_subrev_nc_u32_e32 v8, 28, v6
	v_sub_nc_u32_e32 v6, 29, v6
	s_wait_alu 0xfffd
	s_delay_alu instid0(VALU_DEP_1) | instskip(NEXT) | instid1(VALU_DEP_3)
	v_cndmask_b32_e32 v6, v7, v6, vcc_lo
	v_lshlrev_b32_e32 v8, v8, v5
	s_delay_alu instid0(VALU_DEP_2) | instskip(NEXT) | instid1(VALU_DEP_2)
	v_lshl_add_u32 v6, v6, 23, 0x3b800000
	v_and_b32_e32 v8, 7, v8
	s_delay_alu instid0(VALU_DEP_1) | instskip(NEXT) | instid1(VALU_DEP_1)
	v_cndmask_b32_e32 v5, v5, v8, vcc_lo
	v_lshlrev_b32_e32 v5, 20, v5
	s_delay_alu instid0(VALU_DEP_1)
	v_or3_b32 v252, v4, v6, v5
.LBB10_255:
	s_or_b32 exec_lo, exec_lo, s0
	v_and_b32_e32 v4, 0xff, v148
	s_mov_b32 s0, 0
	s_mov_b32 s1, exec_lo
	s_delay_alu instid0(VALU_DEP_1)
	v_cmpx_lt_i16_e32 0x7f, v4
	s_xor_b32 s1, exec_lo, s1
	s_cbranch_execnz .LBB10_764
; %bb.256:
	s_or_saveexec_b32 s1, s1
	v_mov_b32_e32 v254, 0x7f800001
	s_xor_b32 exec_lo, exec_lo, s1
	s_cbranch_execnz .LBB10_767
.LBB10_257:
	s_or_b32 exec_lo, exec_lo, s1
	s_and_saveexec_b32 s1, s0
	s_cbranch_execz .LBB10_259
.LBB10_258:
	v_lshrrev_b16 v6, 3, v148
	v_lshrrev_b16 v8, 7, v148
	s_delay_alu instid0(VALU_DEP_2) | instskip(NEXT) | instid1(VALU_DEP_1)
	v_and_b32_e32 v6, 15, v6
	v_cmp_eq_u16_e32 vcc_lo, 0, v6
	v_and_b32_e32 v4, 7, v148
	s_delay_alu instid0(VALU_DEP_1) | instskip(NEXT) | instid1(VALU_DEP_1)
	v_clz_i32_u32_e32 v5, v4
	v_min_u32_e32 v5, 32, v5
	s_delay_alu instid0(VALU_DEP_1) | instskip(SKIP_2) | instid1(VALU_DEP_1)
	v_subrev_nc_u32_e32 v7, 28, v5
	v_sub_nc_u32_e32 v5, 29, v5
	s_wait_alu 0xfffd
	v_cndmask_b32_e32 v5, v6, v5, vcc_lo
	s_delay_alu instid0(VALU_DEP_3) | instskip(SKIP_1) | instid1(VALU_DEP_3)
	v_lshlrev_b32_e32 v7, v7, v4
	v_lshlrev_b32_e32 v6, 31, v8
	v_lshl_add_u32 v5, v5, 23, 0x3b800000
	s_delay_alu instid0(VALU_DEP_3) | instskip(NEXT) | instid1(VALU_DEP_1)
	v_and_b32_e32 v7, 7, v7
	v_cndmask_b32_e32 v4, v4, v7, vcc_lo
	s_delay_alu instid0(VALU_DEP_1) | instskip(NEXT) | instid1(VALU_DEP_1)
	v_lshlrev_b32_e32 v4, 20, v4
	v_or3_b32 v254, v6, v5, v4
.LBB10_259:
	s_or_b32 exec_lo, exec_lo, s1
	v_and_b32_e32 v4, 0xff, v1
	s_mov_b32 s0, 0
	s_mov_b32 s1, exec_lo
	s_delay_alu instid0(VALU_DEP_1)
	v_cmpx_lt_i16_e32 0x7f, v4
	s_xor_b32 s1, exec_lo, s1
	s_cbranch_execnz .LBB10_768
; %bb.260:
	s_or_saveexec_b32 s1, s1
	v_mov_b32_e32 v148, 0x7f800001
	s_xor_b32 exec_lo, exec_lo, s1
	s_cbranch_execnz .LBB10_771
.LBB10_261:
	s_or_b32 exec_lo, exec_lo, s1
	s_and_saveexec_b32 s1, s0
	s_cbranch_execz .LBB10_263
.LBB10_262:
	v_and_b32_e32 v4, 7, v1
	v_lshrrev_b16 v6, 3, v1
	v_lshrrev_b16 v1, 7, v1
	s_delay_alu instid0(VALU_DEP_3) | instskip(NEXT) | instid1(VALU_DEP_3)
	v_clz_i32_u32_e32 v5, v4
	v_and_b32_e32 v6, 15, v6
	s_delay_alu instid0(VALU_DEP_3) | instskip(NEXT) | instid1(VALU_DEP_3)
	v_lshlrev_b32_e32 v1, 31, v1
	v_min_u32_e32 v5, 32, v5
	s_delay_alu instid0(VALU_DEP_3) | instskip(NEXT) | instid1(VALU_DEP_2)
	v_cmp_eq_u16_e32 vcc_lo, 0, v6
	v_subrev_nc_u32_e32 v7, 28, v5
	v_sub_nc_u32_e32 v5, 29, v5
	s_delay_alu instid0(VALU_DEP_2) | instskip(SKIP_1) | instid1(VALU_DEP_2)
	v_lshlrev_b32_e32 v7, v7, v4
	s_wait_alu 0xfffd
	v_cndmask_b32_e32 v5, v6, v5, vcc_lo
	s_delay_alu instid0(VALU_DEP_2) | instskip(NEXT) | instid1(VALU_DEP_2)
	v_and_b32_e32 v7, 7, v7
	v_lshl_add_u32 v5, v5, 23, 0x3b800000
	s_delay_alu instid0(VALU_DEP_2) | instskip(NEXT) | instid1(VALU_DEP_1)
	v_cndmask_b32_e32 v4, v4, v7, vcc_lo
	v_lshlrev_b32_e32 v4, 20, v4
	s_delay_alu instid0(VALU_DEP_1)
	v_or3_b32 v148, v1, v5, v4
.LBB10_263:
	s_or_b32 exec_lo, exec_lo, s1
	v_and_b32_e32 v4, 0xff, v2
	s_mov_b32 s0, 0
	s_mov_b32 s1, exec_lo
	s_delay_alu instid0(VALU_DEP_1)
	v_cmpx_lt_i16_e32 0x7f, v4
	s_xor_b32 s1, exec_lo, s1
	s_cbranch_execnz .LBB10_772
; %bb.264:
	s_or_saveexec_b32 s1, s1
	v_mov_b32_e32 v1, 0x7f800001
	s_xor_b32 exec_lo, exec_lo, s1
	s_cbranch_execnz .LBB10_775
.LBB10_265:
	s_or_b32 exec_lo, exec_lo, s1
	s_and_saveexec_b32 s1, s0
	s_cbranch_execz .LBB10_267
.LBB10_266:
	v_lshrrev_b16 v5, 3, v2
	s_delay_alu instid0(VALU_DEP_1) | instskip(NEXT) | instid1(VALU_DEP_1)
	v_and_b32_e32 v5, 15, v5
	v_cmp_eq_u16_e32 vcc_lo, 0, v5
	v_and_b32_e32 v1, 7, v2
	v_lshrrev_b16 v2, 7, v2
	s_delay_alu instid0(VALU_DEP_2) | instskip(NEXT) | instid1(VALU_DEP_2)
	v_clz_i32_u32_e32 v4, v1
	v_lshlrev_b32_e32 v2, 31, v2
	s_delay_alu instid0(VALU_DEP_2) | instskip(NEXT) | instid1(VALU_DEP_1)
	v_min_u32_e32 v4, 32, v4
	v_subrev_nc_u32_e32 v6, 28, v4
	v_sub_nc_u32_e32 v4, 29, v4
	s_wait_alu 0xfffd
	s_delay_alu instid0(VALU_DEP_1) | instskip(NEXT) | instid1(VALU_DEP_3)
	v_cndmask_b32_e32 v4, v5, v4, vcc_lo
	v_lshlrev_b32_e32 v6, v6, v1
	s_delay_alu instid0(VALU_DEP_2) | instskip(NEXT) | instid1(VALU_DEP_2)
	v_lshl_add_u32 v4, v4, 23, 0x3b800000
	v_and_b32_e32 v6, 7, v6
	s_delay_alu instid0(VALU_DEP_1) | instskip(NEXT) | instid1(VALU_DEP_1)
	v_cndmask_b32_e32 v1, v1, v6, vcc_lo
	v_lshlrev_b32_e32 v1, 20, v1
	s_delay_alu instid0(VALU_DEP_1)
	v_or3_b32 v1, v2, v4, v1
.LBB10_267:
	s_or_b32 exec_lo, exec_lo, s1
	s_mov_b32 s1, 0
	s_mov_b32 s0, exec_lo
	v_cmpx_lt_i16_e32 0x7f, v3
	s_xor_b32 s0, exec_lo, s0
	s_cbranch_execnz .LBB10_776
; %bb.268:
	s_or_saveexec_b32 s0, s0
	v_mov_b32_e32 v2, 0x7f800001
	s_xor_b32 exec_lo, exec_lo, s0
	s_cbranch_execnz .LBB10_779
.LBB10_269:
	s_or_b32 exec_lo, exec_lo, s0
	s_and_saveexec_b32 s0, s1
	s_cbranch_execz .LBB10_271
.LBB10_270:
	v_and_b32_e32 v2, 7, v3
	v_lshrrev_b16 v5, 3, v3
	v_lshrrev_b16 v3, 7, v3
	s_delay_alu instid0(VALU_DEP_3) | instskip(NEXT) | instid1(VALU_DEP_2)
	v_clz_i32_u32_e32 v4, v2
	v_lshlrev_b32_e32 v3, 31, v3
	s_delay_alu instid0(VALU_DEP_2) | instskip(NEXT) | instid1(VALU_DEP_1)
	v_min_u32_e32 v4, 32, v4
	v_subrev_nc_u32_e32 v6, 28, v4
	v_sub_nc_u32_e32 v4, 29, v4
	s_delay_alu instid0(VALU_DEP_2) | instskip(NEXT) | instid1(VALU_DEP_1)
	v_lshlrev_b32_e32 v6, v6, v2
	v_and_b32_e32 v6, 7, v6
	v_and_b32_e32 v5, 15, v5
	s_delay_alu instid0(VALU_DEP_1) | instskip(SKIP_1) | instid1(VALU_DEP_3)
	v_cmp_eq_u16_e32 vcc_lo, 0, v5
	s_wait_alu 0xfffd
	v_cndmask_b32_e32 v2, v2, v6, vcc_lo
	v_cndmask_b32_e32 v4, v5, v4, vcc_lo
	s_delay_alu instid0(VALU_DEP_2) | instskip(NEXT) | instid1(VALU_DEP_2)
	v_lshlrev_b32_e32 v2, 20, v2
	v_lshl_add_u32 v4, v4, 23, 0x3b800000
	s_delay_alu instid0(VALU_DEP_1)
	v_or3_b32 v2, v3, v4, v2
.LBB10_271:
	s_or_b32 exec_lo, exec_lo, s0
	v_and_b32_e32 v4, 0xff, v141
	s_mov_b32 s0, 0
	s_mov_b32 s1, exec_lo
	s_delay_alu instid0(VALU_DEP_1)
	v_cmpx_lt_i16_e32 0x7f, v4
	s_xor_b32 s1, exec_lo, s1
	s_cbranch_execnz .LBB10_780
; %bb.272:
	s_or_saveexec_b32 s1, s1
	v_mov_b32_e32 v3, 0x7f800001
	s_xor_b32 exec_lo, exec_lo, s1
	s_cbranch_execnz .LBB10_783
.LBB10_273:
	s_or_b32 exec_lo, exec_lo, s1
	s_and_saveexec_b32 s1, s0
	s_cbranch_execz .LBB10_275
.LBB10_274:
	v_lshrrev_b16 v5, 3, v141
	v_lshrrev_b16 v7, 7, v141
	s_delay_alu instid0(VALU_DEP_2) | instskip(NEXT) | instid1(VALU_DEP_1)
	v_and_b32_e32 v5, 15, v5
	v_cmp_eq_u16_e32 vcc_lo, 0, v5
	v_and_b32_e32 v3, 7, v141
	s_delay_alu instid0(VALU_DEP_1) | instskip(NEXT) | instid1(VALU_DEP_1)
	v_clz_i32_u32_e32 v4, v3
	v_min_u32_e32 v4, 32, v4
	s_delay_alu instid0(VALU_DEP_1) | instskip(SKIP_2) | instid1(VALU_DEP_1)
	v_subrev_nc_u32_e32 v6, 28, v4
	v_sub_nc_u32_e32 v4, 29, v4
	s_wait_alu 0xfffd
	v_cndmask_b32_e32 v4, v5, v4, vcc_lo
	s_delay_alu instid0(VALU_DEP_3) | instskip(SKIP_1) | instid1(VALU_DEP_3)
	v_lshlrev_b32_e32 v6, v6, v3
	v_lshlrev_b32_e32 v5, 31, v7
	v_lshl_add_u32 v4, v4, 23, 0x3b800000
	s_delay_alu instid0(VALU_DEP_3) | instskip(NEXT) | instid1(VALU_DEP_1)
	v_and_b32_e32 v6, 7, v6
	v_cndmask_b32_e32 v3, v3, v6, vcc_lo
	s_delay_alu instid0(VALU_DEP_1) | instskip(NEXT) | instid1(VALU_DEP_1)
	v_lshlrev_b32_e32 v3, 20, v3
	v_or3_b32 v3, v5, v4, v3
.LBB10_275:
	s_or_b32 exec_lo, exec_lo, s1
	v_and_b32_e32 v141, 0xff, v162
	s_mov_b32 s0, 0
	s_mov_b32 s1, exec_lo
	s_delay_alu instid0(VALU_DEP_1)
	v_cmpx_lt_i16_e64 0x7f, v141
	s_xor_b32 s1, exec_lo, s1
	s_cbranch_execnz .LBB10_784
; %bb.276:
	s_or_saveexec_b32 s1, s1
	v_mov_b32_e32 v4, 0x7f800001
	s_xor_b32 exec_lo, exec_lo, s1
	s_cbranch_execnz .LBB10_787
.LBB10_277:
	s_or_b32 exec_lo, exec_lo, s1
	s_and_saveexec_b32 s1, s0
	s_cbranch_execz .LBB10_279
.LBB10_278:
	v_lshrrev_b16 v6, 3, v162
	v_lshrrev_b16 v8, 7, v162
	s_delay_alu instid0(VALU_DEP_2) | instskip(NEXT) | instid1(VALU_DEP_1)
	v_and_b32_e32 v6, 15, v6
	v_cmp_eq_u16_e32 vcc_lo, 0, v6
	v_and_b32_e32 v4, 7, v162
	s_delay_alu instid0(VALU_DEP_1) | instskip(NEXT) | instid1(VALU_DEP_1)
	v_clz_i32_u32_e32 v5, v4
	v_min_u32_e32 v5, 32, v5
	s_delay_alu instid0(VALU_DEP_1) | instskip(SKIP_2) | instid1(VALU_DEP_1)
	v_subrev_nc_u32_e32 v7, 28, v5
	v_sub_nc_u32_e32 v5, 29, v5
	s_wait_alu 0xfffd
	v_cndmask_b32_e32 v5, v6, v5, vcc_lo
	s_delay_alu instid0(VALU_DEP_3) | instskip(SKIP_1) | instid1(VALU_DEP_3)
	v_lshlrev_b32_e32 v7, v7, v4
	v_lshlrev_b32_e32 v6, 31, v8
	v_lshl_add_u32 v5, v5, 23, 0x3b800000
	s_delay_alu instid0(VALU_DEP_3) | instskip(NEXT) | instid1(VALU_DEP_1)
	v_and_b32_e32 v7, 7, v7
	v_cndmask_b32_e32 v4, v4, v7, vcc_lo
	s_delay_alu instid0(VALU_DEP_1) | instskip(NEXT) | instid1(VALU_DEP_1)
	v_lshlrev_b32_e32 v4, 20, v4
	v_or3_b32 v4, v6, v5, v4
.LBB10_279:
	s_or_b32 exec_lo, exec_lo, s1
	v_and_b32_e32 v162, 0xff, v255
	s_mov_b32 s0, 0
	s_mov_b32 s1, exec_lo
	s_delay_alu instid0(VALU_DEP_1)
	v_cmpx_lt_i16_e64 0x7f, v162
	s_xor_b32 s1, exec_lo, s1
	s_cbranch_execnz .LBB10_788
; %bb.280:
	s_or_saveexec_b32 s1, s1
	v_mov_b32_e32 v141, 0x7f800001
	s_xor_b32 exec_lo, exec_lo, s1
	s_cbranch_execnz .LBB10_791
.LBB10_281:
	s_or_b32 exec_lo, exec_lo, s1
	s_and_saveexec_b32 s1, s0
	s_cbranch_execz .LBB10_283
.LBB10_282:
	v_lshrrev_b16 v7, 3, v255
	v_lshrrev_b16 v9, 7, v255
	s_delay_alu instid0(VALU_DEP_2) | instskip(NEXT) | instid1(VALU_DEP_1)
	v_and_b32_e32 v7, 15, v7
	v_cmp_eq_u16_e32 vcc_lo, 0, v7
	v_and_b32_e32 v5, 7, v255
	s_delay_alu instid0(VALU_DEP_1) | instskip(NEXT) | instid1(VALU_DEP_1)
	v_clz_i32_u32_e32 v6, v5
	v_min_u32_e32 v6, 32, v6
	s_delay_alu instid0(VALU_DEP_1) | instskip(SKIP_2) | instid1(VALU_DEP_1)
	v_subrev_nc_u32_e32 v8, 28, v6
	v_sub_nc_u32_e32 v6, 29, v6
	s_wait_alu 0xfffd
	v_cndmask_b32_e32 v6, v7, v6, vcc_lo
	s_delay_alu instid0(VALU_DEP_3) | instskip(SKIP_1) | instid1(VALU_DEP_3)
	v_lshlrev_b32_e32 v8, v8, v5
	v_lshlrev_b32_e32 v7, 31, v9
	v_lshl_add_u32 v6, v6, 23, 0x3b800000
	s_delay_alu instid0(VALU_DEP_3) | instskip(NEXT) | instid1(VALU_DEP_1)
	v_and_b32_e32 v8, 7, v8
	v_cndmask_b32_e32 v5, v5, v8, vcc_lo
	s_delay_alu instid0(VALU_DEP_1) | instskip(NEXT) | instid1(VALU_DEP_1)
	v_lshlrev_b32_e32 v5, 20, v5
	v_or3_b32 v141, v7, v6, v5
.LBB10_283:
	s_or_b32 exec_lo, exec_lo, s1
	s_mov_b32 s1, 0
	s_mov_b32 s0, exec_lo
	v_cmpx_lt_i16_e64 0x7f, v253
	s_xor_b32 s0, exec_lo, s0
	s_cbranch_execnz .LBB10_792
; %bb.284:
	s_or_saveexec_b32 s0, s0
	v_mov_b32_e32 v162, 0x7f800001
	s_xor_b32 exec_lo, exec_lo, s0
	s_cbranch_execnz .LBB10_795
.LBB10_285:
	s_or_b32 exec_lo, exec_lo, s0
	s_and_saveexec_b32 s0, s1
	s_cbranch_execz .LBB10_287
.LBB10_286:
	v_lshrrev_b16 v7, 3, v253
	v_lshrrev_b16 v9, 7, v253
	s_delay_alu instid0(VALU_DEP_2) | instskip(NEXT) | instid1(VALU_DEP_1)
	v_and_b32_e32 v7, 15, v7
	v_cmp_eq_u16_e32 vcc_lo, 0, v7
	v_and_b32_e32 v5, 7, v253
	s_delay_alu instid0(VALU_DEP_1) | instskip(NEXT) | instid1(VALU_DEP_1)
	v_clz_i32_u32_e32 v6, v5
	v_min_u32_e32 v6, 32, v6
	s_delay_alu instid0(VALU_DEP_1) | instskip(SKIP_2) | instid1(VALU_DEP_1)
	v_subrev_nc_u32_e32 v8, 28, v6
	v_sub_nc_u32_e32 v6, 29, v6
	s_wait_alu 0xfffd
	v_cndmask_b32_e32 v6, v7, v6, vcc_lo
	s_delay_alu instid0(VALU_DEP_3) | instskip(SKIP_1) | instid1(VALU_DEP_3)
	v_lshlrev_b32_e32 v8, v8, v5
	v_lshlrev_b32_e32 v7, 31, v9
	v_lshl_add_u32 v6, v6, 23, 0x3b800000
	s_delay_alu instid0(VALU_DEP_3) | instskip(NEXT) | instid1(VALU_DEP_1)
	v_and_b32_e32 v8, 7, v8
	v_cndmask_b32_e32 v5, v5, v8, vcc_lo
	s_delay_alu instid0(VALU_DEP_1) | instskip(NEXT) | instid1(VALU_DEP_1)
	v_lshlrev_b32_e32 v5, 20, v5
	v_or3_b32 v162, v7, v6, v5
.LBB10_287:
	s_or_b32 exec_lo, exec_lo, s0
	v_and_b32_e32 v255, 0xff, v142
	s_mov_b32 s0, 0
	s_mov_b32 s1, exec_lo
	s_delay_alu instid0(VALU_DEP_1)
	v_cmpx_lt_i16_e64 0x7f, v255
	s_xor_b32 s1, exec_lo, s1
	s_cbranch_execnz .LBB10_796
; %bb.288:
	s_or_saveexec_b32 s1, s1
	v_mov_b32_e32 v253, 0x7f800001
	s_xor_b32 exec_lo, exec_lo, s1
	s_cbranch_execnz .LBB10_799
.LBB10_289:
	s_or_b32 exec_lo, exec_lo, s1
	s_and_saveexec_b32 s1, s0
	s_cbranch_execz .LBB10_291
.LBB10_290:
	v_and_b32_e32 v5, 7, v142
	v_lshrrev_b16 v7, 3, v142
	v_lshrrev_b16 v9, 7, v142
	s_delay_alu instid0(VALU_DEP_3) | instskip(NEXT) | instid1(VALU_DEP_3)
	v_clz_i32_u32_e32 v6, v5
	v_and_b32_e32 v7, 15, v7
	s_delay_alu instid0(VALU_DEP_2) | instskip(NEXT) | instid1(VALU_DEP_2)
	v_min_u32_e32 v6, 32, v6
	v_cmp_eq_u16_e32 vcc_lo, 0, v7
	s_delay_alu instid0(VALU_DEP_2) | instskip(SKIP_1) | instid1(VALU_DEP_2)
	v_subrev_nc_u32_e32 v8, 28, v6
	v_sub_nc_u32_e32 v6, 29, v6
	v_lshlrev_b32_e32 v8, v8, v5
	s_wait_alu 0xfffd
	s_delay_alu instid0(VALU_DEP_2) | instskip(NEXT) | instid1(VALU_DEP_2)
	v_dual_cndmask_b32 v6, v7, v6 :: v_dual_lshlrev_b32 v7, 31, v9
	v_and_b32_e32 v8, 7, v8
	s_delay_alu instid0(VALU_DEP_2) | instskip(NEXT) | instid1(VALU_DEP_2)
	v_lshl_add_u32 v6, v6, 23, 0x3b800000
	v_cndmask_b32_e32 v5, v5, v8, vcc_lo
	s_delay_alu instid0(VALU_DEP_1) | instskip(NEXT) | instid1(VALU_DEP_1)
	v_lshlrev_b32_e32 v5, 20, v5
	v_or3_b32 v253, v7, v6, v5
.LBB10_291:
	s_or_b32 exec_lo, exec_lo, s1
	v_and_b32_e32 v255, 0xff, v250
	s_mov_b32 s0, 0
	s_mov_b32 s1, exec_lo
	s_delay_alu instid0(VALU_DEP_1)
	v_cmpx_lt_i16_e64 0x7f, v255
	s_xor_b32 s1, exec_lo, s1
	s_cbranch_execnz .LBB10_800
; %bb.292:
	s_or_saveexec_b32 s1, s1
	v_mov_b32_e32 v142, 0x7f800001
	s_xor_b32 exec_lo, exec_lo, s1
	s_cbranch_execnz .LBB10_803
.LBB10_293:
	s_or_b32 exec_lo, exec_lo, s1
	s_and_saveexec_b32 s1, s0
	s_cbranch_execz .LBB10_295
.LBB10_294:
	v_and_b32_e32 v5, 7, v250
	v_lshrrev_b16 v7, 3, v250
	v_lshrrev_b16 v9, 7, v250
	s_delay_alu instid0(VALU_DEP_3) | instskip(NEXT) | instid1(VALU_DEP_3)
	v_clz_i32_u32_e32 v6, v5
	v_and_b32_e32 v7, 15, v7
	s_delay_alu instid0(VALU_DEP_2) | instskip(NEXT) | instid1(VALU_DEP_2)
	v_min_u32_e32 v6, 32, v6
	v_cmp_eq_u16_e32 vcc_lo, 0, v7
	s_delay_alu instid0(VALU_DEP_2) | instskip(SKIP_1) | instid1(VALU_DEP_2)
	v_subrev_nc_u32_e32 v8, 28, v6
	v_sub_nc_u32_e32 v6, 29, v6
	v_lshlrev_b32_e32 v8, v8, v5
	s_wait_alu 0xfffd
	s_delay_alu instid0(VALU_DEP_2) | instskip(NEXT) | instid1(VALU_DEP_2)
	v_dual_cndmask_b32 v6, v7, v6 :: v_dual_lshlrev_b32 v7, 31, v9
	v_and_b32_e32 v8, 7, v8
	s_delay_alu instid0(VALU_DEP_2) | instskip(NEXT) | instid1(VALU_DEP_2)
	v_lshl_add_u32 v6, v6, 23, 0x3b800000
	v_cndmask_b32_e32 v5, v5, v8, vcc_lo
	s_delay_alu instid0(VALU_DEP_1) | instskip(NEXT) | instid1(VALU_DEP_1)
	v_lshlrev_b32_e32 v5, 20, v5
	v_or3_b32 v142, v7, v6, v5
.LBB10_295:
	s_or_b32 exec_lo, exec_lo, s1
	v_and_b32_e32 v255, 0xff, v249
	s_mov_b32 s0, 0
	s_mov_b32 s1, exec_lo
	s_delay_alu instid0(VALU_DEP_1)
	v_cmpx_lt_i16_e64 0x7f, v255
	s_xor_b32 s1, exec_lo, s1
	s_cbranch_execnz .LBB10_804
; %bb.296:
	s_or_saveexec_b32 s1, s1
	v_mov_b32_e32 v250, 0x7f800001
	s_xor_b32 exec_lo, exec_lo, s1
	s_cbranch_execnz .LBB10_807
.LBB10_297:
	s_or_b32 exec_lo, exec_lo, s1
	s_and_saveexec_b32 s1, s0
	s_cbranch_execz .LBB10_299
.LBB10_298:
	v_lshrrev_b16 v7, 3, v249
	v_lshrrev_b16 v9, 7, v249
	s_delay_alu instid0(VALU_DEP_2) | instskip(NEXT) | instid1(VALU_DEP_1)
	v_and_b32_e32 v7, 15, v7
	v_cmp_eq_u16_e32 vcc_lo, 0, v7
	v_and_b32_e32 v5, 7, v249
	s_delay_alu instid0(VALU_DEP_1) | instskip(NEXT) | instid1(VALU_DEP_1)
	v_clz_i32_u32_e32 v6, v5
	v_min_u32_e32 v6, 32, v6
	s_delay_alu instid0(VALU_DEP_1) | instskip(SKIP_2) | instid1(VALU_DEP_1)
	v_subrev_nc_u32_e32 v8, 28, v6
	v_sub_nc_u32_e32 v6, 29, v6
	s_wait_alu 0xfffd
	v_cndmask_b32_e32 v6, v7, v6, vcc_lo
	s_delay_alu instid0(VALU_DEP_3) | instskip(SKIP_1) | instid1(VALU_DEP_3)
	v_lshlrev_b32_e32 v8, v8, v5
	v_lshlrev_b32_e32 v7, 31, v9
	v_lshl_add_u32 v6, v6, 23, 0x3b800000
	s_delay_alu instid0(VALU_DEP_3) | instskip(NEXT) | instid1(VALU_DEP_1)
	v_and_b32_e32 v8, 7, v8
	v_cndmask_b32_e32 v5, v5, v8, vcc_lo
	s_delay_alu instid0(VALU_DEP_1) | instskip(NEXT) | instid1(VALU_DEP_1)
	v_lshlrev_b32_e32 v5, 20, v5
	v_or3_b32 v250, v7, v6, v5
.LBB10_299:
	s_or_b32 exec_lo, exec_lo, s1
	s_mov_b32 s1, 0
	s_mov_b32 s0, exec_lo
	v_cmpx_lt_i16_e64 0x7f, v247
	s_xor_b32 s0, exec_lo, s0
	s_cbranch_execnz .LBB10_808
; %bb.300:
	s_or_saveexec_b32 s0, s0
	v_mov_b32_e32 v249, 0x7f800001
	s_xor_b32 exec_lo, exec_lo, s0
	s_cbranch_execnz .LBB10_811
.LBB10_301:
	s_or_b32 exec_lo, exec_lo, s0
	s_and_saveexec_b32 s0, s1
	s_cbranch_execz .LBB10_303
.LBB10_302:
	v_lshrrev_b16 v7, 3, v247
	v_lshrrev_b16 v9, 7, v247
	s_delay_alu instid0(VALU_DEP_2) | instskip(NEXT) | instid1(VALU_DEP_1)
	v_and_b32_e32 v7, 15, v7
	v_cmp_eq_u16_e32 vcc_lo, 0, v7
	v_and_b32_e32 v5, 7, v247
	s_delay_alu instid0(VALU_DEP_1) | instskip(NEXT) | instid1(VALU_DEP_1)
	v_clz_i32_u32_e32 v6, v5
	v_min_u32_e32 v6, 32, v6
	s_delay_alu instid0(VALU_DEP_1) | instskip(SKIP_2) | instid1(VALU_DEP_1)
	v_subrev_nc_u32_e32 v8, 28, v6
	v_sub_nc_u32_e32 v6, 29, v6
	s_wait_alu 0xfffd
	v_cndmask_b32_e32 v6, v7, v6, vcc_lo
	s_delay_alu instid0(VALU_DEP_3) | instskip(SKIP_1) | instid1(VALU_DEP_3)
	v_lshlrev_b32_e32 v8, v8, v5
	v_lshlrev_b32_e32 v7, 31, v9
	v_lshl_add_u32 v6, v6, 23, 0x3b800000
	s_delay_alu instid0(VALU_DEP_3) | instskip(NEXT) | instid1(VALU_DEP_1)
	v_and_b32_e32 v8, 7, v8
	v_cndmask_b32_e32 v5, v5, v8, vcc_lo
	s_delay_alu instid0(VALU_DEP_1) | instskip(NEXT) | instid1(VALU_DEP_1)
	v_lshlrev_b32_e32 v5, 20, v5
	v_or3_b32 v249, v7, v6, v5
.LBB10_303:
	s_or_b32 exec_lo, exec_lo, s0
	v_and_b32_e32 v255, 0xff, v143
	s_mov_b32 s0, 0
	s_mov_b32 s1, exec_lo
	s_delay_alu instid0(VALU_DEP_1)
	v_cmpx_lt_i16_e64 0x7f, v255
	s_xor_b32 s1, exec_lo, s1
	s_cbranch_execnz .LBB10_812
; %bb.304:
	s_or_saveexec_b32 s1, s1
	v_mov_b32_e32 v247, 0x7f800001
	s_xor_b32 exec_lo, exec_lo, s1
	s_cbranch_execnz .LBB10_815
.LBB10_305:
	s_or_b32 exec_lo, exec_lo, s1
	s_and_saveexec_b32 s1, s0
	s_cbranch_execz .LBB10_307
.LBB10_306:
	v_lshrrev_b16 v7, 3, v143
	v_lshrrev_b16 v9, 7, v143
	s_delay_alu instid0(VALU_DEP_2) | instskip(NEXT) | instid1(VALU_DEP_1)
	v_and_b32_e32 v7, 15, v7
	v_cmp_eq_u16_e32 vcc_lo, 0, v7
	v_and_b32_e32 v5, 7, v143
	s_delay_alu instid0(VALU_DEP_1) | instskip(NEXT) | instid1(VALU_DEP_1)
	v_clz_i32_u32_e32 v6, v5
	v_min_u32_e32 v6, 32, v6
	s_delay_alu instid0(VALU_DEP_1) | instskip(SKIP_2) | instid1(VALU_DEP_1)
	v_subrev_nc_u32_e32 v8, 28, v6
	v_sub_nc_u32_e32 v6, 29, v6
	s_wait_alu 0xfffd
	v_cndmask_b32_e32 v6, v7, v6, vcc_lo
	s_delay_alu instid0(VALU_DEP_3) | instskip(SKIP_1) | instid1(VALU_DEP_3)
	v_lshlrev_b32_e32 v8, v8, v5
	v_lshlrev_b32_e32 v7, 31, v9
	v_lshl_add_u32 v6, v6, 23, 0x3b800000
	s_delay_alu instid0(VALU_DEP_3) | instskip(NEXT) | instid1(VALU_DEP_1)
	v_and_b32_e32 v8, 7, v8
	v_cndmask_b32_e32 v5, v5, v8, vcc_lo
	s_delay_alu instid0(VALU_DEP_1) | instskip(NEXT) | instid1(VALU_DEP_1)
	v_lshlrev_b32_e32 v5, 20, v5
	v_or3_b32 v247, v7, v6, v5
.LBB10_307:
	s_or_b32 exec_lo, exec_lo, s1
	v_and_b32_e32 v255, 0xff, v244
	s_mov_b32 s0, 0
	s_mov_b32 s1, exec_lo
	s_delay_alu instid0(VALU_DEP_1)
	v_cmpx_lt_i16_e64 0x7f, v255
	s_xor_b32 s1, exec_lo, s1
	s_cbranch_execnz .LBB10_816
; %bb.308:
	s_or_saveexec_b32 s1, s1
	v_mov_b32_e32 v143, 0x7f800001
	s_xor_b32 exec_lo, exec_lo, s1
	s_cbranch_execnz .LBB10_819
.LBB10_309:
	s_or_b32 exec_lo, exec_lo, s1
	s_and_saveexec_b32 s1, s0
	s_cbranch_execz .LBB10_311
.LBB10_310:
	v_lshrrev_b16 v7, 3, v244
	v_lshrrev_b16 v9, 7, v244
	s_delay_alu instid0(VALU_DEP_2) | instskip(NEXT) | instid1(VALU_DEP_1)
	v_and_b32_e32 v7, 15, v7
	v_cmp_eq_u16_e32 vcc_lo, 0, v7
	v_and_b32_e32 v5, 7, v244
	s_delay_alu instid0(VALU_DEP_1) | instskip(NEXT) | instid1(VALU_DEP_1)
	v_clz_i32_u32_e32 v6, v5
	v_min_u32_e32 v6, 32, v6
	s_delay_alu instid0(VALU_DEP_1) | instskip(SKIP_2) | instid1(VALU_DEP_1)
	v_subrev_nc_u32_e32 v8, 28, v6
	v_sub_nc_u32_e32 v6, 29, v6
	s_wait_alu 0xfffd
	v_cndmask_b32_e32 v6, v7, v6, vcc_lo
	s_delay_alu instid0(VALU_DEP_3) | instskip(SKIP_1) | instid1(VALU_DEP_3)
	v_lshlrev_b32_e32 v8, v8, v5
	v_lshlrev_b32_e32 v7, 31, v9
	v_lshl_add_u32 v6, v6, 23, 0x3b800000
	s_delay_alu instid0(VALU_DEP_3) | instskip(NEXT) | instid1(VALU_DEP_1)
	v_and_b32_e32 v8, 7, v8
	v_cndmask_b32_e32 v5, v5, v8, vcc_lo
	s_delay_alu instid0(VALU_DEP_1) | instskip(NEXT) | instid1(VALU_DEP_1)
	v_lshlrev_b32_e32 v5, 20, v5
	v_or3_b32 v143, v7, v6, v5
.LBB10_311:
	s_or_b32 exec_lo, exec_lo, s1
	v_and_b32_e32 v255, 0xff, v243
	s_mov_b32 s0, 0
	s_mov_b32 s1, exec_lo
	s_delay_alu instid0(VALU_DEP_1)
	v_cmpx_lt_i16_e64 0x7f, v255
	s_xor_b32 s1, exec_lo, s1
	s_cbranch_execnz .LBB10_820
; %bb.312:
	s_or_saveexec_b32 s1, s1
	v_mov_b32_e32 v244, 0x7f800001
	s_xor_b32 exec_lo, exec_lo, s1
	s_cbranch_execnz .LBB10_823
.LBB10_313:
	s_or_b32 exec_lo, exec_lo, s1
	s_and_saveexec_b32 s1, s0
	s_cbranch_execz .LBB10_315
.LBB10_314:
	v_lshrrev_b16 v7, 3, v243
	v_lshrrev_b16 v9, 7, v243
	s_delay_alu instid0(VALU_DEP_2) | instskip(NEXT) | instid1(VALU_DEP_1)
	v_and_b32_e32 v7, 15, v7
	v_cmp_eq_u16_e32 vcc_lo, 0, v7
	v_and_b32_e32 v5, 7, v243
	s_delay_alu instid0(VALU_DEP_1) | instskip(NEXT) | instid1(VALU_DEP_1)
	v_clz_i32_u32_e32 v6, v5
	v_min_u32_e32 v6, 32, v6
	s_delay_alu instid0(VALU_DEP_1) | instskip(SKIP_2) | instid1(VALU_DEP_1)
	v_subrev_nc_u32_e32 v8, 28, v6
	v_sub_nc_u32_e32 v6, 29, v6
	s_wait_alu 0xfffd
	v_cndmask_b32_e32 v6, v7, v6, vcc_lo
	s_delay_alu instid0(VALU_DEP_3) | instskip(SKIP_1) | instid1(VALU_DEP_3)
	v_lshlrev_b32_e32 v8, v8, v5
	v_lshlrev_b32_e32 v7, 31, v9
	v_lshl_add_u32 v6, v6, 23, 0x3b800000
	s_delay_alu instid0(VALU_DEP_3) | instskip(NEXT) | instid1(VALU_DEP_1)
	v_and_b32_e32 v8, 7, v8
	v_cndmask_b32_e32 v5, v5, v8, vcc_lo
	s_delay_alu instid0(VALU_DEP_1) | instskip(NEXT) | instid1(VALU_DEP_1)
	v_lshlrev_b32_e32 v5, 20, v5
	v_or3_b32 v244, v7, v6, v5
.LBB10_315:
	s_or_b32 exec_lo, exec_lo, s1
	s_mov_b32 s1, 0
	s_mov_b32 s0, exec_lo
	v_cmpx_lt_i16_e64 0x7f, v241
	s_xor_b32 s0, exec_lo, s0
	s_cbranch_execnz .LBB10_824
; %bb.316:
	s_or_saveexec_b32 s0, s0
	v_mov_b32_e32 v243, 0x7f800001
	s_xor_b32 exec_lo, exec_lo, s0
	s_cbranch_execnz .LBB10_827
.LBB10_317:
	s_or_b32 exec_lo, exec_lo, s0
	s_and_saveexec_b32 s0, s1
	s_cbranch_execz .LBB10_319
.LBB10_318:
	v_lshrrev_b16 v7, 3, v241
	v_lshrrev_b16 v9, 7, v241
	s_delay_alu instid0(VALU_DEP_2) | instskip(NEXT) | instid1(VALU_DEP_1)
	v_and_b32_e32 v7, 15, v7
	v_cmp_eq_u16_e32 vcc_lo, 0, v7
	v_and_b32_e32 v5, 7, v241
	s_delay_alu instid0(VALU_DEP_1) | instskip(NEXT) | instid1(VALU_DEP_1)
	v_clz_i32_u32_e32 v6, v5
	v_min_u32_e32 v6, 32, v6
	s_delay_alu instid0(VALU_DEP_1) | instskip(SKIP_2) | instid1(VALU_DEP_1)
	v_subrev_nc_u32_e32 v8, 28, v6
	v_sub_nc_u32_e32 v6, 29, v6
	s_wait_alu 0xfffd
	v_cndmask_b32_e32 v6, v7, v6, vcc_lo
	s_delay_alu instid0(VALU_DEP_3) | instskip(SKIP_1) | instid1(VALU_DEP_3)
	v_lshlrev_b32_e32 v8, v8, v5
	v_lshlrev_b32_e32 v7, 31, v9
	v_lshl_add_u32 v6, v6, 23, 0x3b800000
	s_delay_alu instid0(VALU_DEP_3) | instskip(NEXT) | instid1(VALU_DEP_1)
	v_and_b32_e32 v8, 7, v8
	v_cndmask_b32_e32 v5, v5, v8, vcc_lo
	s_delay_alu instid0(VALU_DEP_1) | instskip(NEXT) | instid1(VALU_DEP_1)
	v_lshlrev_b32_e32 v5, 20, v5
	v_or3_b32 v243, v7, v6, v5
.LBB10_319:
	s_or_b32 exec_lo, exec_lo, s0
	v_and_b32_e32 v255, 0xff, v144
	s_mov_b32 s0, 0
	s_mov_b32 s1, exec_lo
	s_delay_alu instid0(VALU_DEP_1)
	v_cmpx_lt_i16_e64 0x7f, v255
	s_xor_b32 s1, exec_lo, s1
	s_cbranch_execnz .LBB10_828
; %bb.320:
	s_or_saveexec_b32 s1, s1
	v_mov_b32_e32 v241, 0x7f800001
	s_xor_b32 exec_lo, exec_lo, s1
	s_cbranch_execnz .LBB10_831
.LBB10_321:
	s_or_b32 exec_lo, exec_lo, s1
	s_and_saveexec_b32 s1, s0
	s_cbranch_execz .LBB10_323
.LBB10_322:
	v_lshrrev_b16 v7, 3, v144
	v_lshrrev_b16 v9, 7, v144
	s_delay_alu instid0(VALU_DEP_2) | instskip(NEXT) | instid1(VALU_DEP_1)
	v_and_b32_e32 v7, 15, v7
	v_cmp_eq_u16_e32 vcc_lo, 0, v7
	v_and_b32_e32 v5, 7, v144
	s_delay_alu instid0(VALU_DEP_1) | instskip(NEXT) | instid1(VALU_DEP_1)
	v_clz_i32_u32_e32 v6, v5
	v_min_u32_e32 v6, 32, v6
	s_delay_alu instid0(VALU_DEP_1) | instskip(SKIP_2) | instid1(VALU_DEP_1)
	v_subrev_nc_u32_e32 v8, 28, v6
	v_sub_nc_u32_e32 v6, 29, v6
	s_wait_alu 0xfffd
	v_cndmask_b32_e32 v6, v7, v6, vcc_lo
	s_delay_alu instid0(VALU_DEP_3) | instskip(SKIP_1) | instid1(VALU_DEP_3)
	v_lshlrev_b32_e32 v8, v8, v5
	v_lshlrev_b32_e32 v7, 31, v9
	v_lshl_add_u32 v6, v6, 23, 0x3b800000
	s_delay_alu instid0(VALU_DEP_3) | instskip(NEXT) | instid1(VALU_DEP_1)
	v_and_b32_e32 v8, 7, v8
	v_cndmask_b32_e32 v5, v5, v8, vcc_lo
	s_delay_alu instid0(VALU_DEP_1) | instskip(NEXT) | instid1(VALU_DEP_1)
	v_lshlrev_b32_e32 v5, 20, v5
	v_or3_b32 v241, v7, v6, v5
.LBB10_323:
	s_or_b32 exec_lo, exec_lo, s1
	v_and_b32_e32 v255, 0xff, v238
	s_mov_b32 s0, 0
	s_mov_b32 s1, exec_lo
	s_delay_alu instid0(VALU_DEP_1)
	v_cmpx_lt_i16_e64 0x7f, v255
	s_xor_b32 s1, exec_lo, s1
	s_cbranch_execnz .LBB10_832
; %bb.324:
	s_or_saveexec_b32 s1, s1
	v_mov_b32_e32 v144, 0x7f800001
	s_xor_b32 exec_lo, exec_lo, s1
	s_cbranch_execnz .LBB10_835
.LBB10_325:
	s_or_b32 exec_lo, exec_lo, s1
	s_and_saveexec_b32 s1, s0
	s_cbranch_execz .LBB10_327
.LBB10_326:
	v_and_b32_e32 v5, 7, v238
	v_lshrrev_b16 v7, 3, v238
	v_lshrrev_b16 v9, 7, v238
	s_delay_alu instid0(VALU_DEP_3) | instskip(NEXT) | instid1(VALU_DEP_3)
	v_clz_i32_u32_e32 v6, v5
	v_and_b32_e32 v7, 15, v7
	s_delay_alu instid0(VALU_DEP_2) | instskip(NEXT) | instid1(VALU_DEP_2)
	v_min_u32_e32 v6, 32, v6
	v_cmp_eq_u16_e32 vcc_lo, 0, v7
	s_delay_alu instid0(VALU_DEP_2) | instskip(SKIP_1) | instid1(VALU_DEP_2)
	v_subrev_nc_u32_e32 v8, 28, v6
	v_sub_nc_u32_e32 v6, 29, v6
	v_lshlrev_b32_e32 v8, v8, v5
	s_wait_alu 0xfffd
	s_delay_alu instid0(VALU_DEP_2) | instskip(NEXT) | instid1(VALU_DEP_2)
	v_dual_cndmask_b32 v6, v7, v6 :: v_dual_lshlrev_b32 v7, 31, v9
	v_and_b32_e32 v8, 7, v8
	s_delay_alu instid0(VALU_DEP_2) | instskip(NEXT) | instid1(VALU_DEP_2)
	v_lshl_add_u32 v6, v6, 23, 0x3b800000
	v_cndmask_b32_e32 v5, v5, v8, vcc_lo
	s_delay_alu instid0(VALU_DEP_1) | instskip(NEXT) | instid1(VALU_DEP_1)
	v_lshlrev_b32_e32 v5, 20, v5
	v_or3_b32 v144, v7, v6, v5
.LBB10_327:
	s_or_b32 exec_lo, exec_lo, s1
	v_and_b32_e32 v255, 0xff, v237
	s_mov_b32 s0, 0
	s_mov_b32 s1, exec_lo
	s_delay_alu instid0(VALU_DEP_1)
	v_cmpx_lt_i16_e64 0x7f, v255
	s_xor_b32 s1, exec_lo, s1
	s_cbranch_execnz .LBB10_836
; %bb.328:
	s_or_saveexec_b32 s1, s1
	v_mov_b32_e32 v238, 0x7f800001
	s_xor_b32 exec_lo, exec_lo, s1
	s_cbranch_execnz .LBB10_839
.LBB10_329:
	s_or_b32 exec_lo, exec_lo, s1
	s_and_saveexec_b32 s1, s0
	s_cbranch_execz .LBB10_331
.LBB10_330:
	v_lshrrev_b16 v7, 3, v237
	v_lshrrev_b16 v9, 7, v237
	s_delay_alu instid0(VALU_DEP_2) | instskip(NEXT) | instid1(VALU_DEP_1)
	v_and_b32_e32 v7, 15, v7
	v_cmp_eq_u16_e32 vcc_lo, 0, v7
	v_and_b32_e32 v5, 7, v237
	s_delay_alu instid0(VALU_DEP_1) | instskip(NEXT) | instid1(VALU_DEP_1)
	v_clz_i32_u32_e32 v6, v5
	v_min_u32_e32 v6, 32, v6
	s_delay_alu instid0(VALU_DEP_1) | instskip(SKIP_2) | instid1(VALU_DEP_1)
	v_subrev_nc_u32_e32 v8, 28, v6
	v_sub_nc_u32_e32 v6, 29, v6
	s_wait_alu 0xfffd
	v_cndmask_b32_e32 v6, v7, v6, vcc_lo
	s_delay_alu instid0(VALU_DEP_3) | instskip(SKIP_1) | instid1(VALU_DEP_3)
	v_lshlrev_b32_e32 v8, v8, v5
	v_lshlrev_b32_e32 v7, 31, v9
	v_lshl_add_u32 v6, v6, 23, 0x3b800000
	s_delay_alu instid0(VALU_DEP_3) | instskip(NEXT) | instid1(VALU_DEP_1)
	v_and_b32_e32 v8, 7, v8
	v_cndmask_b32_e32 v5, v5, v8, vcc_lo
	s_delay_alu instid0(VALU_DEP_1) | instskip(NEXT) | instid1(VALU_DEP_1)
	v_lshlrev_b32_e32 v5, 20, v5
	v_or3_b32 v238, v7, v6, v5
.LBB10_331:
	s_or_b32 exec_lo, exec_lo, s1
	s_mov_b32 s1, 0
	s_mov_b32 s0, exec_lo
	v_cmpx_lt_i16_e64 0x7f, v235
	s_xor_b32 s0, exec_lo, s0
	s_cbranch_execnz .LBB10_840
; %bb.332:
	s_or_saveexec_b32 s0, s0
	v_mov_b32_e32 v237, 0x7f800001
	s_xor_b32 exec_lo, exec_lo, s0
	s_cbranch_execnz .LBB10_843
.LBB10_333:
	s_or_b32 exec_lo, exec_lo, s0
	s_and_saveexec_b32 s0, s1
	s_cbranch_execz .LBB10_335
.LBB10_334:
	v_lshrrev_b16 v7, 3, v235
	v_lshrrev_b16 v9, 7, v235
	s_delay_alu instid0(VALU_DEP_2) | instskip(NEXT) | instid1(VALU_DEP_1)
	v_and_b32_e32 v7, 15, v7
	v_cmp_eq_u16_e32 vcc_lo, 0, v7
	v_and_b32_e32 v5, 7, v235
	s_delay_alu instid0(VALU_DEP_1) | instskip(NEXT) | instid1(VALU_DEP_1)
	v_clz_i32_u32_e32 v6, v5
	v_min_u32_e32 v6, 32, v6
	s_delay_alu instid0(VALU_DEP_1) | instskip(SKIP_2) | instid1(VALU_DEP_1)
	v_subrev_nc_u32_e32 v8, 28, v6
	v_sub_nc_u32_e32 v6, 29, v6
	s_wait_alu 0xfffd
	v_cndmask_b32_e32 v6, v7, v6, vcc_lo
	s_delay_alu instid0(VALU_DEP_3) | instskip(SKIP_1) | instid1(VALU_DEP_3)
	v_lshlrev_b32_e32 v8, v8, v5
	v_lshlrev_b32_e32 v7, 31, v9
	v_lshl_add_u32 v6, v6, 23, 0x3b800000
	s_delay_alu instid0(VALU_DEP_3) | instskip(NEXT) | instid1(VALU_DEP_1)
	v_and_b32_e32 v8, 7, v8
	v_cndmask_b32_e32 v5, v5, v8, vcc_lo
	s_delay_alu instid0(VALU_DEP_1) | instskip(NEXT) | instid1(VALU_DEP_1)
	v_lshlrev_b32_e32 v5, 20, v5
	v_or3_b32 v237, v7, v6, v5
.LBB10_335:
	s_or_b32 exec_lo, exec_lo, s0
	v_and_b32_e32 v255, 0xff, v137
	s_mov_b32 s0, 0
	s_mov_b32 s1, exec_lo
	s_delay_alu instid0(VALU_DEP_1)
	v_cmpx_lt_i16_e64 0x7f, v255
	s_xor_b32 s1, exec_lo, s1
	s_cbranch_execnz .LBB10_844
; %bb.336:
	s_or_saveexec_b32 s1, s1
	v_mov_b32_e32 v235, 0x7f800001
	s_xor_b32 exec_lo, exec_lo, s1
	s_cbranch_execnz .LBB10_847
.LBB10_337:
	s_or_b32 exec_lo, exec_lo, s1
	s_and_saveexec_b32 s1, s0
	s_cbranch_execz .LBB10_339
.LBB10_338:
	v_lshrrev_b16 v7, 3, v137
	v_lshrrev_b16 v9, 7, v137
	s_delay_alu instid0(VALU_DEP_2) | instskip(NEXT) | instid1(VALU_DEP_1)
	v_and_b32_e32 v7, 15, v7
	v_cmp_eq_u16_e32 vcc_lo, 0, v7
	v_and_b32_e32 v5, 7, v137
	s_delay_alu instid0(VALU_DEP_1) | instskip(NEXT) | instid1(VALU_DEP_1)
	v_clz_i32_u32_e32 v6, v5
	v_min_u32_e32 v6, 32, v6
	s_delay_alu instid0(VALU_DEP_1) | instskip(SKIP_2) | instid1(VALU_DEP_1)
	v_subrev_nc_u32_e32 v8, 28, v6
	v_sub_nc_u32_e32 v6, 29, v6
	s_wait_alu 0xfffd
	v_cndmask_b32_e32 v6, v7, v6, vcc_lo
	s_delay_alu instid0(VALU_DEP_3) | instskip(SKIP_1) | instid1(VALU_DEP_3)
	v_lshlrev_b32_e32 v8, v8, v5
	v_lshlrev_b32_e32 v7, 31, v9
	v_lshl_add_u32 v6, v6, 23, 0x3b800000
	s_delay_alu instid0(VALU_DEP_3) | instskip(NEXT) | instid1(VALU_DEP_1)
	v_and_b32_e32 v8, 7, v8
	v_cndmask_b32_e32 v5, v5, v8, vcc_lo
	s_delay_alu instid0(VALU_DEP_1) | instskip(NEXT) | instid1(VALU_DEP_1)
	v_lshlrev_b32_e32 v5, 20, v5
	v_or3_b32 v235, v7, v6, v5
.LBB10_339:
	s_or_b32 exec_lo, exec_lo, s1
	v_and_b32_e32 v255, 0xff, v233
	s_mov_b32 s0, 0
	s_mov_b32 s1, exec_lo
	s_delay_alu instid0(VALU_DEP_1)
	v_cmpx_lt_i16_e64 0x7f, v255
	s_xor_b32 s1, exec_lo, s1
	s_cbranch_execnz .LBB10_848
; %bb.340:
	s_or_saveexec_b32 s1, s1
	v_mov_b32_e32 v137, 0x7f800001
	s_xor_b32 exec_lo, exec_lo, s1
	s_cbranch_execnz .LBB10_851
.LBB10_341:
	s_or_b32 exec_lo, exec_lo, s1
	s_and_saveexec_b32 s1, s0
	s_cbranch_execz .LBB10_343
.LBB10_342:
	v_lshrrev_b16 v7, 3, v233
	v_lshrrev_b16 v9, 7, v233
	s_delay_alu instid0(VALU_DEP_2) | instskip(NEXT) | instid1(VALU_DEP_1)
	v_and_b32_e32 v7, 15, v7
	v_cmp_eq_u16_e32 vcc_lo, 0, v7
	v_and_b32_e32 v5, 7, v233
	s_delay_alu instid0(VALU_DEP_1) | instskip(NEXT) | instid1(VALU_DEP_1)
	v_clz_i32_u32_e32 v6, v5
	v_min_u32_e32 v6, 32, v6
	s_delay_alu instid0(VALU_DEP_1) | instskip(SKIP_2) | instid1(VALU_DEP_1)
	v_subrev_nc_u32_e32 v8, 28, v6
	v_sub_nc_u32_e32 v6, 29, v6
	s_wait_alu 0xfffd
	v_cndmask_b32_e32 v6, v7, v6, vcc_lo
	s_delay_alu instid0(VALU_DEP_3) | instskip(SKIP_1) | instid1(VALU_DEP_3)
	v_lshlrev_b32_e32 v8, v8, v5
	v_lshlrev_b32_e32 v7, 31, v9
	v_lshl_add_u32 v6, v6, 23, 0x3b800000
	s_delay_alu instid0(VALU_DEP_3) | instskip(NEXT) | instid1(VALU_DEP_1)
	v_and_b32_e32 v8, 7, v8
	v_cndmask_b32_e32 v5, v5, v8, vcc_lo
	s_delay_alu instid0(VALU_DEP_1) | instskip(NEXT) | instid1(VALU_DEP_1)
	v_lshlrev_b32_e32 v5, 20, v5
	v_or3_b32 v137, v7, v6, v5
.LBB10_343:
	s_or_b32 exec_lo, exec_lo, s1
	v_and_b32_e32 v255, 0xff, v231
	s_mov_b32 s0, 0
	s_mov_b32 s1, exec_lo
	s_delay_alu instid0(VALU_DEP_1)
	v_cmpx_lt_i16_e64 0x7f, v255
	s_xor_b32 s1, exec_lo, s1
	s_cbranch_execnz .LBB10_852
; %bb.344:
	s_or_saveexec_b32 s1, s1
	v_mov_b32_e32 v233, 0x7f800001
	s_xor_b32 exec_lo, exec_lo, s1
	s_cbranch_execnz .LBB10_855
.LBB10_345:
	s_or_b32 exec_lo, exec_lo, s1
	s_and_saveexec_b32 s1, s0
	s_cbranch_execz .LBB10_347
.LBB10_346:
	v_lshrrev_b16 v7, 3, v231
	v_lshrrev_b16 v9, 7, v231
	s_delay_alu instid0(VALU_DEP_2) | instskip(NEXT) | instid1(VALU_DEP_1)
	v_and_b32_e32 v7, 15, v7
	v_cmp_eq_u16_e32 vcc_lo, 0, v7
	v_and_b32_e32 v5, 7, v231
	s_delay_alu instid0(VALU_DEP_1) | instskip(NEXT) | instid1(VALU_DEP_1)
	v_clz_i32_u32_e32 v6, v5
	v_min_u32_e32 v6, 32, v6
	s_delay_alu instid0(VALU_DEP_1) | instskip(SKIP_2) | instid1(VALU_DEP_1)
	v_subrev_nc_u32_e32 v8, 28, v6
	v_sub_nc_u32_e32 v6, 29, v6
	s_wait_alu 0xfffd
	v_cndmask_b32_e32 v6, v7, v6, vcc_lo
	s_delay_alu instid0(VALU_DEP_3) | instskip(SKIP_1) | instid1(VALU_DEP_3)
	v_lshlrev_b32_e32 v8, v8, v5
	v_lshlrev_b32_e32 v7, 31, v9
	v_lshl_add_u32 v6, v6, 23, 0x3b800000
	s_delay_alu instid0(VALU_DEP_3) | instskip(NEXT) | instid1(VALU_DEP_1)
	v_and_b32_e32 v8, 7, v8
	v_cndmask_b32_e32 v5, v5, v8, vcc_lo
	s_delay_alu instid0(VALU_DEP_1) | instskip(NEXT) | instid1(VALU_DEP_1)
	v_lshlrev_b32_e32 v5, 20, v5
	v_or3_b32 v233, v7, v6, v5
.LBB10_347:
	s_or_b32 exec_lo, exec_lo, s1
	s_mov_b32 s1, 0
	s_mov_b32 s0, exec_lo
	v_cmpx_lt_i16_e64 0x7f, v230
	s_xor_b32 s0, exec_lo, s0
	s_cbranch_execnz .LBB10_856
; %bb.348:
	s_or_saveexec_b32 s0, s0
	v_mov_b32_e32 v231, 0x7f800001
	s_xor_b32 exec_lo, exec_lo, s0
	s_cbranch_execnz .LBB10_859
.LBB10_349:
	s_or_b32 exec_lo, exec_lo, s0
	s_and_saveexec_b32 s0, s1
	s_cbranch_execz .LBB10_351
.LBB10_350:
	v_and_b32_e32 v5, 7, v230
	v_lshrrev_b16 v7, 3, v230
	v_lshrrev_b16 v9, 7, v230
	s_delay_alu instid0(VALU_DEP_3) | instskip(NEXT) | instid1(VALU_DEP_3)
	v_clz_i32_u32_e32 v6, v5
	v_and_b32_e32 v7, 15, v7
	s_delay_alu instid0(VALU_DEP_2) | instskip(NEXT) | instid1(VALU_DEP_2)
	v_min_u32_e32 v6, 32, v6
	v_cmp_eq_u16_e32 vcc_lo, 0, v7
	s_delay_alu instid0(VALU_DEP_2) | instskip(SKIP_1) | instid1(VALU_DEP_2)
	v_subrev_nc_u32_e32 v8, 28, v6
	v_sub_nc_u32_e32 v6, 29, v6
	v_lshlrev_b32_e32 v8, v8, v5
	s_wait_alu 0xfffd
	s_delay_alu instid0(VALU_DEP_2) | instskip(NEXT) | instid1(VALU_DEP_2)
	v_dual_cndmask_b32 v6, v7, v6 :: v_dual_lshlrev_b32 v7, 31, v9
	v_and_b32_e32 v8, 7, v8
	s_delay_alu instid0(VALU_DEP_2) | instskip(NEXT) | instid1(VALU_DEP_2)
	v_lshl_add_u32 v6, v6, 23, 0x3b800000
	v_cndmask_b32_e32 v5, v5, v8, vcc_lo
	s_delay_alu instid0(VALU_DEP_1) | instskip(NEXT) | instid1(VALU_DEP_1)
	v_lshlrev_b32_e32 v5, 20, v5
	v_or3_b32 v231, v7, v6, v5
.LBB10_351:
	s_or_b32 exec_lo, exec_lo, s0
	v_and_b32_e32 v255, 0xff, v138
	s_mov_b32 s0, 0
	s_mov_b32 s1, exec_lo
	s_delay_alu instid0(VALU_DEP_1)
	v_cmpx_lt_i16_e64 0x7f, v255
	s_xor_b32 s1, exec_lo, s1
	s_cbranch_execnz .LBB10_860
; %bb.352:
	s_or_saveexec_b32 s1, s1
	v_mov_b32_e32 v230, 0x7f800001
	s_xor_b32 exec_lo, exec_lo, s1
	s_cbranch_execnz .LBB10_863
.LBB10_353:
	s_or_b32 exec_lo, exec_lo, s1
	s_and_saveexec_b32 s1, s0
	s_cbranch_execz .LBB10_355
.LBB10_354:
	v_and_b32_e32 v5, 7, v138
	v_lshrrev_b16 v7, 3, v138
	v_lshrrev_b16 v9, 7, v138
	s_delay_alu instid0(VALU_DEP_3) | instskip(NEXT) | instid1(VALU_DEP_3)
	v_clz_i32_u32_e32 v6, v5
	v_and_b32_e32 v7, 15, v7
	s_delay_alu instid0(VALU_DEP_2) | instskip(NEXT) | instid1(VALU_DEP_2)
	v_min_u32_e32 v6, 32, v6
	v_cmp_eq_u16_e32 vcc_lo, 0, v7
	s_delay_alu instid0(VALU_DEP_2) | instskip(SKIP_1) | instid1(VALU_DEP_2)
	v_subrev_nc_u32_e32 v8, 28, v6
	v_sub_nc_u32_e32 v6, 29, v6
	v_lshlrev_b32_e32 v8, v8, v5
	s_wait_alu 0xfffd
	s_delay_alu instid0(VALU_DEP_2) | instskip(NEXT) | instid1(VALU_DEP_2)
	v_dual_cndmask_b32 v6, v7, v6 :: v_dual_lshlrev_b32 v7, 31, v9
	v_and_b32_e32 v8, 7, v8
	s_delay_alu instid0(VALU_DEP_2) | instskip(NEXT) | instid1(VALU_DEP_2)
	v_lshl_add_u32 v6, v6, 23, 0x3b800000
	v_cndmask_b32_e32 v5, v5, v8, vcc_lo
	s_delay_alu instid0(VALU_DEP_1) | instskip(NEXT) | instid1(VALU_DEP_1)
	v_lshlrev_b32_e32 v5, 20, v5
	v_or3_b32 v230, v7, v6, v5
.LBB10_355:
	s_or_b32 exec_lo, exec_lo, s1
	v_and_b32_e32 v255, 0xff, v227
	s_mov_b32 s0, 0
	s_mov_b32 s1, exec_lo
	s_delay_alu instid0(VALU_DEP_1)
	v_cmpx_lt_i16_e64 0x7f, v255
	s_xor_b32 s1, exec_lo, s1
	s_cbranch_execnz .LBB10_864
; %bb.356:
	s_or_saveexec_b32 s1, s1
	v_mov_b32_e32 v138, 0x7f800001
	s_xor_b32 exec_lo, exec_lo, s1
	s_cbranch_execnz .LBB10_867
.LBB10_357:
	s_or_b32 exec_lo, exec_lo, s1
	s_and_saveexec_b32 s1, s0
	s_cbranch_execz .LBB10_359
.LBB10_358:
	v_lshrrev_b16 v7, 3, v227
	v_lshrrev_b16 v9, 7, v227
	s_delay_alu instid0(VALU_DEP_2) | instskip(NEXT) | instid1(VALU_DEP_1)
	v_and_b32_e32 v7, 15, v7
	v_cmp_eq_u16_e32 vcc_lo, 0, v7
	v_and_b32_e32 v5, 7, v227
	s_delay_alu instid0(VALU_DEP_1) | instskip(NEXT) | instid1(VALU_DEP_1)
	v_clz_i32_u32_e32 v6, v5
	v_min_u32_e32 v6, 32, v6
	s_delay_alu instid0(VALU_DEP_1) | instskip(SKIP_2) | instid1(VALU_DEP_1)
	v_subrev_nc_u32_e32 v8, 28, v6
	v_sub_nc_u32_e32 v6, 29, v6
	s_wait_alu 0xfffd
	v_cndmask_b32_e32 v6, v7, v6, vcc_lo
	s_delay_alu instid0(VALU_DEP_3) | instskip(SKIP_1) | instid1(VALU_DEP_3)
	v_lshlrev_b32_e32 v8, v8, v5
	v_lshlrev_b32_e32 v7, 31, v9
	v_lshl_add_u32 v6, v6, 23, 0x3b800000
	s_delay_alu instid0(VALU_DEP_3) | instskip(NEXT) | instid1(VALU_DEP_1)
	v_and_b32_e32 v8, 7, v8
	v_cndmask_b32_e32 v5, v5, v8, vcc_lo
	s_delay_alu instid0(VALU_DEP_1) | instskip(NEXT) | instid1(VALU_DEP_1)
	v_lshlrev_b32_e32 v5, 20, v5
	v_or3_b32 v138, v7, v6, v5
.LBB10_359:
	s_or_b32 exec_lo, exec_lo, s1
	v_and_b32_e32 v255, 0xff, v225
	s_mov_b32 s0, 0
	s_mov_b32 s1, exec_lo
	s_delay_alu instid0(VALU_DEP_1)
	v_cmpx_lt_i16_e64 0x7f, v255
	s_xor_b32 s1, exec_lo, s1
	s_cbranch_execnz .LBB10_868
; %bb.360:
	s_or_saveexec_b32 s1, s1
	v_mov_b32_e32 v227, 0x7f800001
	s_xor_b32 exec_lo, exec_lo, s1
	s_cbranch_execnz .LBB10_871
.LBB10_361:
	s_or_b32 exec_lo, exec_lo, s1
	s_and_saveexec_b32 s1, s0
	s_cbranch_execz .LBB10_363
.LBB10_362:
	v_lshrrev_b16 v7, 3, v225
	v_lshrrev_b16 v9, 7, v225
	s_delay_alu instid0(VALU_DEP_2) | instskip(NEXT) | instid1(VALU_DEP_1)
	v_and_b32_e32 v7, 15, v7
	v_cmp_eq_u16_e32 vcc_lo, 0, v7
	v_and_b32_e32 v5, 7, v225
	s_delay_alu instid0(VALU_DEP_1) | instskip(NEXT) | instid1(VALU_DEP_1)
	v_clz_i32_u32_e32 v6, v5
	v_min_u32_e32 v6, 32, v6
	s_delay_alu instid0(VALU_DEP_1) | instskip(SKIP_2) | instid1(VALU_DEP_1)
	v_subrev_nc_u32_e32 v8, 28, v6
	v_sub_nc_u32_e32 v6, 29, v6
	s_wait_alu 0xfffd
	v_cndmask_b32_e32 v6, v7, v6, vcc_lo
	s_delay_alu instid0(VALU_DEP_3) | instskip(SKIP_1) | instid1(VALU_DEP_3)
	v_lshlrev_b32_e32 v8, v8, v5
	v_lshlrev_b32_e32 v7, 31, v9
	v_lshl_add_u32 v6, v6, 23, 0x3b800000
	s_delay_alu instid0(VALU_DEP_3) | instskip(NEXT) | instid1(VALU_DEP_1)
	v_and_b32_e32 v8, 7, v8
	v_cndmask_b32_e32 v5, v5, v8, vcc_lo
	s_delay_alu instid0(VALU_DEP_1) | instskip(NEXT) | instid1(VALU_DEP_1)
	v_lshlrev_b32_e32 v5, 20, v5
	v_or3_b32 v227, v7, v6, v5
.LBB10_363:
	s_or_b32 exec_lo, exec_lo, s1
	s_mov_b32 s1, 0
	s_mov_b32 s0, exec_lo
	v_cmpx_lt_i16_e64 0x7f, v224
	s_xor_b32 s0, exec_lo, s0
	s_cbranch_execnz .LBB10_872
; %bb.364:
	s_or_saveexec_b32 s0, s0
	v_mov_b32_e32 v225, 0x7f800001
	s_xor_b32 exec_lo, exec_lo, s0
	s_cbranch_execnz .LBB10_875
.LBB10_365:
	s_or_b32 exec_lo, exec_lo, s0
	s_and_saveexec_b32 s0, s1
	s_cbranch_execz .LBB10_367
.LBB10_366:
	v_lshrrev_b16 v7, 3, v224
	v_lshrrev_b16 v9, 7, v224
	s_delay_alu instid0(VALU_DEP_2) | instskip(NEXT) | instid1(VALU_DEP_1)
	v_and_b32_e32 v7, 15, v7
	v_cmp_eq_u16_e32 vcc_lo, 0, v7
	v_and_b32_e32 v5, 7, v224
	s_delay_alu instid0(VALU_DEP_1) | instskip(NEXT) | instid1(VALU_DEP_1)
	v_clz_i32_u32_e32 v6, v5
	v_min_u32_e32 v6, 32, v6
	s_delay_alu instid0(VALU_DEP_1) | instskip(SKIP_2) | instid1(VALU_DEP_1)
	v_subrev_nc_u32_e32 v8, 28, v6
	v_sub_nc_u32_e32 v6, 29, v6
	s_wait_alu 0xfffd
	v_cndmask_b32_e32 v6, v7, v6, vcc_lo
	s_delay_alu instid0(VALU_DEP_3) | instskip(SKIP_1) | instid1(VALU_DEP_3)
	v_lshlrev_b32_e32 v8, v8, v5
	v_lshlrev_b32_e32 v7, 31, v9
	v_lshl_add_u32 v6, v6, 23, 0x3b800000
	s_delay_alu instid0(VALU_DEP_3) | instskip(NEXT) | instid1(VALU_DEP_1)
	v_and_b32_e32 v8, 7, v8
	v_cndmask_b32_e32 v5, v5, v8, vcc_lo
	s_delay_alu instid0(VALU_DEP_1) | instskip(NEXT) | instid1(VALU_DEP_1)
	v_lshlrev_b32_e32 v5, 20, v5
	v_or3_b32 v225, v7, v6, v5
.LBB10_367:
	s_or_b32 exec_lo, exec_lo, s0
	v_and_b32_e32 v255, 0xff, v139
	s_mov_b32 s0, 0
	s_mov_b32 s1, exec_lo
	s_delay_alu instid0(VALU_DEP_1)
	v_cmpx_lt_i16_e64 0x7f, v255
	s_xor_b32 s1, exec_lo, s1
	s_cbranch_execnz .LBB10_876
; %bb.368:
	s_or_saveexec_b32 s1, s1
	v_mov_b32_e32 v224, 0x7f800001
	s_xor_b32 exec_lo, exec_lo, s1
	s_cbranch_execnz .LBB10_879
.LBB10_369:
	s_or_b32 exec_lo, exec_lo, s1
	s_and_saveexec_b32 s1, s0
	s_cbranch_execz .LBB10_371
.LBB10_370:
	v_lshrrev_b16 v7, 3, v139
	v_lshrrev_b16 v9, 7, v139
	s_delay_alu instid0(VALU_DEP_2) | instskip(NEXT) | instid1(VALU_DEP_1)
	v_and_b32_e32 v7, 15, v7
	v_cmp_eq_u16_e32 vcc_lo, 0, v7
	v_and_b32_e32 v5, 7, v139
	s_delay_alu instid0(VALU_DEP_1) | instskip(NEXT) | instid1(VALU_DEP_1)
	v_clz_i32_u32_e32 v6, v5
	v_min_u32_e32 v6, 32, v6
	s_delay_alu instid0(VALU_DEP_1) | instskip(SKIP_2) | instid1(VALU_DEP_1)
	v_subrev_nc_u32_e32 v8, 28, v6
	v_sub_nc_u32_e32 v6, 29, v6
	s_wait_alu 0xfffd
	v_cndmask_b32_e32 v6, v7, v6, vcc_lo
	s_delay_alu instid0(VALU_DEP_3) | instskip(SKIP_1) | instid1(VALU_DEP_3)
	v_lshlrev_b32_e32 v8, v8, v5
	v_lshlrev_b32_e32 v7, 31, v9
	v_lshl_add_u32 v6, v6, 23, 0x3b800000
	s_delay_alu instid0(VALU_DEP_3) | instskip(NEXT) | instid1(VALU_DEP_1)
	v_and_b32_e32 v8, 7, v8
	v_cndmask_b32_e32 v5, v5, v8, vcc_lo
	s_delay_alu instid0(VALU_DEP_1) | instskip(NEXT) | instid1(VALU_DEP_1)
	v_lshlrev_b32_e32 v5, 20, v5
	v_or3_b32 v224, v7, v6, v5
.LBB10_371:
	s_or_b32 exec_lo, exec_lo, s1
	v_and_b32_e32 v255, 0xff, v221
	s_mov_b32 s0, 0
	s_mov_b32 s1, exec_lo
	s_delay_alu instid0(VALU_DEP_1)
	v_cmpx_lt_i16_e64 0x7f, v255
	s_xor_b32 s1, exec_lo, s1
	s_cbranch_execnz .LBB10_880
; %bb.372:
	s_or_saveexec_b32 s1, s1
	v_mov_b32_e32 v139, 0x7f800001
	s_xor_b32 exec_lo, exec_lo, s1
	s_cbranch_execnz .LBB10_883
.LBB10_373:
	s_or_b32 exec_lo, exec_lo, s1
	s_and_saveexec_b32 s1, s0
	s_cbranch_execz .LBB10_375
.LBB10_374:
	v_lshrrev_b16 v7, 3, v221
	v_lshrrev_b16 v9, 7, v221
	s_delay_alu instid0(VALU_DEP_2) | instskip(NEXT) | instid1(VALU_DEP_1)
	v_and_b32_e32 v7, 15, v7
	v_cmp_eq_u16_e32 vcc_lo, 0, v7
	v_and_b32_e32 v5, 7, v221
	s_delay_alu instid0(VALU_DEP_1) | instskip(NEXT) | instid1(VALU_DEP_1)
	v_clz_i32_u32_e32 v6, v5
	v_min_u32_e32 v6, 32, v6
	s_delay_alu instid0(VALU_DEP_1) | instskip(SKIP_2) | instid1(VALU_DEP_1)
	v_subrev_nc_u32_e32 v8, 28, v6
	v_sub_nc_u32_e32 v6, 29, v6
	s_wait_alu 0xfffd
	v_cndmask_b32_e32 v6, v7, v6, vcc_lo
	s_delay_alu instid0(VALU_DEP_3) | instskip(SKIP_1) | instid1(VALU_DEP_3)
	v_lshlrev_b32_e32 v8, v8, v5
	v_lshlrev_b32_e32 v7, 31, v9
	v_lshl_add_u32 v6, v6, 23, 0x3b800000
	s_delay_alu instid0(VALU_DEP_3) | instskip(NEXT) | instid1(VALU_DEP_1)
	v_and_b32_e32 v8, 7, v8
	v_cndmask_b32_e32 v5, v5, v8, vcc_lo
	s_delay_alu instid0(VALU_DEP_1) | instskip(NEXT) | instid1(VALU_DEP_1)
	v_lshlrev_b32_e32 v5, 20, v5
	v_or3_b32 v139, v7, v6, v5
.LBB10_375:
	s_or_b32 exec_lo, exec_lo, s1
	v_and_b32_e32 v255, 0xff, v219
	s_mov_b32 s0, 0
	s_mov_b32 s1, exec_lo
	s_delay_alu instid0(VALU_DEP_1)
	v_cmpx_lt_i16_e64 0x7f, v255
	s_xor_b32 s1, exec_lo, s1
	s_cbranch_execnz .LBB10_884
; %bb.376:
	s_or_saveexec_b32 s1, s1
	v_mov_b32_e32 v221, 0x7f800001
	s_xor_b32 exec_lo, exec_lo, s1
	s_cbranch_execnz .LBB10_887
.LBB10_377:
	s_or_b32 exec_lo, exec_lo, s1
	s_and_saveexec_b32 s1, s0
	s_cbranch_execz .LBB10_379
.LBB10_378:
	v_lshrrev_b16 v7, 3, v219
	v_lshrrev_b16 v9, 7, v219
	s_delay_alu instid0(VALU_DEP_2) | instskip(NEXT) | instid1(VALU_DEP_1)
	v_and_b32_e32 v7, 15, v7
	v_cmp_eq_u16_e32 vcc_lo, 0, v7
	v_and_b32_e32 v5, 7, v219
	s_delay_alu instid0(VALU_DEP_1) | instskip(NEXT) | instid1(VALU_DEP_1)
	v_clz_i32_u32_e32 v6, v5
	v_min_u32_e32 v6, 32, v6
	s_delay_alu instid0(VALU_DEP_1) | instskip(SKIP_2) | instid1(VALU_DEP_1)
	v_subrev_nc_u32_e32 v8, 28, v6
	v_sub_nc_u32_e32 v6, 29, v6
	s_wait_alu 0xfffd
	v_cndmask_b32_e32 v6, v7, v6, vcc_lo
	s_delay_alu instid0(VALU_DEP_3) | instskip(SKIP_1) | instid1(VALU_DEP_3)
	v_lshlrev_b32_e32 v8, v8, v5
	v_lshlrev_b32_e32 v7, 31, v9
	v_lshl_add_u32 v6, v6, 23, 0x3b800000
	s_delay_alu instid0(VALU_DEP_3) | instskip(NEXT) | instid1(VALU_DEP_1)
	v_and_b32_e32 v8, 7, v8
	v_cndmask_b32_e32 v5, v5, v8, vcc_lo
	s_delay_alu instid0(VALU_DEP_1) | instskip(NEXT) | instid1(VALU_DEP_1)
	v_lshlrev_b32_e32 v5, 20, v5
	v_or3_b32 v221, v7, v6, v5
.LBB10_379:
	s_or_b32 exec_lo, exec_lo, s1
	s_mov_b32 s1, 0
	s_mov_b32 s0, exec_lo
	v_cmpx_lt_i16_e64 0x7f, v218
	s_xor_b32 s0, exec_lo, s0
	s_cbranch_execnz .LBB10_888
; %bb.380:
	s_or_saveexec_b32 s0, s0
	v_mov_b32_e32 v219, 0x7f800001
	s_xor_b32 exec_lo, exec_lo, s0
	s_cbranch_execnz .LBB10_891
.LBB10_381:
	s_or_b32 exec_lo, exec_lo, s0
	s_and_saveexec_b32 s0, s1
	s_cbranch_execz .LBB10_383
.LBB10_382:
	v_and_b32_e32 v5, 7, v218
	v_lshrrev_b16 v7, 3, v218
	v_lshrrev_b16 v9, 7, v218
	s_delay_alu instid0(VALU_DEP_3) | instskip(NEXT) | instid1(VALU_DEP_3)
	v_clz_i32_u32_e32 v6, v5
	v_and_b32_e32 v7, 15, v7
	s_delay_alu instid0(VALU_DEP_2) | instskip(NEXT) | instid1(VALU_DEP_2)
	v_min_u32_e32 v6, 32, v6
	v_cmp_eq_u16_e32 vcc_lo, 0, v7
	s_delay_alu instid0(VALU_DEP_2) | instskip(SKIP_1) | instid1(VALU_DEP_2)
	v_subrev_nc_u32_e32 v8, 28, v6
	v_sub_nc_u32_e32 v6, 29, v6
	v_lshlrev_b32_e32 v8, v8, v5
	s_wait_alu 0xfffd
	s_delay_alu instid0(VALU_DEP_2) | instskip(NEXT) | instid1(VALU_DEP_2)
	v_dual_cndmask_b32 v6, v7, v6 :: v_dual_lshlrev_b32 v7, 31, v9
	v_and_b32_e32 v8, 7, v8
	s_delay_alu instid0(VALU_DEP_2) | instskip(NEXT) | instid1(VALU_DEP_2)
	v_lshl_add_u32 v6, v6, 23, 0x3b800000
	v_cndmask_b32_e32 v5, v5, v8, vcc_lo
	s_delay_alu instid0(VALU_DEP_1) | instskip(NEXT) | instid1(VALU_DEP_1)
	v_lshlrev_b32_e32 v5, 20, v5
	v_or3_b32 v219, v7, v6, v5
.LBB10_383:
	s_or_b32 exec_lo, exec_lo, s0
	v_and_b32_e32 v255, 0xff, v140
	s_mov_b32 s0, 0
	s_mov_b32 s1, exec_lo
	s_delay_alu instid0(VALU_DEP_1)
	v_cmpx_lt_i16_e64 0x7f, v255
	s_xor_b32 s1, exec_lo, s1
	s_cbranch_execnz .LBB10_892
; %bb.384:
	s_or_saveexec_b32 s1, s1
	v_mov_b32_e32 v218, 0x7f800001
	s_xor_b32 exec_lo, exec_lo, s1
	s_cbranch_execnz .LBB10_895
.LBB10_385:
	s_or_b32 exec_lo, exec_lo, s1
	s_and_saveexec_b32 s1, s0
	s_cbranch_execz .LBB10_387
.LBB10_386:
	v_lshrrev_b16 v7, 3, v140
	v_lshrrev_b16 v9, 7, v140
	s_delay_alu instid0(VALU_DEP_2) | instskip(NEXT) | instid1(VALU_DEP_1)
	v_and_b32_e32 v7, 15, v7
	v_cmp_eq_u16_e32 vcc_lo, 0, v7
	v_and_b32_e32 v5, 7, v140
	s_delay_alu instid0(VALU_DEP_1) | instskip(NEXT) | instid1(VALU_DEP_1)
	v_clz_i32_u32_e32 v6, v5
	v_min_u32_e32 v6, 32, v6
	s_delay_alu instid0(VALU_DEP_1) | instskip(SKIP_2) | instid1(VALU_DEP_1)
	v_subrev_nc_u32_e32 v8, 28, v6
	v_sub_nc_u32_e32 v6, 29, v6
	s_wait_alu 0xfffd
	v_cndmask_b32_e32 v6, v7, v6, vcc_lo
	s_delay_alu instid0(VALU_DEP_3) | instskip(SKIP_1) | instid1(VALU_DEP_3)
	v_lshlrev_b32_e32 v8, v8, v5
	v_lshlrev_b32_e32 v7, 31, v9
	v_lshl_add_u32 v6, v6, 23, 0x3b800000
	s_delay_alu instid0(VALU_DEP_3) | instskip(NEXT) | instid1(VALU_DEP_1)
	v_and_b32_e32 v8, 7, v8
	v_cndmask_b32_e32 v5, v5, v8, vcc_lo
	s_delay_alu instid0(VALU_DEP_1) | instskip(NEXT) | instid1(VALU_DEP_1)
	v_lshlrev_b32_e32 v5, 20, v5
	v_or3_b32 v218, v7, v6, v5
.LBB10_387:
	s_or_b32 exec_lo, exec_lo, s1
	v_and_b32_e32 v255, 0xff, v215
	s_mov_b32 s0, 0
	s_mov_b32 s1, exec_lo
	s_delay_alu instid0(VALU_DEP_1)
	v_cmpx_lt_i16_e64 0x7f, v255
	s_xor_b32 s1, exec_lo, s1
	s_cbranch_execnz .LBB10_896
; %bb.388:
	s_or_saveexec_b32 s1, s1
	v_mov_b32_e32 v140, 0x7f800001
	s_xor_b32 exec_lo, exec_lo, s1
	s_cbranch_execnz .LBB10_899
.LBB10_389:
	s_or_b32 exec_lo, exec_lo, s1
	s_and_saveexec_b32 s1, s0
	s_cbranch_execz .LBB10_391
.LBB10_390:
	v_lshrrev_b16 v7, 3, v215
	v_lshrrev_b16 v9, 7, v215
	s_delay_alu instid0(VALU_DEP_2) | instskip(NEXT) | instid1(VALU_DEP_1)
	v_and_b32_e32 v7, 15, v7
	v_cmp_eq_u16_e32 vcc_lo, 0, v7
	v_and_b32_e32 v5, 7, v215
	s_delay_alu instid0(VALU_DEP_1) | instskip(NEXT) | instid1(VALU_DEP_1)
	v_clz_i32_u32_e32 v6, v5
	v_min_u32_e32 v6, 32, v6
	s_delay_alu instid0(VALU_DEP_1) | instskip(SKIP_2) | instid1(VALU_DEP_1)
	v_subrev_nc_u32_e32 v8, 28, v6
	v_sub_nc_u32_e32 v6, 29, v6
	s_wait_alu 0xfffd
	v_cndmask_b32_e32 v6, v7, v6, vcc_lo
	s_delay_alu instid0(VALU_DEP_3) | instskip(SKIP_1) | instid1(VALU_DEP_3)
	v_lshlrev_b32_e32 v8, v8, v5
	v_lshlrev_b32_e32 v7, 31, v9
	v_lshl_add_u32 v6, v6, 23, 0x3b800000
	s_delay_alu instid0(VALU_DEP_3) | instskip(NEXT) | instid1(VALU_DEP_1)
	v_and_b32_e32 v8, 7, v8
	v_cndmask_b32_e32 v5, v5, v8, vcc_lo
	s_delay_alu instid0(VALU_DEP_1) | instskip(NEXT) | instid1(VALU_DEP_1)
	v_lshlrev_b32_e32 v5, 20, v5
	v_or3_b32 v140, v7, v6, v5
.LBB10_391:
	s_or_b32 exec_lo, exec_lo, s1
	v_and_b32_e32 v255, 0xff, v213
	s_mov_b32 s0, 0
	s_mov_b32 s1, exec_lo
	s_delay_alu instid0(VALU_DEP_1)
	v_cmpx_lt_i16_e64 0x7f, v255
	s_xor_b32 s1, exec_lo, s1
	s_cbranch_execnz .LBB10_900
; %bb.392:
	s_or_saveexec_b32 s1, s1
	v_mov_b32_e32 v215, 0x7f800001
	s_xor_b32 exec_lo, exec_lo, s1
	s_cbranch_execnz .LBB10_903
.LBB10_393:
	s_or_b32 exec_lo, exec_lo, s1
	s_and_saveexec_b32 s1, s0
	s_cbranch_execz .LBB10_395
.LBB10_394:
	v_lshrrev_b16 v7, 3, v213
	v_lshrrev_b16 v9, 7, v213
	s_delay_alu instid0(VALU_DEP_2) | instskip(NEXT) | instid1(VALU_DEP_1)
	v_and_b32_e32 v7, 15, v7
	v_cmp_eq_u16_e32 vcc_lo, 0, v7
	v_and_b32_e32 v5, 7, v213
	s_delay_alu instid0(VALU_DEP_1) | instskip(NEXT) | instid1(VALU_DEP_1)
	v_clz_i32_u32_e32 v6, v5
	v_min_u32_e32 v6, 32, v6
	s_delay_alu instid0(VALU_DEP_1) | instskip(SKIP_2) | instid1(VALU_DEP_1)
	v_subrev_nc_u32_e32 v8, 28, v6
	v_sub_nc_u32_e32 v6, 29, v6
	s_wait_alu 0xfffd
	v_cndmask_b32_e32 v6, v7, v6, vcc_lo
	s_delay_alu instid0(VALU_DEP_3) | instskip(SKIP_1) | instid1(VALU_DEP_3)
	v_lshlrev_b32_e32 v8, v8, v5
	v_lshlrev_b32_e32 v7, 31, v9
	v_lshl_add_u32 v6, v6, 23, 0x3b800000
	s_delay_alu instid0(VALU_DEP_3) | instskip(NEXT) | instid1(VALU_DEP_1)
	v_and_b32_e32 v8, 7, v8
	v_cndmask_b32_e32 v5, v5, v8, vcc_lo
	s_delay_alu instid0(VALU_DEP_1) | instskip(NEXT) | instid1(VALU_DEP_1)
	v_lshlrev_b32_e32 v5, 20, v5
	v_or3_b32 v215, v7, v6, v5
.LBB10_395:
	s_or_b32 exec_lo, exec_lo, s1
	s_mov_b32 s1, 0
	s_mov_b32 s0, exec_lo
	v_cmpx_lt_i16_e64 0x7f, v212
	s_xor_b32 s0, exec_lo, s0
	s_cbranch_execnz .LBB10_904
; %bb.396:
	s_or_saveexec_b32 s0, s0
	v_mov_b32_e32 v213, 0x7f800001
	s_xor_b32 exec_lo, exec_lo, s0
	s_cbranch_execnz .LBB10_907
.LBB10_397:
	s_or_b32 exec_lo, exec_lo, s0
	s_and_saveexec_b32 s0, s1
	s_cbranch_execz .LBB10_399
.LBB10_398:
	v_lshrrev_b16 v7, 3, v212
	v_lshrrev_b16 v9, 7, v212
	s_delay_alu instid0(VALU_DEP_2) | instskip(NEXT) | instid1(VALU_DEP_1)
	v_and_b32_e32 v7, 15, v7
	v_cmp_eq_u16_e32 vcc_lo, 0, v7
	v_and_b32_e32 v5, 7, v212
	s_delay_alu instid0(VALU_DEP_1) | instskip(NEXT) | instid1(VALU_DEP_1)
	v_clz_i32_u32_e32 v6, v5
	v_min_u32_e32 v6, 32, v6
	s_delay_alu instid0(VALU_DEP_1) | instskip(SKIP_2) | instid1(VALU_DEP_1)
	v_subrev_nc_u32_e32 v8, 28, v6
	v_sub_nc_u32_e32 v6, 29, v6
	s_wait_alu 0xfffd
	v_cndmask_b32_e32 v6, v7, v6, vcc_lo
	s_delay_alu instid0(VALU_DEP_3) | instskip(SKIP_1) | instid1(VALU_DEP_3)
	v_lshlrev_b32_e32 v8, v8, v5
	v_lshlrev_b32_e32 v7, 31, v9
	v_lshl_add_u32 v6, v6, 23, 0x3b800000
	s_delay_alu instid0(VALU_DEP_3) | instskip(NEXT) | instid1(VALU_DEP_1)
	v_and_b32_e32 v8, 7, v8
	v_cndmask_b32_e32 v5, v5, v8, vcc_lo
	s_delay_alu instid0(VALU_DEP_1) | instskip(NEXT) | instid1(VALU_DEP_1)
	v_lshlrev_b32_e32 v5, 20, v5
	v_or3_b32 v213, v7, v6, v5
.LBB10_399:
	s_or_b32 exec_lo, exec_lo, s0
	v_and_b32_e32 v255, 0xff, v133
	s_mov_b32 s0, 0
	s_mov_b32 s1, exec_lo
	s_delay_alu instid0(VALU_DEP_1)
	v_cmpx_lt_i16_e64 0x7f, v255
	s_xor_b32 s1, exec_lo, s1
	s_cbranch_execnz .LBB10_908
; %bb.400:
	s_or_saveexec_b32 s1, s1
	v_mov_b32_e32 v212, 0x7f800001
	s_xor_b32 exec_lo, exec_lo, s1
	s_cbranch_execnz .LBB10_911
.LBB10_401:
	s_or_b32 exec_lo, exec_lo, s1
	s_and_saveexec_b32 s1, s0
	s_cbranch_execz .LBB10_403
.LBB10_402:
	v_lshrrev_b16 v7, 3, v133
	v_lshrrev_b16 v9, 7, v133
	s_delay_alu instid0(VALU_DEP_2) | instskip(NEXT) | instid1(VALU_DEP_1)
	v_and_b32_e32 v7, 15, v7
	v_cmp_eq_u16_e32 vcc_lo, 0, v7
	v_and_b32_e32 v5, 7, v133
	s_delay_alu instid0(VALU_DEP_1) | instskip(NEXT) | instid1(VALU_DEP_1)
	v_clz_i32_u32_e32 v6, v5
	v_min_u32_e32 v6, 32, v6
	s_delay_alu instid0(VALU_DEP_1) | instskip(SKIP_2) | instid1(VALU_DEP_1)
	v_subrev_nc_u32_e32 v8, 28, v6
	v_sub_nc_u32_e32 v6, 29, v6
	s_wait_alu 0xfffd
	v_cndmask_b32_e32 v6, v7, v6, vcc_lo
	s_delay_alu instid0(VALU_DEP_3) | instskip(SKIP_1) | instid1(VALU_DEP_3)
	v_lshlrev_b32_e32 v8, v8, v5
	v_lshlrev_b32_e32 v7, 31, v9
	v_lshl_add_u32 v6, v6, 23, 0x3b800000
	s_delay_alu instid0(VALU_DEP_3) | instskip(NEXT) | instid1(VALU_DEP_1)
	v_and_b32_e32 v8, 7, v8
	v_cndmask_b32_e32 v5, v5, v8, vcc_lo
	s_delay_alu instid0(VALU_DEP_1) | instskip(NEXT) | instid1(VALU_DEP_1)
	v_lshlrev_b32_e32 v5, 20, v5
	v_or3_b32 v212, v7, v6, v5
.LBB10_403:
	s_or_b32 exec_lo, exec_lo, s1
	v_and_b32_e32 v255, 0xff, v209
	s_mov_b32 s0, 0
	s_mov_b32 s1, exec_lo
	s_delay_alu instid0(VALU_DEP_1)
	v_cmpx_lt_i16_e64 0x7f, v255
	s_xor_b32 s1, exec_lo, s1
	s_cbranch_execnz .LBB10_912
; %bb.404:
	s_or_saveexec_b32 s1, s1
	v_mov_b32_e32 v133, 0x7f800001
	s_xor_b32 exec_lo, exec_lo, s1
	s_cbranch_execnz .LBB10_915
.LBB10_405:
	s_or_b32 exec_lo, exec_lo, s1
	s_and_saveexec_b32 s1, s0
	s_cbranch_execz .LBB10_407
.LBB10_406:
	v_lshrrev_b16 v7, 3, v209
	v_lshrrev_b16 v9, 7, v209
	s_delay_alu instid0(VALU_DEP_2) | instskip(NEXT) | instid1(VALU_DEP_1)
	v_and_b32_e32 v7, 15, v7
	v_cmp_eq_u16_e32 vcc_lo, 0, v7
	v_and_b32_e32 v5, 7, v209
	s_delay_alu instid0(VALU_DEP_1) | instskip(NEXT) | instid1(VALU_DEP_1)
	v_clz_i32_u32_e32 v6, v5
	v_min_u32_e32 v6, 32, v6
	s_delay_alu instid0(VALU_DEP_1) | instskip(SKIP_2) | instid1(VALU_DEP_1)
	v_subrev_nc_u32_e32 v8, 28, v6
	v_sub_nc_u32_e32 v6, 29, v6
	s_wait_alu 0xfffd
	v_cndmask_b32_e32 v6, v7, v6, vcc_lo
	s_delay_alu instid0(VALU_DEP_3) | instskip(SKIP_1) | instid1(VALU_DEP_3)
	v_lshlrev_b32_e32 v8, v8, v5
	v_lshlrev_b32_e32 v7, 31, v9
	v_lshl_add_u32 v6, v6, 23, 0x3b800000
	s_delay_alu instid0(VALU_DEP_3) | instskip(NEXT) | instid1(VALU_DEP_1)
	v_and_b32_e32 v8, 7, v8
	v_cndmask_b32_e32 v5, v5, v8, vcc_lo
	s_delay_alu instid0(VALU_DEP_1) | instskip(NEXT) | instid1(VALU_DEP_1)
	v_lshlrev_b32_e32 v5, 20, v5
	v_or3_b32 v133, v7, v6, v5
.LBB10_407:
	s_or_b32 exec_lo, exec_lo, s1
	v_and_b32_e32 v255, 0xff, v207
	s_mov_b32 s0, 0
	s_mov_b32 s1, exec_lo
	s_delay_alu instid0(VALU_DEP_1)
	v_cmpx_lt_i16_e64 0x7f, v255
	s_xor_b32 s1, exec_lo, s1
	s_cbranch_execnz .LBB10_916
; %bb.408:
	s_or_saveexec_b32 s1, s1
	v_mov_b32_e32 v209, 0x7f800001
	s_xor_b32 exec_lo, exec_lo, s1
	s_cbranch_execnz .LBB10_919
.LBB10_409:
	s_or_b32 exec_lo, exec_lo, s1
	s_and_saveexec_b32 s1, s0
	s_cbranch_execz .LBB10_411
.LBB10_410:
	v_lshrrev_b16 v7, 3, v207
	v_lshrrev_b16 v9, 7, v207
	s_delay_alu instid0(VALU_DEP_2) | instskip(NEXT) | instid1(VALU_DEP_1)
	v_and_b32_e32 v7, 15, v7
	v_cmp_eq_u16_e32 vcc_lo, 0, v7
	v_and_b32_e32 v5, 7, v207
	s_delay_alu instid0(VALU_DEP_1) | instskip(NEXT) | instid1(VALU_DEP_1)
	v_clz_i32_u32_e32 v6, v5
	v_min_u32_e32 v6, 32, v6
	s_delay_alu instid0(VALU_DEP_1) | instskip(SKIP_2) | instid1(VALU_DEP_1)
	v_subrev_nc_u32_e32 v8, 28, v6
	v_sub_nc_u32_e32 v6, 29, v6
	s_wait_alu 0xfffd
	v_cndmask_b32_e32 v6, v7, v6, vcc_lo
	s_delay_alu instid0(VALU_DEP_3) | instskip(SKIP_1) | instid1(VALU_DEP_3)
	v_lshlrev_b32_e32 v8, v8, v5
	v_lshlrev_b32_e32 v7, 31, v9
	v_lshl_add_u32 v6, v6, 23, 0x3b800000
	s_delay_alu instid0(VALU_DEP_3) | instskip(NEXT) | instid1(VALU_DEP_1)
	v_and_b32_e32 v8, 7, v8
	v_cndmask_b32_e32 v5, v5, v8, vcc_lo
	s_delay_alu instid0(VALU_DEP_1) | instskip(NEXT) | instid1(VALU_DEP_1)
	v_lshlrev_b32_e32 v5, 20, v5
	v_or3_b32 v209, v7, v6, v5
.LBB10_411:
	s_or_b32 exec_lo, exec_lo, s1
	s_mov_b32 s1, 0
	s_mov_b32 s0, exec_lo
	v_cmpx_lt_i16_e64 0x7f, v206
	s_xor_b32 s0, exec_lo, s0
	s_cbranch_execnz .LBB10_920
; %bb.412:
	s_or_saveexec_b32 s0, s0
	v_mov_b32_e32 v207, 0x7f800001
	s_xor_b32 exec_lo, exec_lo, s0
	s_cbranch_execnz .LBB10_923
.LBB10_413:
	s_or_b32 exec_lo, exec_lo, s0
	s_and_saveexec_b32 s0, s1
	s_cbranch_execz .LBB10_415
.LBB10_414:
	v_and_b32_e32 v5, 7, v206
	v_lshrrev_b16 v7, 3, v206
	v_lshrrev_b16 v9, 7, v206
	s_delay_alu instid0(VALU_DEP_3) | instskip(NEXT) | instid1(VALU_DEP_3)
	v_clz_i32_u32_e32 v6, v5
	v_and_b32_e32 v7, 15, v7
	s_delay_alu instid0(VALU_DEP_2) | instskip(NEXT) | instid1(VALU_DEP_2)
	v_min_u32_e32 v6, 32, v6
	v_cmp_eq_u16_e32 vcc_lo, 0, v7
	s_delay_alu instid0(VALU_DEP_2) | instskip(SKIP_1) | instid1(VALU_DEP_2)
	v_subrev_nc_u32_e32 v8, 28, v6
	v_sub_nc_u32_e32 v6, 29, v6
	v_lshlrev_b32_e32 v8, v8, v5
	s_wait_alu 0xfffd
	s_delay_alu instid0(VALU_DEP_2) | instskip(NEXT) | instid1(VALU_DEP_2)
	v_dual_cndmask_b32 v6, v7, v6 :: v_dual_lshlrev_b32 v7, 31, v9
	v_and_b32_e32 v8, 7, v8
	s_delay_alu instid0(VALU_DEP_2) | instskip(NEXT) | instid1(VALU_DEP_2)
	v_lshl_add_u32 v6, v6, 23, 0x3b800000
	v_cndmask_b32_e32 v5, v5, v8, vcc_lo
	s_delay_alu instid0(VALU_DEP_1) | instskip(NEXT) | instid1(VALU_DEP_1)
	v_lshlrev_b32_e32 v5, 20, v5
	v_or3_b32 v207, v7, v6, v5
.LBB10_415:
	s_or_b32 exec_lo, exec_lo, s0
	v_and_b32_e32 v255, 0xff, v134
	s_mov_b32 s0, 0
	s_mov_b32 s1, exec_lo
	s_delay_alu instid0(VALU_DEP_1)
	v_cmpx_lt_i16_e64 0x7f, v255
	s_xor_b32 s1, exec_lo, s1
	s_cbranch_execnz .LBB10_924
; %bb.416:
	s_or_saveexec_b32 s1, s1
	v_mov_b32_e32 v206, 0x7f800001
	s_xor_b32 exec_lo, exec_lo, s1
	s_cbranch_execnz .LBB10_927
.LBB10_417:
	s_or_b32 exec_lo, exec_lo, s1
	s_and_saveexec_b32 s1, s0
	s_cbranch_execz .LBB10_419
.LBB10_418:
	v_and_b32_e32 v5, 7, v134
	v_lshrrev_b16 v7, 3, v134
	v_lshrrev_b16 v9, 7, v134
	s_delay_alu instid0(VALU_DEP_3) | instskip(NEXT) | instid1(VALU_DEP_3)
	v_clz_i32_u32_e32 v6, v5
	v_and_b32_e32 v7, 15, v7
	s_delay_alu instid0(VALU_DEP_2) | instskip(NEXT) | instid1(VALU_DEP_2)
	v_min_u32_e32 v6, 32, v6
	v_cmp_eq_u16_e32 vcc_lo, 0, v7
	s_delay_alu instid0(VALU_DEP_2) | instskip(SKIP_1) | instid1(VALU_DEP_2)
	v_subrev_nc_u32_e32 v8, 28, v6
	v_sub_nc_u32_e32 v6, 29, v6
	v_lshlrev_b32_e32 v8, v8, v5
	s_wait_alu 0xfffd
	s_delay_alu instid0(VALU_DEP_2) | instskip(NEXT) | instid1(VALU_DEP_2)
	v_dual_cndmask_b32 v6, v7, v6 :: v_dual_lshlrev_b32 v7, 31, v9
	v_and_b32_e32 v8, 7, v8
	s_delay_alu instid0(VALU_DEP_2) | instskip(NEXT) | instid1(VALU_DEP_2)
	v_lshl_add_u32 v6, v6, 23, 0x3b800000
	v_cndmask_b32_e32 v5, v5, v8, vcc_lo
	s_delay_alu instid0(VALU_DEP_1) | instskip(NEXT) | instid1(VALU_DEP_1)
	v_lshlrev_b32_e32 v5, 20, v5
	v_or3_b32 v206, v7, v6, v5
.LBB10_419:
	s_or_b32 exec_lo, exec_lo, s1
	v_and_b32_e32 v255, 0xff, v203
	s_mov_b32 s0, 0
	s_mov_b32 s1, exec_lo
	s_delay_alu instid0(VALU_DEP_1)
	v_cmpx_lt_i16_e64 0x7f, v255
	s_xor_b32 s1, exec_lo, s1
	s_cbranch_execnz .LBB10_928
; %bb.420:
	s_or_saveexec_b32 s1, s1
	v_mov_b32_e32 v134, 0x7f800001
	s_xor_b32 exec_lo, exec_lo, s1
	s_cbranch_execnz .LBB10_931
.LBB10_421:
	s_or_b32 exec_lo, exec_lo, s1
	s_and_saveexec_b32 s1, s0
	s_cbranch_execz .LBB10_423
.LBB10_422:
	v_lshrrev_b16 v7, 3, v203
	v_lshrrev_b16 v9, 7, v203
	s_delay_alu instid0(VALU_DEP_2) | instskip(NEXT) | instid1(VALU_DEP_1)
	v_and_b32_e32 v7, 15, v7
	v_cmp_eq_u16_e32 vcc_lo, 0, v7
	v_and_b32_e32 v5, 7, v203
	s_delay_alu instid0(VALU_DEP_1) | instskip(NEXT) | instid1(VALU_DEP_1)
	v_clz_i32_u32_e32 v6, v5
	v_min_u32_e32 v6, 32, v6
	s_delay_alu instid0(VALU_DEP_1) | instskip(SKIP_2) | instid1(VALU_DEP_1)
	v_subrev_nc_u32_e32 v8, 28, v6
	v_sub_nc_u32_e32 v6, 29, v6
	s_wait_alu 0xfffd
	v_cndmask_b32_e32 v6, v7, v6, vcc_lo
	s_delay_alu instid0(VALU_DEP_3) | instskip(SKIP_1) | instid1(VALU_DEP_3)
	v_lshlrev_b32_e32 v8, v8, v5
	v_lshlrev_b32_e32 v7, 31, v9
	v_lshl_add_u32 v6, v6, 23, 0x3b800000
	s_delay_alu instid0(VALU_DEP_3) | instskip(NEXT) | instid1(VALU_DEP_1)
	v_and_b32_e32 v8, 7, v8
	v_cndmask_b32_e32 v5, v5, v8, vcc_lo
	s_delay_alu instid0(VALU_DEP_1) | instskip(NEXT) | instid1(VALU_DEP_1)
	v_lshlrev_b32_e32 v5, 20, v5
	v_or3_b32 v134, v7, v6, v5
.LBB10_423:
	s_or_b32 exec_lo, exec_lo, s1
	v_and_b32_e32 v255, 0xff, v201
	s_mov_b32 s0, 0
	s_mov_b32 s1, exec_lo
	s_delay_alu instid0(VALU_DEP_1)
	v_cmpx_lt_i16_e64 0x7f, v255
	s_xor_b32 s1, exec_lo, s1
	s_cbranch_execnz .LBB10_932
; %bb.424:
	s_or_saveexec_b32 s1, s1
	v_mov_b32_e32 v203, 0x7f800001
	s_xor_b32 exec_lo, exec_lo, s1
	s_cbranch_execnz .LBB10_935
.LBB10_425:
	s_or_b32 exec_lo, exec_lo, s1
	s_and_saveexec_b32 s1, s0
	s_cbranch_execz .LBB10_427
.LBB10_426:
	v_lshrrev_b16 v7, 3, v201
	v_lshrrev_b16 v9, 7, v201
	s_delay_alu instid0(VALU_DEP_2) | instskip(NEXT) | instid1(VALU_DEP_1)
	v_and_b32_e32 v7, 15, v7
	v_cmp_eq_u16_e32 vcc_lo, 0, v7
	v_and_b32_e32 v5, 7, v201
	s_delay_alu instid0(VALU_DEP_1) | instskip(NEXT) | instid1(VALU_DEP_1)
	v_clz_i32_u32_e32 v6, v5
	v_min_u32_e32 v6, 32, v6
	s_delay_alu instid0(VALU_DEP_1) | instskip(SKIP_2) | instid1(VALU_DEP_1)
	v_subrev_nc_u32_e32 v8, 28, v6
	v_sub_nc_u32_e32 v6, 29, v6
	s_wait_alu 0xfffd
	v_cndmask_b32_e32 v6, v7, v6, vcc_lo
	s_delay_alu instid0(VALU_DEP_3) | instskip(SKIP_1) | instid1(VALU_DEP_3)
	v_lshlrev_b32_e32 v8, v8, v5
	v_lshlrev_b32_e32 v7, 31, v9
	v_lshl_add_u32 v6, v6, 23, 0x3b800000
	s_delay_alu instid0(VALU_DEP_3) | instskip(NEXT) | instid1(VALU_DEP_1)
	v_and_b32_e32 v8, 7, v8
	v_cndmask_b32_e32 v5, v5, v8, vcc_lo
	s_delay_alu instid0(VALU_DEP_1) | instskip(NEXT) | instid1(VALU_DEP_1)
	v_lshlrev_b32_e32 v5, 20, v5
	v_or3_b32 v203, v7, v6, v5
.LBB10_427:
	s_or_b32 exec_lo, exec_lo, s1
	s_mov_b32 s1, 0
	s_mov_b32 s0, exec_lo
	v_cmpx_lt_i16_e64 0x7f, v200
	s_xor_b32 s0, exec_lo, s0
	s_cbranch_execnz .LBB10_936
; %bb.428:
	s_or_saveexec_b32 s0, s0
	v_mov_b32_e32 v201, 0x7f800001
	s_xor_b32 exec_lo, exec_lo, s0
	s_cbranch_execnz .LBB10_939
.LBB10_429:
	s_or_b32 exec_lo, exec_lo, s0
	s_and_saveexec_b32 s0, s1
	s_cbranch_execz .LBB10_431
.LBB10_430:
	v_lshrrev_b16 v7, 3, v200
	v_lshrrev_b16 v9, 7, v200
	s_delay_alu instid0(VALU_DEP_2) | instskip(NEXT) | instid1(VALU_DEP_1)
	v_and_b32_e32 v7, 15, v7
	v_cmp_eq_u16_e32 vcc_lo, 0, v7
	v_and_b32_e32 v5, 7, v200
	s_delay_alu instid0(VALU_DEP_1) | instskip(NEXT) | instid1(VALU_DEP_1)
	v_clz_i32_u32_e32 v6, v5
	v_min_u32_e32 v6, 32, v6
	s_delay_alu instid0(VALU_DEP_1) | instskip(SKIP_2) | instid1(VALU_DEP_1)
	v_subrev_nc_u32_e32 v8, 28, v6
	v_sub_nc_u32_e32 v6, 29, v6
	s_wait_alu 0xfffd
	v_cndmask_b32_e32 v6, v7, v6, vcc_lo
	s_delay_alu instid0(VALU_DEP_3) | instskip(SKIP_1) | instid1(VALU_DEP_3)
	v_lshlrev_b32_e32 v8, v8, v5
	v_lshlrev_b32_e32 v7, 31, v9
	v_lshl_add_u32 v6, v6, 23, 0x3b800000
	s_delay_alu instid0(VALU_DEP_3) | instskip(NEXT) | instid1(VALU_DEP_1)
	v_and_b32_e32 v8, 7, v8
	v_cndmask_b32_e32 v5, v5, v8, vcc_lo
	s_delay_alu instid0(VALU_DEP_1) | instskip(NEXT) | instid1(VALU_DEP_1)
	v_lshlrev_b32_e32 v5, 20, v5
	v_or3_b32 v201, v7, v6, v5
.LBB10_431:
	s_or_b32 exec_lo, exec_lo, s0
	v_and_b32_e32 v255, 0xff, v135
	s_mov_b32 s0, 0
	s_mov_b32 s1, exec_lo
	s_delay_alu instid0(VALU_DEP_1)
	v_cmpx_lt_i16_e64 0x7f, v255
	s_xor_b32 s1, exec_lo, s1
	s_cbranch_execnz .LBB10_940
; %bb.432:
	s_or_saveexec_b32 s1, s1
	v_mov_b32_e32 v200, 0x7f800001
	s_xor_b32 exec_lo, exec_lo, s1
	s_cbranch_execnz .LBB10_943
.LBB10_433:
	s_or_b32 exec_lo, exec_lo, s1
	s_and_saveexec_b32 s1, s0
	s_cbranch_execz .LBB10_435
.LBB10_434:
	v_lshrrev_b16 v7, 3, v135
	v_lshrrev_b16 v9, 7, v135
	s_delay_alu instid0(VALU_DEP_2) | instskip(NEXT) | instid1(VALU_DEP_1)
	v_and_b32_e32 v7, 15, v7
	v_cmp_eq_u16_e32 vcc_lo, 0, v7
	v_and_b32_e32 v5, 7, v135
	s_delay_alu instid0(VALU_DEP_1) | instskip(NEXT) | instid1(VALU_DEP_1)
	v_clz_i32_u32_e32 v6, v5
	v_min_u32_e32 v6, 32, v6
	s_delay_alu instid0(VALU_DEP_1) | instskip(SKIP_2) | instid1(VALU_DEP_1)
	v_subrev_nc_u32_e32 v8, 28, v6
	v_sub_nc_u32_e32 v6, 29, v6
	s_wait_alu 0xfffd
	v_cndmask_b32_e32 v6, v7, v6, vcc_lo
	s_delay_alu instid0(VALU_DEP_3) | instskip(SKIP_1) | instid1(VALU_DEP_3)
	v_lshlrev_b32_e32 v8, v8, v5
	v_lshlrev_b32_e32 v7, 31, v9
	v_lshl_add_u32 v6, v6, 23, 0x3b800000
	s_delay_alu instid0(VALU_DEP_3) | instskip(NEXT) | instid1(VALU_DEP_1)
	v_and_b32_e32 v8, 7, v8
	v_cndmask_b32_e32 v5, v5, v8, vcc_lo
	s_delay_alu instid0(VALU_DEP_1) | instskip(NEXT) | instid1(VALU_DEP_1)
	v_lshlrev_b32_e32 v5, 20, v5
	v_or3_b32 v200, v7, v6, v5
.LBB10_435:
	s_or_b32 exec_lo, exec_lo, s1
	v_and_b32_e32 v255, 0xff, v197
	s_mov_b32 s0, 0
	s_mov_b32 s1, exec_lo
	s_delay_alu instid0(VALU_DEP_1)
	v_cmpx_lt_i16_e64 0x7f, v255
	s_xor_b32 s1, exec_lo, s1
	s_cbranch_execnz .LBB10_944
; %bb.436:
	s_or_saveexec_b32 s1, s1
	v_mov_b32_e32 v135, 0x7f800001
	s_xor_b32 exec_lo, exec_lo, s1
	s_cbranch_execnz .LBB10_947
.LBB10_437:
	s_or_b32 exec_lo, exec_lo, s1
	s_and_saveexec_b32 s1, s0
	s_cbranch_execz .LBB10_439
.LBB10_438:
	v_lshrrev_b16 v7, 3, v197
	v_lshrrev_b16 v9, 7, v197
	s_delay_alu instid0(VALU_DEP_2) | instskip(NEXT) | instid1(VALU_DEP_1)
	v_and_b32_e32 v7, 15, v7
	v_cmp_eq_u16_e32 vcc_lo, 0, v7
	v_and_b32_e32 v5, 7, v197
	s_delay_alu instid0(VALU_DEP_1) | instskip(NEXT) | instid1(VALU_DEP_1)
	v_clz_i32_u32_e32 v6, v5
	v_min_u32_e32 v6, 32, v6
	s_delay_alu instid0(VALU_DEP_1) | instskip(SKIP_2) | instid1(VALU_DEP_1)
	v_subrev_nc_u32_e32 v8, 28, v6
	v_sub_nc_u32_e32 v6, 29, v6
	s_wait_alu 0xfffd
	v_cndmask_b32_e32 v6, v7, v6, vcc_lo
	s_delay_alu instid0(VALU_DEP_3) | instskip(SKIP_1) | instid1(VALU_DEP_3)
	v_lshlrev_b32_e32 v8, v8, v5
	v_lshlrev_b32_e32 v7, 31, v9
	v_lshl_add_u32 v6, v6, 23, 0x3b800000
	s_delay_alu instid0(VALU_DEP_3) | instskip(NEXT) | instid1(VALU_DEP_1)
	v_and_b32_e32 v8, 7, v8
	v_cndmask_b32_e32 v5, v5, v8, vcc_lo
	s_delay_alu instid0(VALU_DEP_1) | instskip(NEXT) | instid1(VALU_DEP_1)
	v_lshlrev_b32_e32 v5, 20, v5
	v_or3_b32 v135, v7, v6, v5
.LBB10_439:
	s_or_b32 exec_lo, exec_lo, s1
	v_and_b32_e32 v255, 0xff, v195
	s_mov_b32 s0, 0
	s_mov_b32 s1, exec_lo
	s_delay_alu instid0(VALU_DEP_1)
	v_cmpx_lt_i16_e64 0x7f, v255
	s_xor_b32 s1, exec_lo, s1
	s_cbranch_execnz .LBB10_948
; %bb.440:
	s_or_saveexec_b32 s1, s1
	v_mov_b32_e32 v197, 0x7f800001
	s_xor_b32 exec_lo, exec_lo, s1
	s_cbranch_execnz .LBB10_951
.LBB10_441:
	s_or_b32 exec_lo, exec_lo, s1
	s_and_saveexec_b32 s1, s0
	s_cbranch_execz .LBB10_443
.LBB10_442:
	v_lshrrev_b16 v7, 3, v195
	v_lshrrev_b16 v9, 7, v195
	s_delay_alu instid0(VALU_DEP_2) | instskip(NEXT) | instid1(VALU_DEP_1)
	v_and_b32_e32 v7, 15, v7
	v_cmp_eq_u16_e32 vcc_lo, 0, v7
	v_and_b32_e32 v5, 7, v195
	s_delay_alu instid0(VALU_DEP_1) | instskip(NEXT) | instid1(VALU_DEP_1)
	v_clz_i32_u32_e32 v6, v5
	v_min_u32_e32 v6, 32, v6
	s_delay_alu instid0(VALU_DEP_1) | instskip(SKIP_2) | instid1(VALU_DEP_1)
	v_subrev_nc_u32_e32 v8, 28, v6
	v_sub_nc_u32_e32 v6, 29, v6
	s_wait_alu 0xfffd
	v_cndmask_b32_e32 v6, v7, v6, vcc_lo
	s_delay_alu instid0(VALU_DEP_3) | instskip(SKIP_1) | instid1(VALU_DEP_3)
	v_lshlrev_b32_e32 v8, v8, v5
	v_lshlrev_b32_e32 v7, 31, v9
	v_lshl_add_u32 v6, v6, 23, 0x3b800000
	s_delay_alu instid0(VALU_DEP_3) | instskip(NEXT) | instid1(VALU_DEP_1)
	v_and_b32_e32 v8, 7, v8
	v_cndmask_b32_e32 v5, v5, v8, vcc_lo
	s_delay_alu instid0(VALU_DEP_1) | instskip(NEXT) | instid1(VALU_DEP_1)
	v_lshlrev_b32_e32 v5, 20, v5
	v_or3_b32 v197, v7, v6, v5
.LBB10_443:
	s_or_b32 exec_lo, exec_lo, s1
	s_mov_b32 s1, 0
	s_mov_b32 s0, exec_lo
	v_cmpx_lt_i16_e64 0x7f, v194
	s_xor_b32 s0, exec_lo, s0
	s_cbranch_execnz .LBB10_952
; %bb.444:
	s_or_saveexec_b32 s0, s0
	v_mov_b32_e32 v195, 0x7f800001
	s_xor_b32 exec_lo, exec_lo, s0
	s_cbranch_execnz .LBB10_955
.LBB10_445:
	s_or_b32 exec_lo, exec_lo, s0
	s_and_saveexec_b32 s0, s1
	s_cbranch_execz .LBB10_447
.LBB10_446:
	v_and_b32_e32 v5, 7, v194
	v_lshrrev_b16 v7, 3, v194
	v_lshrrev_b16 v9, 7, v194
	s_delay_alu instid0(VALU_DEP_3) | instskip(NEXT) | instid1(VALU_DEP_3)
	v_clz_i32_u32_e32 v6, v5
	v_and_b32_e32 v7, 15, v7
	s_delay_alu instid0(VALU_DEP_2) | instskip(NEXT) | instid1(VALU_DEP_2)
	v_min_u32_e32 v6, 32, v6
	v_cmp_eq_u16_e32 vcc_lo, 0, v7
	s_delay_alu instid0(VALU_DEP_2) | instskip(SKIP_1) | instid1(VALU_DEP_2)
	v_subrev_nc_u32_e32 v8, 28, v6
	v_sub_nc_u32_e32 v6, 29, v6
	v_lshlrev_b32_e32 v8, v8, v5
	s_wait_alu 0xfffd
	s_delay_alu instid0(VALU_DEP_2) | instskip(NEXT) | instid1(VALU_DEP_2)
	v_dual_cndmask_b32 v6, v7, v6 :: v_dual_lshlrev_b32 v7, 31, v9
	v_and_b32_e32 v8, 7, v8
	s_delay_alu instid0(VALU_DEP_2) | instskip(NEXT) | instid1(VALU_DEP_2)
	v_lshl_add_u32 v6, v6, 23, 0x3b800000
	v_cndmask_b32_e32 v5, v5, v8, vcc_lo
	s_delay_alu instid0(VALU_DEP_1) | instskip(NEXT) | instid1(VALU_DEP_1)
	v_lshlrev_b32_e32 v5, 20, v5
	v_or3_b32 v195, v7, v6, v5
.LBB10_447:
	s_or_b32 exec_lo, exec_lo, s0
	v_and_b32_e32 v255, 0xff, v136
	s_mov_b32 s0, 0
	s_mov_b32 s1, exec_lo
	s_delay_alu instid0(VALU_DEP_1)
	v_cmpx_lt_i16_e64 0x7f, v255
	s_xor_b32 s1, exec_lo, s1
	s_cbranch_execnz .LBB10_956
; %bb.448:
	s_or_saveexec_b32 s1, s1
	v_mov_b32_e32 v194, 0x7f800001
	s_xor_b32 exec_lo, exec_lo, s1
	s_cbranch_execnz .LBB10_959
.LBB10_449:
	s_or_b32 exec_lo, exec_lo, s1
	s_and_saveexec_b32 s1, s0
	s_cbranch_execz .LBB10_451
.LBB10_450:
	v_lshrrev_b16 v7, 3, v136
	v_lshrrev_b16 v9, 7, v136
	s_delay_alu instid0(VALU_DEP_2) | instskip(NEXT) | instid1(VALU_DEP_1)
	v_and_b32_e32 v7, 15, v7
	v_cmp_eq_u16_e32 vcc_lo, 0, v7
	v_and_b32_e32 v5, 7, v136
	s_delay_alu instid0(VALU_DEP_1) | instskip(NEXT) | instid1(VALU_DEP_1)
	v_clz_i32_u32_e32 v6, v5
	v_min_u32_e32 v6, 32, v6
	s_delay_alu instid0(VALU_DEP_1) | instskip(SKIP_2) | instid1(VALU_DEP_1)
	v_subrev_nc_u32_e32 v8, 28, v6
	v_sub_nc_u32_e32 v6, 29, v6
	s_wait_alu 0xfffd
	v_cndmask_b32_e32 v6, v7, v6, vcc_lo
	s_delay_alu instid0(VALU_DEP_3) | instskip(SKIP_1) | instid1(VALU_DEP_3)
	v_lshlrev_b32_e32 v8, v8, v5
	v_lshlrev_b32_e32 v7, 31, v9
	v_lshl_add_u32 v6, v6, 23, 0x3b800000
	s_delay_alu instid0(VALU_DEP_3) | instskip(NEXT) | instid1(VALU_DEP_1)
	v_and_b32_e32 v8, 7, v8
	v_cndmask_b32_e32 v5, v5, v8, vcc_lo
	s_delay_alu instid0(VALU_DEP_1) | instskip(NEXT) | instid1(VALU_DEP_1)
	v_lshlrev_b32_e32 v5, 20, v5
	v_or3_b32 v194, v7, v6, v5
.LBB10_451:
	s_or_b32 exec_lo, exec_lo, s1
	v_and_b32_e32 v255, 0xff, v191
	s_mov_b32 s0, 0
	s_mov_b32 s1, exec_lo
	s_delay_alu instid0(VALU_DEP_1)
	v_cmpx_lt_i16_e64 0x7f, v255
	s_xor_b32 s1, exec_lo, s1
	s_cbranch_execnz .LBB10_960
; %bb.452:
	s_or_saveexec_b32 s1, s1
	v_mov_b32_e32 v136, 0x7f800001
	s_xor_b32 exec_lo, exec_lo, s1
	s_cbranch_execnz .LBB10_963
.LBB10_453:
	s_or_b32 exec_lo, exec_lo, s1
	s_and_saveexec_b32 s1, s0
	s_cbranch_execz .LBB10_455
.LBB10_454:
	v_lshrrev_b16 v7, 3, v191
	v_lshrrev_b16 v9, 7, v191
	s_delay_alu instid0(VALU_DEP_2) | instskip(NEXT) | instid1(VALU_DEP_1)
	v_and_b32_e32 v7, 15, v7
	v_cmp_eq_u16_e32 vcc_lo, 0, v7
	v_and_b32_e32 v5, 7, v191
	s_delay_alu instid0(VALU_DEP_1) | instskip(NEXT) | instid1(VALU_DEP_1)
	v_clz_i32_u32_e32 v6, v5
	v_min_u32_e32 v6, 32, v6
	s_delay_alu instid0(VALU_DEP_1) | instskip(SKIP_2) | instid1(VALU_DEP_1)
	v_subrev_nc_u32_e32 v8, 28, v6
	v_sub_nc_u32_e32 v6, 29, v6
	s_wait_alu 0xfffd
	v_cndmask_b32_e32 v6, v7, v6, vcc_lo
	s_delay_alu instid0(VALU_DEP_3) | instskip(SKIP_1) | instid1(VALU_DEP_3)
	v_lshlrev_b32_e32 v8, v8, v5
	v_lshlrev_b32_e32 v7, 31, v9
	v_lshl_add_u32 v6, v6, 23, 0x3b800000
	s_delay_alu instid0(VALU_DEP_3) | instskip(NEXT) | instid1(VALU_DEP_1)
	v_and_b32_e32 v8, 7, v8
	v_cndmask_b32_e32 v5, v5, v8, vcc_lo
	s_delay_alu instid0(VALU_DEP_1) | instskip(NEXT) | instid1(VALU_DEP_1)
	v_lshlrev_b32_e32 v5, 20, v5
	v_or3_b32 v136, v7, v6, v5
.LBB10_455:
	s_or_b32 exec_lo, exec_lo, s1
	v_and_b32_e32 v255, 0xff, v189
	s_mov_b32 s0, 0
	s_mov_b32 s1, exec_lo
	s_delay_alu instid0(VALU_DEP_1)
	v_cmpx_lt_i16_e64 0x7f, v255
	s_xor_b32 s1, exec_lo, s1
	s_cbranch_execnz .LBB10_964
; %bb.456:
	s_or_saveexec_b32 s1, s1
	v_mov_b32_e32 v191, 0x7f800001
	s_xor_b32 exec_lo, exec_lo, s1
	s_cbranch_execnz .LBB10_967
.LBB10_457:
	s_or_b32 exec_lo, exec_lo, s1
	s_and_saveexec_b32 s1, s0
	s_cbranch_execz .LBB10_459
.LBB10_458:
	v_lshrrev_b16 v7, 3, v189
	v_lshrrev_b16 v9, 7, v189
	s_delay_alu instid0(VALU_DEP_2) | instskip(NEXT) | instid1(VALU_DEP_1)
	v_and_b32_e32 v7, 15, v7
	v_cmp_eq_u16_e32 vcc_lo, 0, v7
	v_and_b32_e32 v5, 7, v189
	s_delay_alu instid0(VALU_DEP_1) | instskip(NEXT) | instid1(VALU_DEP_1)
	v_clz_i32_u32_e32 v6, v5
	v_min_u32_e32 v6, 32, v6
	s_delay_alu instid0(VALU_DEP_1) | instskip(SKIP_2) | instid1(VALU_DEP_1)
	v_subrev_nc_u32_e32 v8, 28, v6
	v_sub_nc_u32_e32 v6, 29, v6
	s_wait_alu 0xfffd
	v_cndmask_b32_e32 v6, v7, v6, vcc_lo
	s_delay_alu instid0(VALU_DEP_3) | instskip(SKIP_1) | instid1(VALU_DEP_3)
	v_lshlrev_b32_e32 v8, v8, v5
	v_lshlrev_b32_e32 v7, 31, v9
	v_lshl_add_u32 v6, v6, 23, 0x3b800000
	s_delay_alu instid0(VALU_DEP_3) | instskip(NEXT) | instid1(VALU_DEP_1)
	v_and_b32_e32 v8, 7, v8
	v_cndmask_b32_e32 v5, v5, v8, vcc_lo
	s_delay_alu instid0(VALU_DEP_1) | instskip(NEXT) | instid1(VALU_DEP_1)
	v_lshlrev_b32_e32 v5, 20, v5
	v_or3_b32 v191, v7, v6, v5
.LBB10_459:
	s_or_b32 exec_lo, exec_lo, s1
	s_mov_b32 s1, 0
	s_mov_b32 s0, exec_lo
	v_cmpx_lt_i16_e64 0x7f, v188
	s_xor_b32 s0, exec_lo, s0
	s_cbranch_execnz .LBB10_968
; %bb.460:
	s_or_saveexec_b32 s0, s0
	v_mov_b32_e32 v189, 0x7f800001
	s_xor_b32 exec_lo, exec_lo, s0
	s_cbranch_execnz .LBB10_971
.LBB10_461:
	s_or_b32 exec_lo, exec_lo, s0
	s_and_saveexec_b32 s0, s1
	s_cbranch_execz .LBB10_463
.LBB10_462:
	v_lshrrev_b16 v7, 3, v188
	v_lshrrev_b16 v9, 7, v188
	s_delay_alu instid0(VALU_DEP_2) | instskip(NEXT) | instid1(VALU_DEP_1)
	v_and_b32_e32 v7, 15, v7
	v_cmp_eq_u16_e32 vcc_lo, 0, v7
	v_and_b32_e32 v5, 7, v188
	s_delay_alu instid0(VALU_DEP_1) | instskip(NEXT) | instid1(VALU_DEP_1)
	v_clz_i32_u32_e32 v6, v5
	v_min_u32_e32 v6, 32, v6
	s_delay_alu instid0(VALU_DEP_1) | instskip(SKIP_2) | instid1(VALU_DEP_1)
	v_subrev_nc_u32_e32 v8, 28, v6
	v_sub_nc_u32_e32 v6, 29, v6
	s_wait_alu 0xfffd
	v_cndmask_b32_e32 v6, v7, v6, vcc_lo
	s_delay_alu instid0(VALU_DEP_3) | instskip(SKIP_1) | instid1(VALU_DEP_3)
	v_lshlrev_b32_e32 v8, v8, v5
	v_lshlrev_b32_e32 v7, 31, v9
	v_lshl_add_u32 v6, v6, 23, 0x3b800000
	s_delay_alu instid0(VALU_DEP_3) | instskip(NEXT) | instid1(VALU_DEP_1)
	v_and_b32_e32 v8, 7, v8
	v_cndmask_b32_e32 v5, v5, v8, vcc_lo
	s_delay_alu instid0(VALU_DEP_1) | instskip(NEXT) | instid1(VALU_DEP_1)
	v_lshlrev_b32_e32 v5, 20, v5
	v_or3_b32 v189, v7, v6, v5
.LBB10_463:
	s_or_b32 exec_lo, exec_lo, s0
	v_and_b32_e32 v255, 0xff, v129
	s_mov_b32 s0, 0
	s_mov_b32 s1, exec_lo
	s_delay_alu instid0(VALU_DEP_1)
	v_cmpx_lt_i16_e64 0x7f, v255
	s_xor_b32 s1, exec_lo, s1
	s_cbranch_execnz .LBB10_972
; %bb.464:
	s_or_saveexec_b32 s1, s1
	v_mov_b32_e32 v188, 0x7f800001
	s_xor_b32 exec_lo, exec_lo, s1
	s_cbranch_execnz .LBB10_975
.LBB10_465:
	s_or_b32 exec_lo, exec_lo, s1
	s_and_saveexec_b32 s1, s0
	s_cbranch_execz .LBB10_467
.LBB10_466:
	v_lshrrev_b16 v7, 3, v129
	v_lshrrev_b16 v9, 7, v129
	s_delay_alu instid0(VALU_DEP_2) | instskip(NEXT) | instid1(VALU_DEP_1)
	v_and_b32_e32 v7, 15, v7
	v_cmp_eq_u16_e32 vcc_lo, 0, v7
	v_and_b32_e32 v5, 7, v129
	s_delay_alu instid0(VALU_DEP_1) | instskip(NEXT) | instid1(VALU_DEP_1)
	v_clz_i32_u32_e32 v6, v5
	v_min_u32_e32 v6, 32, v6
	s_delay_alu instid0(VALU_DEP_1) | instskip(SKIP_2) | instid1(VALU_DEP_1)
	v_subrev_nc_u32_e32 v8, 28, v6
	v_sub_nc_u32_e32 v6, 29, v6
	s_wait_alu 0xfffd
	v_cndmask_b32_e32 v6, v7, v6, vcc_lo
	s_delay_alu instid0(VALU_DEP_3) | instskip(SKIP_1) | instid1(VALU_DEP_3)
	v_lshlrev_b32_e32 v8, v8, v5
	v_lshlrev_b32_e32 v7, 31, v9
	v_lshl_add_u32 v6, v6, 23, 0x3b800000
	s_delay_alu instid0(VALU_DEP_3) | instskip(NEXT) | instid1(VALU_DEP_1)
	v_and_b32_e32 v8, 7, v8
	v_cndmask_b32_e32 v5, v5, v8, vcc_lo
	s_delay_alu instid0(VALU_DEP_1) | instskip(NEXT) | instid1(VALU_DEP_1)
	v_lshlrev_b32_e32 v5, 20, v5
	v_or3_b32 v188, v7, v6, v5
.LBB10_467:
	s_or_b32 exec_lo, exec_lo, s1
	v_and_b32_e32 v255, 0xff, v185
	s_mov_b32 s0, 0
	s_mov_b32 s1, exec_lo
	s_delay_alu instid0(VALU_DEP_1)
	v_cmpx_lt_i16_e64 0x7f, v255
	s_xor_b32 s1, exec_lo, s1
	s_cbranch_execnz .LBB10_976
; %bb.468:
	s_or_saveexec_b32 s1, s1
	v_mov_b32_e32 v129, 0x7f800001
	s_xor_b32 exec_lo, exec_lo, s1
	s_cbranch_execnz .LBB10_979
.LBB10_469:
	s_or_b32 exec_lo, exec_lo, s1
	s_and_saveexec_b32 s1, s0
	s_cbranch_execz .LBB10_471
.LBB10_470:
	v_lshrrev_b16 v7, 3, v185
	v_lshrrev_b16 v9, 7, v185
	s_delay_alu instid0(VALU_DEP_2) | instskip(NEXT) | instid1(VALU_DEP_1)
	v_and_b32_e32 v7, 15, v7
	v_cmp_eq_u16_e32 vcc_lo, 0, v7
	v_and_b32_e32 v5, 7, v185
	s_delay_alu instid0(VALU_DEP_1) | instskip(NEXT) | instid1(VALU_DEP_1)
	v_clz_i32_u32_e32 v6, v5
	v_min_u32_e32 v6, 32, v6
	s_delay_alu instid0(VALU_DEP_1) | instskip(SKIP_2) | instid1(VALU_DEP_1)
	v_subrev_nc_u32_e32 v8, 28, v6
	v_sub_nc_u32_e32 v6, 29, v6
	s_wait_alu 0xfffd
	v_cndmask_b32_e32 v6, v7, v6, vcc_lo
	s_delay_alu instid0(VALU_DEP_3) | instskip(SKIP_1) | instid1(VALU_DEP_3)
	v_lshlrev_b32_e32 v8, v8, v5
	v_lshlrev_b32_e32 v7, 31, v9
	v_lshl_add_u32 v6, v6, 23, 0x3b800000
	s_delay_alu instid0(VALU_DEP_3) | instskip(NEXT) | instid1(VALU_DEP_1)
	v_and_b32_e32 v8, 7, v8
	v_cndmask_b32_e32 v5, v5, v8, vcc_lo
	s_delay_alu instid0(VALU_DEP_1) | instskip(NEXT) | instid1(VALU_DEP_1)
	v_lshlrev_b32_e32 v5, 20, v5
	v_or3_b32 v129, v7, v6, v5
.LBB10_471:
	s_or_b32 exec_lo, exec_lo, s1
	v_and_b32_e32 v255, 0xff, v183
	s_mov_b32 s0, 0
	s_mov_b32 s1, exec_lo
	s_delay_alu instid0(VALU_DEP_1)
	v_cmpx_lt_i16_e64 0x7f, v255
	s_xor_b32 s1, exec_lo, s1
	s_cbranch_execnz .LBB10_980
; %bb.472:
	s_or_saveexec_b32 s1, s1
	v_mov_b32_e32 v185, 0x7f800001
	s_xor_b32 exec_lo, exec_lo, s1
	s_cbranch_execnz .LBB10_983
.LBB10_473:
	s_or_b32 exec_lo, exec_lo, s1
	s_and_saveexec_b32 s1, s0
	s_cbranch_execz .LBB10_475
.LBB10_474:
	v_lshrrev_b16 v7, 3, v183
	v_lshrrev_b16 v9, 7, v183
	s_delay_alu instid0(VALU_DEP_2) | instskip(NEXT) | instid1(VALU_DEP_1)
	v_and_b32_e32 v7, 15, v7
	v_cmp_eq_u16_e32 vcc_lo, 0, v7
	v_and_b32_e32 v5, 7, v183
	s_delay_alu instid0(VALU_DEP_1) | instskip(NEXT) | instid1(VALU_DEP_1)
	v_clz_i32_u32_e32 v6, v5
	v_min_u32_e32 v6, 32, v6
	s_delay_alu instid0(VALU_DEP_1) | instskip(SKIP_2) | instid1(VALU_DEP_1)
	v_subrev_nc_u32_e32 v8, 28, v6
	v_sub_nc_u32_e32 v6, 29, v6
	s_wait_alu 0xfffd
	v_cndmask_b32_e32 v6, v7, v6, vcc_lo
	s_delay_alu instid0(VALU_DEP_3) | instskip(SKIP_1) | instid1(VALU_DEP_3)
	v_lshlrev_b32_e32 v8, v8, v5
	v_lshlrev_b32_e32 v7, 31, v9
	v_lshl_add_u32 v6, v6, 23, 0x3b800000
	s_delay_alu instid0(VALU_DEP_3) | instskip(NEXT) | instid1(VALU_DEP_1)
	v_and_b32_e32 v8, 7, v8
	v_cndmask_b32_e32 v5, v5, v8, vcc_lo
	s_delay_alu instid0(VALU_DEP_1) | instskip(NEXT) | instid1(VALU_DEP_1)
	v_lshlrev_b32_e32 v5, 20, v5
	v_or3_b32 v185, v7, v6, v5
.LBB10_475:
	s_or_b32 exec_lo, exec_lo, s1
	s_mov_b32 s1, 0
	s_mov_b32 s0, exec_lo
	v_cmpx_lt_i16_e64 0x7f, v182
	s_xor_b32 s0, exec_lo, s0
	s_cbranch_execnz .LBB10_984
; %bb.476:
	s_or_saveexec_b32 s0, s0
	v_mov_b32_e32 v183, 0x7f800001
	s_xor_b32 exec_lo, exec_lo, s0
	s_cbranch_execnz .LBB10_987
.LBB10_477:
	s_or_b32 exec_lo, exec_lo, s0
	s_and_saveexec_b32 s0, s1
	s_cbranch_execz .LBB10_479
.LBB10_478:
	v_and_b32_e32 v5, 7, v182
	v_lshrrev_b16 v7, 3, v182
	v_lshrrev_b16 v9, 7, v182
	s_delay_alu instid0(VALU_DEP_3) | instskip(NEXT) | instid1(VALU_DEP_3)
	v_clz_i32_u32_e32 v6, v5
	v_and_b32_e32 v7, 15, v7
	s_delay_alu instid0(VALU_DEP_2) | instskip(NEXT) | instid1(VALU_DEP_2)
	v_min_u32_e32 v6, 32, v6
	v_cmp_eq_u16_e32 vcc_lo, 0, v7
	s_delay_alu instid0(VALU_DEP_2) | instskip(SKIP_1) | instid1(VALU_DEP_2)
	v_subrev_nc_u32_e32 v8, 28, v6
	v_sub_nc_u32_e32 v6, 29, v6
	v_lshlrev_b32_e32 v8, v8, v5
	s_wait_alu 0xfffd
	s_delay_alu instid0(VALU_DEP_2) | instskip(NEXT) | instid1(VALU_DEP_2)
	v_dual_cndmask_b32 v6, v7, v6 :: v_dual_lshlrev_b32 v7, 31, v9
	v_and_b32_e32 v8, 7, v8
	s_delay_alu instid0(VALU_DEP_2) | instskip(NEXT) | instid1(VALU_DEP_2)
	v_lshl_add_u32 v6, v6, 23, 0x3b800000
	v_cndmask_b32_e32 v5, v5, v8, vcc_lo
	s_delay_alu instid0(VALU_DEP_1) | instskip(NEXT) | instid1(VALU_DEP_1)
	v_lshlrev_b32_e32 v5, 20, v5
	v_or3_b32 v183, v7, v6, v5
.LBB10_479:
	s_or_b32 exec_lo, exec_lo, s0
	v_and_b32_e32 v255, 0xff, v130
	s_mov_b32 s0, 0
	s_mov_b32 s1, exec_lo
	s_delay_alu instid0(VALU_DEP_1)
	v_cmpx_lt_i16_e64 0x7f, v255
	s_xor_b32 s1, exec_lo, s1
	s_cbranch_execnz .LBB10_988
; %bb.480:
	s_or_saveexec_b32 s1, s1
	v_mov_b32_e32 v182, 0x7f800001
	s_xor_b32 exec_lo, exec_lo, s1
	s_cbranch_execnz .LBB10_991
.LBB10_481:
	s_or_b32 exec_lo, exec_lo, s1
	s_and_saveexec_b32 s1, s0
	s_cbranch_execz .LBB10_483
.LBB10_482:
	v_and_b32_e32 v5, 7, v130
	v_lshrrev_b16 v7, 3, v130
	v_lshrrev_b16 v9, 7, v130
	s_delay_alu instid0(VALU_DEP_3) | instskip(NEXT) | instid1(VALU_DEP_3)
	v_clz_i32_u32_e32 v6, v5
	v_and_b32_e32 v7, 15, v7
	s_delay_alu instid0(VALU_DEP_2) | instskip(NEXT) | instid1(VALU_DEP_2)
	v_min_u32_e32 v6, 32, v6
	v_cmp_eq_u16_e32 vcc_lo, 0, v7
	s_delay_alu instid0(VALU_DEP_2) | instskip(SKIP_1) | instid1(VALU_DEP_2)
	v_subrev_nc_u32_e32 v8, 28, v6
	v_sub_nc_u32_e32 v6, 29, v6
	v_lshlrev_b32_e32 v8, v8, v5
	s_wait_alu 0xfffd
	s_delay_alu instid0(VALU_DEP_2) | instskip(NEXT) | instid1(VALU_DEP_2)
	v_dual_cndmask_b32 v6, v7, v6 :: v_dual_lshlrev_b32 v7, 31, v9
	v_and_b32_e32 v8, 7, v8
	s_delay_alu instid0(VALU_DEP_2) | instskip(NEXT) | instid1(VALU_DEP_2)
	v_lshl_add_u32 v6, v6, 23, 0x3b800000
	v_cndmask_b32_e32 v5, v5, v8, vcc_lo
	s_delay_alu instid0(VALU_DEP_1) | instskip(NEXT) | instid1(VALU_DEP_1)
	v_lshlrev_b32_e32 v5, 20, v5
	v_or3_b32 v182, v7, v6, v5
.LBB10_483:
	s_or_b32 exec_lo, exec_lo, s1
	v_and_b32_e32 v255, 0xff, v179
	s_mov_b32 s0, 0
	s_mov_b32 s1, exec_lo
	s_delay_alu instid0(VALU_DEP_1)
	v_cmpx_lt_i16_e64 0x7f, v255
	s_xor_b32 s1, exec_lo, s1
	s_cbranch_execnz .LBB10_992
; %bb.484:
	s_or_saveexec_b32 s1, s1
	v_mov_b32_e32 v130, 0x7f800001
	s_xor_b32 exec_lo, exec_lo, s1
	s_cbranch_execnz .LBB10_995
.LBB10_485:
	s_or_b32 exec_lo, exec_lo, s1
	s_and_saveexec_b32 s1, s0
	s_cbranch_execz .LBB10_487
.LBB10_486:
	v_lshrrev_b16 v7, 3, v179
	v_lshrrev_b16 v9, 7, v179
	s_delay_alu instid0(VALU_DEP_2) | instskip(NEXT) | instid1(VALU_DEP_1)
	v_and_b32_e32 v7, 15, v7
	v_cmp_eq_u16_e32 vcc_lo, 0, v7
	v_and_b32_e32 v5, 7, v179
	s_delay_alu instid0(VALU_DEP_1) | instskip(NEXT) | instid1(VALU_DEP_1)
	v_clz_i32_u32_e32 v6, v5
	v_min_u32_e32 v6, 32, v6
	s_delay_alu instid0(VALU_DEP_1) | instskip(SKIP_2) | instid1(VALU_DEP_1)
	v_subrev_nc_u32_e32 v8, 28, v6
	v_sub_nc_u32_e32 v6, 29, v6
	s_wait_alu 0xfffd
	v_cndmask_b32_e32 v6, v7, v6, vcc_lo
	s_delay_alu instid0(VALU_DEP_3) | instskip(SKIP_1) | instid1(VALU_DEP_3)
	v_lshlrev_b32_e32 v8, v8, v5
	v_lshlrev_b32_e32 v7, 31, v9
	v_lshl_add_u32 v6, v6, 23, 0x3b800000
	s_delay_alu instid0(VALU_DEP_3) | instskip(NEXT) | instid1(VALU_DEP_1)
	v_and_b32_e32 v8, 7, v8
	v_cndmask_b32_e32 v5, v5, v8, vcc_lo
	s_delay_alu instid0(VALU_DEP_1) | instskip(NEXT) | instid1(VALU_DEP_1)
	v_lshlrev_b32_e32 v5, 20, v5
	v_or3_b32 v130, v7, v6, v5
.LBB10_487:
	s_or_b32 exec_lo, exec_lo, s1
	v_and_b32_e32 v255, 0xff, v177
	s_mov_b32 s0, 0
	s_mov_b32 s1, exec_lo
	s_delay_alu instid0(VALU_DEP_1)
	v_cmpx_lt_i16_e64 0x7f, v255
	s_xor_b32 s1, exec_lo, s1
	s_cbranch_execnz .LBB10_996
; %bb.488:
	s_or_saveexec_b32 s1, s1
	v_mov_b32_e32 v179, 0x7f800001
	s_xor_b32 exec_lo, exec_lo, s1
	s_cbranch_execnz .LBB10_999
.LBB10_489:
	s_or_b32 exec_lo, exec_lo, s1
	s_and_saveexec_b32 s1, s0
	s_cbranch_execz .LBB10_491
.LBB10_490:
	v_lshrrev_b16 v7, 3, v177
	v_lshrrev_b16 v9, 7, v177
	s_delay_alu instid0(VALU_DEP_2) | instskip(NEXT) | instid1(VALU_DEP_1)
	v_and_b32_e32 v7, 15, v7
	v_cmp_eq_u16_e32 vcc_lo, 0, v7
	v_and_b32_e32 v5, 7, v177
	s_delay_alu instid0(VALU_DEP_1) | instskip(NEXT) | instid1(VALU_DEP_1)
	v_clz_i32_u32_e32 v6, v5
	v_min_u32_e32 v6, 32, v6
	s_delay_alu instid0(VALU_DEP_1) | instskip(SKIP_2) | instid1(VALU_DEP_1)
	v_subrev_nc_u32_e32 v8, 28, v6
	v_sub_nc_u32_e32 v6, 29, v6
	s_wait_alu 0xfffd
	v_cndmask_b32_e32 v6, v7, v6, vcc_lo
	s_delay_alu instid0(VALU_DEP_3) | instskip(SKIP_1) | instid1(VALU_DEP_3)
	v_lshlrev_b32_e32 v8, v8, v5
	v_lshlrev_b32_e32 v7, 31, v9
	v_lshl_add_u32 v6, v6, 23, 0x3b800000
	s_delay_alu instid0(VALU_DEP_3) | instskip(NEXT) | instid1(VALU_DEP_1)
	v_and_b32_e32 v8, 7, v8
	v_cndmask_b32_e32 v5, v5, v8, vcc_lo
	s_delay_alu instid0(VALU_DEP_1) | instskip(NEXT) | instid1(VALU_DEP_1)
	v_lshlrev_b32_e32 v5, 20, v5
	v_or3_b32 v179, v7, v6, v5
.LBB10_491:
	s_or_b32 exec_lo, exec_lo, s1
	s_mov_b32 s1, 0
	s_mov_b32 s0, exec_lo
	v_cmpx_lt_i16_e64 0x7f, v176
	s_xor_b32 s0, exec_lo, s0
	s_cbranch_execnz .LBB10_1000
; %bb.492:
	s_or_saveexec_b32 s0, s0
	v_mov_b32_e32 v177, 0x7f800001
	s_xor_b32 exec_lo, exec_lo, s0
	s_cbranch_execnz .LBB10_1003
.LBB10_493:
	s_or_b32 exec_lo, exec_lo, s0
	s_and_saveexec_b32 s0, s1
	s_cbranch_execz .LBB10_495
.LBB10_494:
	v_lshrrev_b16 v7, 3, v176
	v_lshrrev_b16 v9, 7, v176
	s_delay_alu instid0(VALU_DEP_2) | instskip(NEXT) | instid1(VALU_DEP_1)
	v_and_b32_e32 v7, 15, v7
	v_cmp_eq_u16_e32 vcc_lo, 0, v7
	v_and_b32_e32 v5, 7, v176
	s_delay_alu instid0(VALU_DEP_1) | instskip(NEXT) | instid1(VALU_DEP_1)
	v_clz_i32_u32_e32 v6, v5
	v_min_u32_e32 v6, 32, v6
	s_delay_alu instid0(VALU_DEP_1) | instskip(SKIP_2) | instid1(VALU_DEP_1)
	v_subrev_nc_u32_e32 v8, 28, v6
	v_sub_nc_u32_e32 v6, 29, v6
	s_wait_alu 0xfffd
	v_cndmask_b32_e32 v6, v7, v6, vcc_lo
	s_delay_alu instid0(VALU_DEP_3) | instskip(SKIP_1) | instid1(VALU_DEP_3)
	v_lshlrev_b32_e32 v8, v8, v5
	v_lshlrev_b32_e32 v7, 31, v9
	v_lshl_add_u32 v6, v6, 23, 0x3b800000
	s_delay_alu instid0(VALU_DEP_3) | instskip(NEXT) | instid1(VALU_DEP_1)
	v_and_b32_e32 v8, 7, v8
	v_cndmask_b32_e32 v5, v5, v8, vcc_lo
	s_delay_alu instid0(VALU_DEP_1) | instskip(NEXT) | instid1(VALU_DEP_1)
	v_lshlrev_b32_e32 v5, 20, v5
	v_or3_b32 v177, v7, v6, v5
.LBB10_495:
	s_or_b32 exec_lo, exec_lo, s0
	v_and_b32_e32 v255, 0xff, v131
	s_mov_b32 s0, 0
	s_mov_b32 s1, exec_lo
	s_delay_alu instid0(VALU_DEP_1)
	v_cmpx_lt_i16_e64 0x7f, v255
	s_xor_b32 s1, exec_lo, s1
	s_cbranch_execnz .LBB10_1004
; %bb.496:
	s_or_saveexec_b32 s1, s1
	v_mov_b32_e32 v176, 0x7f800001
	s_xor_b32 exec_lo, exec_lo, s1
	s_cbranch_execnz .LBB10_1007
.LBB10_497:
	s_or_b32 exec_lo, exec_lo, s1
	s_and_saveexec_b32 s1, s0
	s_cbranch_execz .LBB10_499
.LBB10_498:
	v_lshrrev_b16 v7, 3, v131
	v_lshrrev_b16 v9, 7, v131
	s_delay_alu instid0(VALU_DEP_2) | instskip(NEXT) | instid1(VALU_DEP_1)
	v_and_b32_e32 v7, 15, v7
	v_cmp_eq_u16_e32 vcc_lo, 0, v7
	v_and_b32_e32 v5, 7, v131
	s_delay_alu instid0(VALU_DEP_1) | instskip(NEXT) | instid1(VALU_DEP_1)
	v_clz_i32_u32_e32 v6, v5
	v_min_u32_e32 v6, 32, v6
	s_delay_alu instid0(VALU_DEP_1) | instskip(SKIP_2) | instid1(VALU_DEP_1)
	v_subrev_nc_u32_e32 v8, 28, v6
	v_sub_nc_u32_e32 v6, 29, v6
	s_wait_alu 0xfffd
	v_cndmask_b32_e32 v6, v7, v6, vcc_lo
	s_delay_alu instid0(VALU_DEP_3) | instskip(SKIP_1) | instid1(VALU_DEP_3)
	v_lshlrev_b32_e32 v8, v8, v5
	v_lshlrev_b32_e32 v7, 31, v9
	v_lshl_add_u32 v6, v6, 23, 0x3b800000
	s_delay_alu instid0(VALU_DEP_3) | instskip(NEXT) | instid1(VALU_DEP_1)
	v_and_b32_e32 v8, 7, v8
	v_cndmask_b32_e32 v5, v5, v8, vcc_lo
	s_delay_alu instid0(VALU_DEP_1) | instskip(NEXT) | instid1(VALU_DEP_1)
	v_lshlrev_b32_e32 v5, 20, v5
	v_or3_b32 v176, v7, v6, v5
.LBB10_499:
	s_or_b32 exec_lo, exec_lo, s1
	v_and_b32_e32 v255, 0xff, v173
	s_mov_b32 s0, 0
	s_mov_b32 s1, exec_lo
	s_delay_alu instid0(VALU_DEP_1)
	v_cmpx_lt_i16_e64 0x7f, v255
	s_xor_b32 s1, exec_lo, s1
	s_cbranch_execnz .LBB10_1008
; %bb.500:
	s_or_saveexec_b32 s1, s1
	v_mov_b32_e32 v131, 0x7f800001
	s_xor_b32 exec_lo, exec_lo, s1
	s_cbranch_execnz .LBB10_1011
.LBB10_501:
	s_or_b32 exec_lo, exec_lo, s1
	s_and_saveexec_b32 s1, s0
	s_cbranch_execz .LBB10_503
.LBB10_502:
	v_lshrrev_b16 v7, 3, v173
	v_lshrrev_b16 v9, 7, v173
	s_delay_alu instid0(VALU_DEP_2) | instskip(NEXT) | instid1(VALU_DEP_1)
	v_and_b32_e32 v7, 15, v7
	v_cmp_eq_u16_e32 vcc_lo, 0, v7
	v_and_b32_e32 v5, 7, v173
	s_delay_alu instid0(VALU_DEP_1) | instskip(NEXT) | instid1(VALU_DEP_1)
	v_clz_i32_u32_e32 v6, v5
	v_min_u32_e32 v6, 32, v6
	s_delay_alu instid0(VALU_DEP_1) | instskip(SKIP_2) | instid1(VALU_DEP_1)
	v_subrev_nc_u32_e32 v8, 28, v6
	v_sub_nc_u32_e32 v6, 29, v6
	s_wait_alu 0xfffd
	v_cndmask_b32_e32 v6, v7, v6, vcc_lo
	s_delay_alu instid0(VALU_DEP_3) | instskip(SKIP_1) | instid1(VALU_DEP_3)
	v_lshlrev_b32_e32 v8, v8, v5
	v_lshlrev_b32_e32 v7, 31, v9
	v_lshl_add_u32 v6, v6, 23, 0x3b800000
	s_delay_alu instid0(VALU_DEP_3) | instskip(NEXT) | instid1(VALU_DEP_1)
	v_and_b32_e32 v8, 7, v8
	v_cndmask_b32_e32 v5, v5, v8, vcc_lo
	s_delay_alu instid0(VALU_DEP_1) | instskip(NEXT) | instid1(VALU_DEP_1)
	v_lshlrev_b32_e32 v5, 20, v5
	v_or3_b32 v131, v7, v6, v5
.LBB10_503:
	s_or_b32 exec_lo, exec_lo, s1
	v_and_b32_e32 v255, 0xff, v171
	s_mov_b32 s0, 0
	s_mov_b32 s1, exec_lo
	s_delay_alu instid0(VALU_DEP_1)
	v_cmpx_lt_i16_e64 0x7f, v255
	s_xor_b32 s1, exec_lo, s1
	s_cbranch_execnz .LBB10_1012
; %bb.504:
	s_or_saveexec_b32 s1, s1
	v_mov_b32_e32 v173, 0x7f800001
	s_xor_b32 exec_lo, exec_lo, s1
	s_cbranch_execnz .LBB10_1015
.LBB10_505:
	s_or_b32 exec_lo, exec_lo, s1
	s_and_saveexec_b32 s1, s0
	s_cbranch_execz .LBB10_507
.LBB10_506:
	v_lshrrev_b16 v7, 3, v171
	v_lshrrev_b16 v9, 7, v171
	s_delay_alu instid0(VALU_DEP_2) | instskip(NEXT) | instid1(VALU_DEP_1)
	v_and_b32_e32 v7, 15, v7
	v_cmp_eq_u16_e32 vcc_lo, 0, v7
	v_and_b32_e32 v5, 7, v171
	s_delay_alu instid0(VALU_DEP_1) | instskip(NEXT) | instid1(VALU_DEP_1)
	v_clz_i32_u32_e32 v6, v5
	v_min_u32_e32 v6, 32, v6
	s_delay_alu instid0(VALU_DEP_1) | instskip(SKIP_2) | instid1(VALU_DEP_1)
	v_subrev_nc_u32_e32 v8, 28, v6
	v_sub_nc_u32_e32 v6, 29, v6
	s_wait_alu 0xfffd
	v_cndmask_b32_e32 v6, v7, v6, vcc_lo
	s_delay_alu instid0(VALU_DEP_3) | instskip(SKIP_1) | instid1(VALU_DEP_3)
	v_lshlrev_b32_e32 v8, v8, v5
	v_lshlrev_b32_e32 v7, 31, v9
	v_lshl_add_u32 v6, v6, 23, 0x3b800000
	s_delay_alu instid0(VALU_DEP_3) | instskip(NEXT) | instid1(VALU_DEP_1)
	v_and_b32_e32 v8, 7, v8
	v_cndmask_b32_e32 v5, v5, v8, vcc_lo
	s_delay_alu instid0(VALU_DEP_1) | instskip(NEXT) | instid1(VALU_DEP_1)
	v_lshlrev_b32_e32 v5, 20, v5
	v_or3_b32 v173, v7, v6, v5
.LBB10_507:
	s_or_b32 exec_lo, exec_lo, s1
	s_mov_b32 s1, 0
	s_mov_b32 s0, exec_lo
	v_cmpx_lt_i16_e64 0x7f, v170
	s_xor_b32 s0, exec_lo, s0
	s_cbranch_execnz .LBB10_1016
; %bb.508:
	s_or_saveexec_b32 s0, s0
	v_mov_b32_e32 v171, 0x7f800001
	s_xor_b32 exec_lo, exec_lo, s0
	s_cbranch_execnz .LBB10_1019
.LBB10_509:
	s_or_b32 exec_lo, exec_lo, s0
	s_and_saveexec_b32 s0, s1
	s_cbranch_execz .LBB10_511
.LBB10_510:
	v_and_b32_e32 v5, 7, v170
	v_lshrrev_b16 v7, 3, v170
	v_lshrrev_b16 v9, 7, v170
	s_delay_alu instid0(VALU_DEP_3) | instskip(NEXT) | instid1(VALU_DEP_3)
	v_clz_i32_u32_e32 v6, v5
	v_and_b32_e32 v7, 15, v7
	s_delay_alu instid0(VALU_DEP_2) | instskip(NEXT) | instid1(VALU_DEP_2)
	v_min_u32_e32 v6, 32, v6
	v_cmp_eq_u16_e32 vcc_lo, 0, v7
	s_delay_alu instid0(VALU_DEP_2) | instskip(SKIP_1) | instid1(VALU_DEP_2)
	v_subrev_nc_u32_e32 v8, 28, v6
	v_sub_nc_u32_e32 v6, 29, v6
	v_lshlrev_b32_e32 v8, v8, v5
	s_wait_alu 0xfffd
	s_delay_alu instid0(VALU_DEP_2) | instskip(NEXT) | instid1(VALU_DEP_2)
	v_dual_cndmask_b32 v6, v7, v6 :: v_dual_lshlrev_b32 v7, 31, v9
	v_and_b32_e32 v8, 7, v8
	s_delay_alu instid0(VALU_DEP_2) | instskip(NEXT) | instid1(VALU_DEP_2)
	v_lshl_add_u32 v6, v6, 23, 0x3b800000
	v_cndmask_b32_e32 v5, v5, v8, vcc_lo
	s_delay_alu instid0(VALU_DEP_1) | instskip(NEXT) | instid1(VALU_DEP_1)
	v_lshlrev_b32_e32 v5, 20, v5
	v_or3_b32 v171, v7, v6, v5
.LBB10_511:
	s_or_b32 exec_lo, exec_lo, s0
	v_and_b32_e32 v255, 0xff, v132
	s_mov_b32 s0, 0
	s_mov_b32 s1, exec_lo
	s_delay_alu instid0(VALU_DEP_1)
	v_cmpx_lt_i16_e64 0x7f, v255
	s_xor_b32 s1, exec_lo, s1
	s_cbranch_execnz .LBB10_1020
; %bb.512:
	s_or_saveexec_b32 s1, s1
	v_mov_b32_e32 v170, 0x7f800001
	s_xor_b32 exec_lo, exec_lo, s1
	s_cbranch_execnz .LBB10_1023
.LBB10_513:
	s_or_b32 exec_lo, exec_lo, s1
	s_and_saveexec_b32 s1, s0
	s_cbranch_execz .LBB10_515
.LBB10_514:
	v_lshrrev_b16 v7, 3, v132
	v_lshrrev_b16 v9, 7, v132
	s_delay_alu instid0(VALU_DEP_2) | instskip(NEXT) | instid1(VALU_DEP_1)
	v_and_b32_e32 v7, 15, v7
	v_cmp_eq_u16_e32 vcc_lo, 0, v7
	v_and_b32_e32 v5, 7, v132
	s_delay_alu instid0(VALU_DEP_1) | instskip(NEXT) | instid1(VALU_DEP_1)
	v_clz_i32_u32_e32 v6, v5
	v_min_u32_e32 v6, 32, v6
	s_delay_alu instid0(VALU_DEP_1) | instskip(SKIP_2) | instid1(VALU_DEP_1)
	v_subrev_nc_u32_e32 v8, 28, v6
	v_sub_nc_u32_e32 v6, 29, v6
	s_wait_alu 0xfffd
	v_cndmask_b32_e32 v6, v7, v6, vcc_lo
	s_delay_alu instid0(VALU_DEP_3) | instskip(SKIP_1) | instid1(VALU_DEP_3)
	v_lshlrev_b32_e32 v8, v8, v5
	v_lshlrev_b32_e32 v7, 31, v9
	v_lshl_add_u32 v6, v6, 23, 0x3b800000
	s_delay_alu instid0(VALU_DEP_3) | instskip(NEXT) | instid1(VALU_DEP_1)
	v_and_b32_e32 v8, 7, v8
	v_cndmask_b32_e32 v5, v5, v8, vcc_lo
	s_delay_alu instid0(VALU_DEP_1) | instskip(NEXT) | instid1(VALU_DEP_1)
	v_lshlrev_b32_e32 v5, 20, v5
	v_or3_b32 v170, v7, v6, v5
.LBB10_515:
	s_or_b32 exec_lo, exec_lo, s1
	v_and_b32_e32 v255, 0xff, v167
	s_mov_b32 s0, 0
	s_mov_b32 s1, exec_lo
	s_delay_alu instid0(VALU_DEP_1)
	v_cmpx_lt_i16_e64 0x7f, v255
	s_xor_b32 s1, exec_lo, s1
	s_cbranch_execnz .LBB10_1024
; %bb.516:
	s_or_saveexec_b32 s1, s1
	v_mov_b32_e32 v132, 0x7f800001
	s_xor_b32 exec_lo, exec_lo, s1
	s_cbranch_execnz .LBB10_1027
.LBB10_517:
	s_or_b32 exec_lo, exec_lo, s1
	s_and_saveexec_b32 s1, s0
	s_cbranch_execz .LBB10_519
.LBB10_518:
	v_lshrrev_b16 v7, 3, v167
	v_lshrrev_b16 v9, 7, v167
	s_delay_alu instid0(VALU_DEP_2) | instskip(NEXT) | instid1(VALU_DEP_1)
	v_and_b32_e32 v7, 15, v7
	v_cmp_eq_u16_e32 vcc_lo, 0, v7
	v_and_b32_e32 v5, 7, v167
	s_delay_alu instid0(VALU_DEP_1) | instskip(NEXT) | instid1(VALU_DEP_1)
	v_clz_i32_u32_e32 v6, v5
	v_min_u32_e32 v6, 32, v6
	s_delay_alu instid0(VALU_DEP_1) | instskip(SKIP_2) | instid1(VALU_DEP_1)
	v_subrev_nc_u32_e32 v8, 28, v6
	v_sub_nc_u32_e32 v6, 29, v6
	s_wait_alu 0xfffd
	v_cndmask_b32_e32 v6, v7, v6, vcc_lo
	s_delay_alu instid0(VALU_DEP_3) | instskip(SKIP_1) | instid1(VALU_DEP_3)
	v_lshlrev_b32_e32 v8, v8, v5
	v_lshlrev_b32_e32 v7, 31, v9
	v_lshl_add_u32 v6, v6, 23, 0x3b800000
	s_delay_alu instid0(VALU_DEP_3) | instskip(NEXT) | instid1(VALU_DEP_1)
	v_and_b32_e32 v8, 7, v8
	v_cndmask_b32_e32 v5, v5, v8, vcc_lo
	s_delay_alu instid0(VALU_DEP_1) | instskip(NEXT) | instid1(VALU_DEP_1)
	v_lshlrev_b32_e32 v5, 20, v5
	v_or3_b32 v132, v7, v6, v5
.LBB10_519:
	s_or_b32 exec_lo, exec_lo, s1
	v_and_b32_e32 v255, 0xff, v165
	s_mov_b32 s0, 0
	s_mov_b32 s1, exec_lo
	s_delay_alu instid0(VALU_DEP_1)
	v_cmpx_lt_i16_e64 0x7f, v255
	s_xor_b32 s1, exec_lo, s1
	s_cbranch_execnz .LBB10_1028
; %bb.520:
	s_or_saveexec_b32 s1, s1
	v_mov_b32_e32 v167, 0x7f800001
	s_xor_b32 exec_lo, exec_lo, s1
	s_cbranch_execnz .LBB10_1031
.LBB10_521:
	s_or_b32 exec_lo, exec_lo, s1
	s_and_saveexec_b32 s1, s0
	s_cbranch_execz .LBB10_523
.LBB10_522:
	v_lshrrev_b16 v7, 3, v165
	v_lshrrev_b16 v9, 7, v165
	s_delay_alu instid0(VALU_DEP_2) | instskip(NEXT) | instid1(VALU_DEP_1)
	v_and_b32_e32 v7, 15, v7
	v_cmp_eq_u16_e32 vcc_lo, 0, v7
	v_and_b32_e32 v5, 7, v165
	s_delay_alu instid0(VALU_DEP_1) | instskip(NEXT) | instid1(VALU_DEP_1)
	v_clz_i32_u32_e32 v6, v5
	v_min_u32_e32 v6, 32, v6
	s_delay_alu instid0(VALU_DEP_1) | instskip(SKIP_2) | instid1(VALU_DEP_1)
	v_subrev_nc_u32_e32 v8, 28, v6
	v_sub_nc_u32_e32 v6, 29, v6
	s_wait_alu 0xfffd
	v_cndmask_b32_e32 v6, v7, v6, vcc_lo
	s_delay_alu instid0(VALU_DEP_3) | instskip(SKIP_1) | instid1(VALU_DEP_3)
	v_lshlrev_b32_e32 v8, v8, v5
	v_lshlrev_b32_e32 v7, 31, v9
	v_lshl_add_u32 v6, v6, 23, 0x3b800000
	s_delay_alu instid0(VALU_DEP_3) | instskip(NEXT) | instid1(VALU_DEP_1)
	v_and_b32_e32 v8, 7, v8
	v_cndmask_b32_e32 v5, v5, v8, vcc_lo
	s_delay_alu instid0(VALU_DEP_1) | instskip(NEXT) | instid1(VALU_DEP_1)
	v_lshlrev_b32_e32 v5, 20, v5
	v_or3_b32 v167, v7, v6, v5
.LBB10_523:
	s_or_b32 exec_lo, exec_lo, s1
	s_mov_b32 s1, 0
	s_mov_b32 s0, exec_lo
	v_cmpx_lt_i16_e64 0x7f, v164
	s_xor_b32 s0, exec_lo, s0
	s_cbranch_execnz .LBB10_1032
; %bb.524:
	s_or_saveexec_b32 s0, s0
	v_mov_b32_e32 v165, 0x7f800001
	s_xor_b32 exec_lo, exec_lo, s0
	s_cbranch_execnz .LBB10_1035
.LBB10_525:
	s_or_b32 exec_lo, exec_lo, s0
	s_and_saveexec_b32 s0, s1
	s_cbranch_execz .LBB10_527
.LBB10_526:
	v_lshrrev_b16 v7, 3, v164
	v_lshrrev_b16 v9, 7, v164
	s_delay_alu instid0(VALU_DEP_2) | instskip(NEXT) | instid1(VALU_DEP_1)
	v_and_b32_e32 v7, 15, v7
	v_cmp_eq_u16_e32 vcc_lo, 0, v7
	v_and_b32_e32 v5, 7, v164
	s_delay_alu instid0(VALU_DEP_1) | instskip(NEXT) | instid1(VALU_DEP_1)
	v_clz_i32_u32_e32 v6, v5
	v_min_u32_e32 v6, 32, v6
	s_delay_alu instid0(VALU_DEP_1) | instskip(SKIP_2) | instid1(VALU_DEP_1)
	v_subrev_nc_u32_e32 v8, 28, v6
	v_sub_nc_u32_e32 v6, 29, v6
	s_wait_alu 0xfffd
	v_cndmask_b32_e32 v6, v7, v6, vcc_lo
	s_delay_alu instid0(VALU_DEP_3) | instskip(SKIP_1) | instid1(VALU_DEP_3)
	v_lshlrev_b32_e32 v8, v8, v5
	v_lshlrev_b32_e32 v7, 31, v9
	v_lshl_add_u32 v6, v6, 23, 0x3b800000
	s_delay_alu instid0(VALU_DEP_3) | instskip(NEXT) | instid1(VALU_DEP_1)
	v_and_b32_e32 v8, 7, v8
	v_cndmask_b32_e32 v5, v5, v8, vcc_lo
	s_delay_alu instid0(VALU_DEP_1) | instskip(NEXT) | instid1(VALU_DEP_1)
	v_lshlrev_b32_e32 v5, 20, v5
	v_or3_b32 v165, v7, v6, v5
.LBB10_527:
	s_or_b32 exec_lo, exec_lo, s0
	s_lshl_b64 s[0:1], s[22:23], 1
	s_mov_b32 s3, 0
	s_mov_b32 s2, s17
	v_cvt_pk_rtz_f16_f32_e32 v8, v191, v189
	v_cvt_pk_rtz_f16_f32_e32 v7, v194, v136
	v_cvt_pk_rtz_f16_f32_e32 v6, v197, v195
	v_cvt_pk_rtz_f16_f32_e32 v5, v200, v135
	v_cvt_pk_rtz_f16_f32_e32 v12, v203, v201
	v_cvt_pk_rtz_f16_f32_e32 v11, v206, v134
	v_cvt_pk_rtz_f16_f32_e32 v10, v209, v207
	v_cvt_pk_rtz_f16_f32_e32 v9, v212, v133
	v_cvt_pk_rtz_f16_f32_e32 v16, v215, v213
	v_cvt_pk_rtz_f16_f32_e32 v15, v218, v140
	v_cvt_pk_rtz_f16_f32_e32 v14, v221, v219
	v_cvt_pk_rtz_f16_f32_e32 v13, v224, v139
	v_cvt_pk_rtz_f16_f32_e32 v140, v227, v225
	v_cvt_pk_rtz_f16_f32_e32 v139, v230, v138
	v_cvt_pk_rtz_f16_f32_e32 v138, v233, v231
	v_cvt_pk_rtz_f16_f32_e32 v137, v235, v137
	v_cvt_pk_rtz_f16_f32_e32 v20, v238, v237
	v_cvt_pk_rtz_f16_f32_e32 v19, v241, v144
	v_cvt_pk_rtz_f16_f32_e32 v18, v244, v243
	v_cvt_pk_rtz_f16_f32_e32 v17, v247, v143
	v_cvt_pk_rtz_f16_f32_e32 v144, v250, v249
	v_cvt_pk_rtz_f16_f32_e32 v143, v253, v142
	v_cvt_pk_rtz_f16_f32_e32 v142, v141, v162
	v_cvt_pk_rtz_f16_f32_e32 v141, v3, v4
	v_cvt_pk_rtz_f16_f32_e32 v4, v1, v2
	v_cvt_pk_rtz_f16_f32_e32 v3, v254, v148
	v_cvt_pk_rtz_f16_f32_e32 v2, v251, v252
	v_cvt_pk_rtz_f16_f32_e32 v1, v248, v147
	v_cvt_pk_rtz_f16_f32_e32 v148, v245, v246
	v_cvt_pk_rtz_f16_f32_e32 v147, v242, v146
	v_cvt_pk_rtz_f16_f32_e32 v146, v239, v240
	v_cvt_pk_rtz_f16_f32_e32 v145, v236, v145
	v_cvt_pk_rtz_f16_f32_e32 v230, v232, v234
	v_cvt_pk_rtz_f16_f32_e32 v229, v229, v152
	v_cvt_pk_rtz_f16_f32_e32 v228, v226, v228
	v_cvt_pk_rtz_f16_f32_e32 v227, v223, v151
	v_cvt_pk_rtz_f16_f32_e32 v152, v220, v222
	v_cvt_pk_rtz_f16_f32_e32 v151, v217, v150
	v_cvt_pk_rtz_f16_f32_e32 v150, v214, v216
	v_cvt_pk_rtz_f16_f32_e32 v149, v211, v149
	v_cvt_pk_rtz_f16_f32_e32 v206, v208, v210
	v_cvt_pk_rtz_f16_f32_e32 v205, v205, v156
	v_cvt_pk_rtz_f16_f32_e32 v204, v202, v204
	v_cvt_pk_rtz_f16_f32_e32 v203, v199, v155
	v_cvt_pk_rtz_f16_f32_e32 v156, v196, v198
	v_cvt_pk_rtz_f16_f32_e32 v155, v193, v154
	v_cvt_pk_rtz_f16_f32_e32 v154, v190, v192
	v_cvt_pk_rtz_f16_f32_e32 v153, v187, v153
	v_cvt_pk_rtz_f16_f32_e32 v192, v184, v186
	v_cvt_pk_rtz_f16_f32_e32 v191, v181, v160
	v_cvt_pk_rtz_f16_f32_e32 v190, v178, v180
	v_cvt_pk_rtz_f16_f32_e32 v189, v175, v159
	v_cvt_pk_rtz_f16_f32_e32 v160, v172, v174
	v_cvt_pk_rtz_f16_f32_e32 v159, v169, v158
	v_cvt_pk_rtz_f16_f32_e32 v158, v166, v168
	v_cvt_pk_rtz_f16_f32_e32 v157, v163, v157
	v_cvt_pk_rtz_f16_f32_e32 v180, v188, v129
	v_cvt_pk_rtz_f16_f32_e32 v181, v185, v183
	v_cvt_pk_rtz_f16_f32_e32 v182, v182, v130
	v_cvt_pk_rtz_f16_f32_e32 v183, v179, v177
	v_cvt_pk_rtz_f16_f32_e32 v164, v170, v132
	v_cvt_pk_rtz_f16_f32_e32 v162, v176, v131
	v_cvt_pk_rtz_f16_f32_e32 v163, v173, v171
	v_cvt_pk_rtz_f16_f32_e32 v165, v167, v165
	s_add_nc_u64 s[8:9], s[20:21], s[0:1]
	s_mul_u64 s[0:1], s[24:25], s[2:3]
	; sched_barrier mask(0x00000000)
	s_barrier_signal -1
	s_barrier_wait -1
	; sched_barrier mask(0x00000000)
	v_wmma_f32_16x16x16_f16 v[129:136], v[157:160], v[61:64], 0
	s_delay_alu instid0(VALU_DEP_1) | instskip(SKIP_1) | instid1(VALU_DEP_1)
	v_wmma_f32_16x16x16_f16 v[129:136], v[189:192], v[57:60], v[129:136]
	; sched_barrier mask(0x00000000)
	s_setprio 1
	; sched_barrier mask(0x00000000)
	v_wmma_f32_16x16x16_f16 v[129:136], v[153:156], v[29:32], v[129:136]
	scratch_load_b128 v[29:32], off, off offset:64 th:TH_LOAD_LU ; 16-byte Folded Reload
	s_wait_dscnt 0xf
	v_wmma_f32_16x16x16_f16 v[57:64], v[157:160], v[125:128], 0
	s_wait_dscnt 0xe
	s_delay_alu instid0(VALU_DEP_1) | instskip(SKIP_1) | instid1(VALU_DEP_1)
	v_wmma_f32_16x16x16_f16 v[57:64], v[189:192], v[121:124], v[57:64]
	s_wait_dscnt 0xd
	v_wmma_f32_16x16x16_f16 v[57:64], v[153:156], v[113:116], v[57:64]
	s_wait_dscnt 0xc
	s_delay_alu instid0(VALU_DEP_1) | instskip(SKIP_1) | instid1(VALU_DEP_1)
	v_wmma_f32_16x16x16_f16 v[57:64], v[203:206], v[97:100], v[57:64]
	;; [unrolled: 5-line block ×6, first 2 shown]
	s_wait_dscnt 0x3
	v_wmma_f32_16x16x16_f16 v[57:64], v[9:12], v[81:84], v[57:64]
	s_wait_dscnt 0x2
	s_delay_alu instid0(VALU_DEP_1)
	v_wmma_f32_16x16x16_f16 v[57:64], v[5:8], v[73:76], v[57:64]
	s_wait_loadcnt 0x0
	v_wmma_f32_16x16x16_f16 v[129:136], v[203:206], v[29:32], v[129:136]
	scratch_load_b128 v[29:32], off, off th:TH_LOAD_LU ; 16-byte Folded Reload
	s_wait_loadcnt 0x0
	v_wmma_f32_16x16x16_f16 v[129:136], v[149:152], v[29:32], v[129:136]
	scratch_load_b128 v[29:32], off, off offset:32 th:TH_LOAD_LU ; 16-byte Folded Reload
	v_wmma_f32_16x16x16_f16 v[129:136], v[227:230], v[33:36], v[129:136]
	s_wait_loadcnt 0x0
	s_delay_alu instid0(VALU_DEP_1) | instskip(NEXT) | instid1(VALU_DEP_1)
	v_wmma_f32_16x16x16_f16 v[129:136], v[145:148], v[29:32], v[129:136]
	v_wmma_f32_16x16x16_f16 v[129:136], v[1:4], v[21:24], v[129:136]
	s_clause 0x1
	scratch_load_b128 v[21:24], off, off offset:16 th:TH_LOAD_LU
	scratch_load_b128 v[1:4], off, off offset:48 th:TH_LOAD_LU
	s_wait_loadcnt 0x1
	v_wmma_f32_16x16x16_f16 v[129:136], v[141:144], v[21:24], v[129:136]
	s_delay_alu instid0(VALU_DEP_1) | instskip(SKIP_1) | instid1(VALU_DEP_1)
	v_wmma_f32_16x16x16_f16 v[129:136], v[17:20], v[41:44], v[129:136]
	s_wait_loadcnt 0x0
	v_wmma_f32_16x16x16_f16 v[129:136], v[137:140], v[1:4], v[129:136]
	s_delay_alu instid0(VALU_DEP_1) | instskip(NEXT) | instid1(VALU_DEP_1)
	v_wmma_f32_16x16x16_f16 v[129:136], v[13:16], v[49:52], v[129:136]
	v_wmma_f32_16x16x16_f16 v[129:136], v[9:12], v[37:40], v[129:136]
	s_delay_alu instid0(VALU_DEP_1) | instskip(NEXT) | instid1(VALU_DEP_1)
	v_wmma_f32_16x16x16_f16 v[129:136], v[5:8], v[45:48], v[129:136]
	v_wmma_f32_16x16x16_f16 v[129:136], v[180:183], v[25:28], v[129:136]
	s_delay_alu instid0(VALU_DEP_1) | instskip(SKIP_4) | instid1(VALU_DEP_1)
	v_wmma_f32_16x16x16_f16 v[129:136], v[162:165], v[53:56], v[129:136]
	; sched_barrier mask(0x00000000)
	s_wait_dscnt 0x0
	s_barrier_signal -1
	s_barrier_wait -1
	; sched_barrier mask(0x00000000)
	v_wmma_f32_16x16x16_f16 v[57:64], v[180:183], v[69:72], v[57:64]
	v_wmma_f32_16x16x16_f16 v[57:64], v[162:165], v[65:68], v[57:64]
	; sched_barrier mask(0x00000000)
	s_setprio 0
	; sched_barrier mask(0x00000000)
	v_lshrrev_b32_e32 v4, 2, v0
	v_lshlrev_b32_e32 v1, 3, v0
	v_lshlrev_b32_e32 v0, 6, v0
	v_cvt_f16_f32_e64 v6, v129
	v_cvt_f16_f32_e64 v2, v133
	;; [unrolled: 1-line block ×3, first 2 shown]
	v_and_b32_e32 v5, 24, v1
	v_and_b32_e32 v0, 0x3c0, v0
	v_cvt_f16_f32_e64 v1, v131
	v_cvt_f16_f32_e64 v10, v136
	;; [unrolled: 1-line block ×3, first 2 shown]
	v_or_b32_e32 v8, s6, v5
	v_cvt_f16_f32_e64 v12, v132
	v_lshl_or_b32 v13, v161, 1, v0
	v_cvt_f16_f32_e64 v0, v130
	v_lshlrev_b32_e32 v5, 1, v5
	v_lshl_or_b32 v7, s19, 5, v4
	v_pack_b32_f16 v3, v3, v10
	v_pack_b32_f16 v2, v2, v11
	;; [unrolled: 1-line block ×4, first 2 shown]
	v_lshl_or_b32 v4, v4, 6, v5
	s_wait_dscnt 0x0
	s_barrier_signal -1
	s_barrier_wait -1
	ds_store_b128 v13, v[0:3]
	s_wait_dscnt 0x0
	s_barrier_signal -1
	s_barrier_wait -1
	ds_load_b64 v[0:1], v4
	v_mul_lo_u32 v9, v7, s17
	v_cmp_gt_i32_e32 vcc_lo, s5, v8
	v_cmp_gt_i32_e64 s0, s4, v7
	s_add_co_i32 s1, s5, s1
	s_mov_b32 s11, 0x31004000
	s_lshl_b32 s10, s1, 1
	v_cvt_f16_f32_e32 v6, v57
	s_and_b32 s2, s0, vcc_lo
	v_add_lshl_u32 v5, v9, v8, 1
	v_cndmask_b32_e64 v2, 0x80000000, 0, s2
	s_mov_b32 s2, 4
	v_cvt_f16_f32_e32 v9, v59
	v_cvt_f16_f32_e32 v3, v63
	;; [unrolled: 1-line block ×3, first 2 shown]
	v_add_nc_u32_e32 v2, v2, v5
	s_wait_dscnt 0x0
	s_clause 0x1
	buffer_atomic_pk_add_f16 v0, v2, s[8:11], null offen
	buffer_atomic_pk_add_f16 v1, v2, s[8:11], s2 offen
	v_or_b32_e32 v2, 4, v8
	ds_load_b64 v[0:1], v4 offset:8
	v_cvt_f16_f32_e32 v8, v58
	v_cvt_f16_f32_e32 v11, v61
	;; [unrolled: 1-line block ×3, first 2 shown]
	v_cmp_gt_i32_e64 s1, s5, v2
	v_cvt_f16_f32_e32 v14, v60
	v_pack_b32_f16 v3, v3, v10
	s_and_b32 s0, s0, s1
	s_delay_alu instid0(SALU_CYCLE_1) | instskip(NEXT) | instid1(VALU_DEP_1)
	v_cndmask_b32_e64 v2, 0x80000000, 0, s0
	v_add_nc_u32_e32 v2, v5, v2
	s_wait_dscnt 0x0
	s_clause 0x1
	buffer_atomic_pk_add_f16 v0, v2, s[8:11], null offen offset:8
	buffer_atomic_pk_add_f16 v1, v2, s[8:11], s2 offen offset:8
	v_pack_b32_f16 v2, v11, v12
	v_pack_b32_f16 v1, v9, v14
	v_pack_b32_f16 v0, v6, v8
	v_or_b32_e32 v6, 16, v7
	s_wait_dscnt 0x0
	s_barrier_signal -1
	s_barrier_wait -1
	ds_store_b128 v13, v[0:3]
	s_wait_dscnt 0x0
	s_barrier_signal -1
	s_barrier_wait -1
	ds_load_b64 v[0:1], v4
	v_cmp_gt_i32_e64 s0, s4, v6
	v_lshl_add_u32 v2, s17, 5, v5
	s_and_b32 s3, vcc_lo, s0
	s_and_b32 s0, s0, s1
	s_wait_alu 0xfffe
	v_cndmask_b32_e64 v3, 0x80000000, 0, s3
	s_delay_alu instid0(VALU_DEP_1)
	v_add_nc_u32_e32 v3, v3, v2
	s_wait_dscnt 0x0
	s_clause 0x1
	buffer_atomic_pk_add_f16 v0, v3, s[8:11], null offen
	buffer_atomic_pk_add_f16 v1, v3, s[8:11], s2 offen
	ds_load_b64 v[0:1], v4 offset:8
	v_cndmask_b32_e64 v3, 0x80000000, 0, s0
	s_delay_alu instid0(VALU_DEP_1)
	v_add_nc_u32_e32 v2, v2, v3
	s_wait_dscnt 0x0
	s_clause 0x1
	buffer_atomic_pk_add_f16 v0, v2, s[8:11], null offen offset:8
	buffer_atomic_pk_add_f16 v1, v2, s[8:11], s2 offen offset:8
	s_nop 0
	s_sendmsg sendmsg(MSG_DEALLOC_VGPRS)
	s_endpgm
.LBB10_528:
	s_mov_b32 s0, -1
	s_mov_b32 s2, exec_lo
	v_cmpx_eq_u16_e64 0x80, v254
; %bb.529:
	s_xor_b32 s0, exec_lo, -1
; %bb.530:
	s_or_b32 exec_lo, exec_lo, s2
	s_delay_alu instid0(SALU_CYCLE_1)
	s_and_b32 s0, s0, exec_lo
                                        ; implicit-def: $vgpr254
	s_or_saveexec_b32 s1, s1
	v_mov_b32_e32 v157, 0x7f800001
	s_xor_b32 exec_lo, exec_lo, s1
	s_cbranch_execz .LBB10_21
.LBB10_531:
	v_cmp_ne_u16_e64 vcc_lo, 0, v254
	v_mov_b32_e32 v157, 0
	s_and_not1_b32 s0, s0, exec_lo
	s_and_b32 s2, vcc_lo, exec_lo
	s_delay_alu instid0(SALU_CYCLE_1)
	s_or_b32 s0, s0, s2
	s_or_b32 exec_lo, exec_lo, s1
	s_and_saveexec_b32 s1, s0
	s_cbranch_execnz .LBB10_22
	s_branch .LBB10_23
.LBB10_532:
	s_mov_b32 s0, -1
	s_mov_b32 s2, exec_lo
	v_cmpx_eq_u16_e64 0x80, v254
; %bb.533:
	s_xor_b32 s0, exec_lo, -1
; %bb.534:
	s_or_b32 exec_lo, exec_lo, s2
	s_delay_alu instid0(SALU_CYCLE_1)
	s_and_b32 s0, s0, exec_lo
                                        ; implicit-def: $vgpr254
	s_or_saveexec_b32 s1, s1
	v_mov_b32_e32 v166, 0x7f800001
	s_xor_b32 exec_lo, exec_lo, s1
	s_cbranch_execz .LBB10_25
.LBB10_535:
	v_cmp_ne_u16_e64 vcc_lo, 0, v254
	v_mov_b32_e32 v166, 0
	s_and_not1_b32 s0, s0, exec_lo
	s_and_b32 s2, vcc_lo, exec_lo
	s_delay_alu instid0(SALU_CYCLE_1)
	s_or_b32 s0, s0, s2
	s_or_b32 exec_lo, exec_lo, s1
	s_and_saveexec_b32 s1, s0
	s_cbranch_execnz .LBB10_26
	s_branch .LBB10_27
.LBB10_536:
	s_mov_b32 s1, -1
	s_mov_b32 s2, exec_lo
	v_cmpx_eq_u16_e64 0x80, v169
; %bb.537:
	s_xor_b32 s1, exec_lo, -1
; %bb.538:
	s_or_b32 exec_lo, exec_lo, s2
	s_delay_alu instid0(SALU_CYCLE_1)
	s_and_b32 s1, s1, exec_lo
	s_or_saveexec_b32 s0, s0
	v_mov_b32_e32 v168, 0x7f800001
	s_xor_b32 exec_lo, exec_lo, s0
	s_cbranch_execz .LBB10_29
.LBB10_539:
	v_cmp_ne_u16_e64 vcc_lo, 0, v169
	v_mov_b32_e32 v168, 0
	s_and_not1_b32 s1, s1, exec_lo
	s_and_b32 s2, vcc_lo, exec_lo
	s_delay_alu instid0(SALU_CYCLE_1)
	s_or_b32 s1, s1, s2
	s_or_b32 exec_lo, exec_lo, s0
	s_and_saveexec_b32 s0, s1
	s_cbranch_execnz .LBB10_30
	s_branch .LBB10_31
.LBB10_540:
	s_mov_b32 s0, -1
	s_mov_b32 s2, exec_lo
	v_cmpx_eq_u16_e64 0x80, v254
; %bb.541:
	s_xor_b32 s0, exec_lo, -1
; %bb.542:
	s_or_b32 exec_lo, exec_lo, s2
	s_delay_alu instid0(SALU_CYCLE_1)
	s_and_b32 s0, s0, exec_lo
                                        ; implicit-def: $vgpr254
	s_or_saveexec_b32 s1, s1
	v_mov_b32_e32 v169, 0x7f800001
	s_xor_b32 exec_lo, exec_lo, s1
	s_cbranch_execz .LBB10_33
.LBB10_543:
	v_cmp_ne_u16_e64 vcc_lo, 0, v254
	v_mov_b32_e32 v169, 0
	s_and_not1_b32 s0, s0, exec_lo
	s_and_b32 s2, vcc_lo, exec_lo
	s_delay_alu instid0(SALU_CYCLE_1)
	s_or_b32 s0, s0, s2
	s_or_b32 exec_lo, exec_lo, s1
	s_and_saveexec_b32 s1, s0
	s_cbranch_execnz .LBB10_34
	s_branch .LBB10_35
.LBB10_544:
	s_mov_b32 s0, -1
	s_mov_b32 s2, exec_lo
	v_cmpx_eq_u16_e64 0x80, v254
; %bb.545:
	s_xor_b32 s0, exec_lo, -1
; %bb.546:
	s_or_b32 exec_lo, exec_lo, s2
	s_delay_alu instid0(SALU_CYCLE_1)
	s_and_b32 s0, s0, exec_lo
                                        ; implicit-def: $vgpr254
	s_or_saveexec_b32 s1, s1
	v_mov_b32_e32 v158, 0x7f800001
	s_xor_b32 exec_lo, exec_lo, s1
	s_cbranch_execz .LBB10_37
.LBB10_547:
	v_cmp_ne_u16_e64 vcc_lo, 0, v254
	v_mov_b32_e32 v158, 0
	s_and_not1_b32 s0, s0, exec_lo
	s_and_b32 s2, vcc_lo, exec_lo
	s_delay_alu instid0(SALU_CYCLE_1)
	s_or_b32 s0, s0, s2
	s_or_b32 exec_lo, exec_lo, s1
	s_and_saveexec_b32 s1, s0
	s_cbranch_execnz .LBB10_38
	s_branch .LBB10_39
.LBB10_548:
	s_mov_b32 s0, -1
	s_mov_b32 s2, exec_lo
	v_cmpx_eq_u16_e64 0x80, v254
; %bb.549:
	s_xor_b32 s0, exec_lo, -1
; %bb.550:
	s_or_b32 exec_lo, exec_lo, s2
	s_delay_alu instid0(SALU_CYCLE_1)
	s_and_b32 s0, s0, exec_lo
                                        ; implicit-def: $vgpr254
	s_or_saveexec_b32 s1, s1
	v_mov_b32_e32 v172, 0x7f800001
	s_xor_b32 exec_lo, exec_lo, s1
	s_cbranch_execz .LBB10_41
.LBB10_551:
	v_cmp_ne_u16_e64 vcc_lo, 0, v254
	v_mov_b32_e32 v172, 0
	s_and_not1_b32 s0, s0, exec_lo
	s_and_b32 s2, vcc_lo, exec_lo
	s_delay_alu instid0(SALU_CYCLE_1)
	s_or_b32 s0, s0, s2
	s_or_b32 exec_lo, exec_lo, s1
	s_and_saveexec_b32 s1, s0
	s_cbranch_execnz .LBB10_42
	s_branch .LBB10_43
.LBB10_552:
	s_mov_b32 s1, -1
	s_mov_b32 s2, exec_lo
	v_cmpx_eq_u16_e64 0x80, v175
; %bb.553:
	s_xor_b32 s1, exec_lo, -1
; %bb.554:
	s_or_b32 exec_lo, exec_lo, s2
	s_delay_alu instid0(SALU_CYCLE_1)
	s_and_b32 s1, s1, exec_lo
	s_or_saveexec_b32 s0, s0
	v_mov_b32_e32 v174, 0x7f800001
	s_xor_b32 exec_lo, exec_lo, s0
	s_cbranch_execz .LBB10_45
.LBB10_555:
	v_cmp_ne_u16_e64 vcc_lo, 0, v175
	v_mov_b32_e32 v174, 0
	s_and_not1_b32 s1, s1, exec_lo
	s_and_b32 s2, vcc_lo, exec_lo
	s_delay_alu instid0(SALU_CYCLE_1)
	s_or_b32 s1, s1, s2
	s_or_b32 exec_lo, exec_lo, s0
	s_and_saveexec_b32 s0, s1
	s_cbranch_execnz .LBB10_46
	s_branch .LBB10_47
.LBB10_556:
	s_mov_b32 s0, -1
	s_mov_b32 s2, exec_lo
	v_cmpx_eq_u16_e64 0x80, v254
; %bb.557:
	s_xor_b32 s0, exec_lo, -1
; %bb.558:
	s_or_b32 exec_lo, exec_lo, s2
	s_delay_alu instid0(SALU_CYCLE_1)
	s_and_b32 s0, s0, exec_lo
                                        ; implicit-def: $vgpr254
	s_or_saveexec_b32 s1, s1
	v_mov_b32_e32 v175, 0x7f800001
	s_xor_b32 exec_lo, exec_lo, s1
	s_cbranch_execz .LBB10_49
.LBB10_559:
	v_cmp_ne_u16_e64 vcc_lo, 0, v254
	v_mov_b32_e32 v175, 0
	s_and_not1_b32 s0, s0, exec_lo
	s_and_b32 s2, vcc_lo, exec_lo
	s_delay_alu instid0(SALU_CYCLE_1)
	s_or_b32 s0, s0, s2
	s_or_b32 exec_lo, exec_lo, s1
	s_and_saveexec_b32 s1, s0
	s_cbranch_execnz .LBB10_50
	s_branch .LBB10_51
.LBB10_560:
	s_mov_b32 s0, -1
	s_mov_b32 s2, exec_lo
	v_cmpx_eq_u16_e64 0x80, v254
; %bb.561:
	s_xor_b32 s0, exec_lo, -1
; %bb.562:
	s_or_b32 exec_lo, exec_lo, s2
	s_delay_alu instid0(SALU_CYCLE_1)
	s_and_b32 s0, s0, exec_lo
                                        ; implicit-def: $vgpr254
	s_or_saveexec_b32 s1, s1
	v_mov_b32_e32 v159, 0x7f800001
	s_xor_b32 exec_lo, exec_lo, s1
	s_cbranch_execz .LBB10_53
.LBB10_563:
	v_cmp_ne_u16_e64 vcc_lo, 0, v254
	v_mov_b32_e32 v159, 0
	s_and_not1_b32 s0, s0, exec_lo
	s_and_b32 s2, vcc_lo, exec_lo
	s_delay_alu instid0(SALU_CYCLE_1)
	s_or_b32 s0, s0, s2
	s_or_b32 exec_lo, exec_lo, s1
	s_and_saveexec_b32 s1, s0
	s_cbranch_execnz .LBB10_54
	s_branch .LBB10_55
.LBB10_564:
	s_mov_b32 s0, -1
	s_mov_b32 s2, exec_lo
	v_cmpx_eq_u16_e64 0x80, v254
; %bb.565:
	s_xor_b32 s0, exec_lo, -1
; %bb.566:
	s_or_b32 exec_lo, exec_lo, s2
	s_delay_alu instid0(SALU_CYCLE_1)
	s_and_b32 s0, s0, exec_lo
                                        ; implicit-def: $vgpr254
	s_or_saveexec_b32 s1, s1
	v_mov_b32_e32 v178, 0x7f800001
	s_xor_b32 exec_lo, exec_lo, s1
	s_cbranch_execz .LBB10_57
.LBB10_567:
	v_cmp_ne_u16_e64 vcc_lo, 0, v254
	v_mov_b32_e32 v178, 0
	s_and_not1_b32 s0, s0, exec_lo
	s_and_b32 s2, vcc_lo, exec_lo
	s_delay_alu instid0(SALU_CYCLE_1)
	s_or_b32 s0, s0, s2
	s_or_b32 exec_lo, exec_lo, s1
	s_and_saveexec_b32 s1, s0
	s_cbranch_execnz .LBB10_58
	s_branch .LBB10_59
.LBB10_568:
	s_mov_b32 s1, -1
	s_mov_b32 s2, exec_lo
	v_cmpx_eq_u16_e64 0x80, v181
; %bb.569:
	s_xor_b32 s1, exec_lo, -1
; %bb.570:
	s_or_b32 exec_lo, exec_lo, s2
	s_delay_alu instid0(SALU_CYCLE_1)
	s_and_b32 s1, s1, exec_lo
	s_or_saveexec_b32 s0, s0
	v_mov_b32_e32 v180, 0x7f800001
	s_xor_b32 exec_lo, exec_lo, s0
	s_cbranch_execz .LBB10_61
.LBB10_571:
	v_cmp_ne_u16_e64 vcc_lo, 0, v181
	v_mov_b32_e32 v180, 0
	s_and_not1_b32 s1, s1, exec_lo
	s_and_b32 s2, vcc_lo, exec_lo
	s_delay_alu instid0(SALU_CYCLE_1)
	s_or_b32 s1, s1, s2
	s_or_b32 exec_lo, exec_lo, s0
	s_and_saveexec_b32 s0, s1
	s_cbranch_execnz .LBB10_62
	s_branch .LBB10_63
.LBB10_572:
	s_mov_b32 s0, -1
	s_mov_b32 s2, exec_lo
	v_cmpx_eq_u16_e64 0x80, v254
; %bb.573:
	s_xor_b32 s0, exec_lo, -1
; %bb.574:
	s_or_b32 exec_lo, exec_lo, s2
	s_delay_alu instid0(SALU_CYCLE_1)
	s_and_b32 s0, s0, exec_lo
                                        ; implicit-def: $vgpr254
	s_or_saveexec_b32 s1, s1
	v_mov_b32_e32 v181, 0x7f800001
	s_xor_b32 exec_lo, exec_lo, s1
	s_cbranch_execz .LBB10_65
.LBB10_575:
	v_cmp_ne_u16_e64 vcc_lo, 0, v254
	v_mov_b32_e32 v181, 0
	s_and_not1_b32 s0, s0, exec_lo
	s_and_b32 s2, vcc_lo, exec_lo
	s_delay_alu instid0(SALU_CYCLE_1)
	s_or_b32 s0, s0, s2
	s_or_b32 exec_lo, exec_lo, s1
	s_and_saveexec_b32 s1, s0
	s_cbranch_execnz .LBB10_66
	s_branch .LBB10_67
.LBB10_576:
	s_mov_b32 s0, -1
	s_mov_b32 s2, exec_lo
	v_cmpx_eq_u16_e64 0x80, v254
; %bb.577:
	s_xor_b32 s0, exec_lo, -1
; %bb.578:
	s_or_b32 exec_lo, exec_lo, s2
	s_delay_alu instid0(SALU_CYCLE_1)
	s_and_b32 s0, s0, exec_lo
                                        ; implicit-def: $vgpr254
	s_or_saveexec_b32 s1, s1
	v_mov_b32_e32 v160, 0x7f800001
	s_xor_b32 exec_lo, exec_lo, s1
	s_cbranch_execz .LBB10_69
.LBB10_579:
	v_cmp_ne_u16_e64 vcc_lo, 0, v254
	v_mov_b32_e32 v160, 0
	s_and_not1_b32 s0, s0, exec_lo
	s_and_b32 s2, vcc_lo, exec_lo
	s_delay_alu instid0(SALU_CYCLE_1)
	s_or_b32 s0, s0, s2
	s_or_b32 exec_lo, exec_lo, s1
	s_and_saveexec_b32 s1, s0
	s_cbranch_execnz .LBB10_70
	s_branch .LBB10_71
.LBB10_580:
	s_mov_b32 s0, -1
	s_mov_b32 s2, exec_lo
	v_cmpx_eq_u16_e64 0x80, v254
; %bb.581:
	s_xor_b32 s0, exec_lo, -1
; %bb.582:
	s_or_b32 exec_lo, exec_lo, s2
	s_delay_alu instid0(SALU_CYCLE_1)
	s_and_b32 s0, s0, exec_lo
                                        ; implicit-def: $vgpr254
	s_or_saveexec_b32 s1, s1
	v_mov_b32_e32 v184, 0x7f800001
	s_xor_b32 exec_lo, exec_lo, s1
	s_cbranch_execz .LBB10_73
.LBB10_583:
	v_cmp_ne_u16_e64 vcc_lo, 0, v254
	v_mov_b32_e32 v184, 0
	s_and_not1_b32 s0, s0, exec_lo
	s_and_b32 s2, vcc_lo, exec_lo
	s_delay_alu instid0(SALU_CYCLE_1)
	s_or_b32 s0, s0, s2
	s_or_b32 exec_lo, exec_lo, s1
	s_and_saveexec_b32 s1, s0
	s_cbranch_execnz .LBB10_74
	s_branch .LBB10_75
.LBB10_584:
	s_mov_b32 s1, -1
	s_mov_b32 s2, exec_lo
	v_cmpx_eq_u16_e64 0x80, v187
; %bb.585:
	s_xor_b32 s1, exec_lo, -1
; %bb.586:
	s_or_b32 exec_lo, exec_lo, s2
	s_delay_alu instid0(SALU_CYCLE_1)
	s_and_b32 s1, s1, exec_lo
	s_or_saveexec_b32 s0, s0
	v_mov_b32_e32 v186, 0x7f800001
	s_xor_b32 exec_lo, exec_lo, s0
	s_cbranch_execz .LBB10_77
.LBB10_587:
	v_cmp_ne_u16_e64 vcc_lo, 0, v187
	v_mov_b32_e32 v186, 0
	s_and_not1_b32 s1, s1, exec_lo
	s_and_b32 s2, vcc_lo, exec_lo
	s_delay_alu instid0(SALU_CYCLE_1)
	s_or_b32 s1, s1, s2
	s_or_b32 exec_lo, exec_lo, s0
	s_and_saveexec_b32 s0, s1
	s_cbranch_execnz .LBB10_78
	s_branch .LBB10_79
.LBB10_588:
	s_mov_b32 s0, -1
	s_mov_b32 s2, exec_lo
	v_cmpx_eq_u16_e64 0x80, v254
; %bb.589:
	s_xor_b32 s0, exec_lo, -1
; %bb.590:
	s_or_b32 exec_lo, exec_lo, s2
	s_delay_alu instid0(SALU_CYCLE_1)
	s_and_b32 s0, s0, exec_lo
                                        ; implicit-def: $vgpr254
	s_or_saveexec_b32 s1, s1
	v_mov_b32_e32 v187, 0x7f800001
	s_xor_b32 exec_lo, exec_lo, s1
	s_cbranch_execz .LBB10_81
.LBB10_591:
	v_cmp_ne_u16_e64 vcc_lo, 0, v254
	v_mov_b32_e32 v187, 0
	s_and_not1_b32 s0, s0, exec_lo
	s_and_b32 s2, vcc_lo, exec_lo
	s_delay_alu instid0(SALU_CYCLE_1)
	s_or_b32 s0, s0, s2
	s_or_b32 exec_lo, exec_lo, s1
	s_and_saveexec_b32 s1, s0
	s_cbranch_execnz .LBB10_82
	s_branch .LBB10_83
.LBB10_592:
	s_mov_b32 s0, -1
	s_mov_b32 s2, exec_lo
	v_cmpx_eq_u16_e64 0x80, v254
; %bb.593:
	s_xor_b32 s0, exec_lo, -1
; %bb.594:
	s_or_b32 exec_lo, exec_lo, s2
	s_delay_alu instid0(SALU_CYCLE_1)
	s_and_b32 s0, s0, exec_lo
                                        ; implicit-def: $vgpr254
	s_or_saveexec_b32 s1, s1
	v_mov_b32_e32 v153, 0x7f800001
	s_xor_b32 exec_lo, exec_lo, s1
	s_cbranch_execz .LBB10_85
.LBB10_595:
	v_cmp_ne_u16_e64 vcc_lo, 0, v254
	v_mov_b32_e32 v153, 0
	s_and_not1_b32 s0, s0, exec_lo
	s_and_b32 s2, vcc_lo, exec_lo
	s_delay_alu instid0(SALU_CYCLE_1)
	s_or_b32 s0, s0, s2
	s_or_b32 exec_lo, exec_lo, s1
	s_and_saveexec_b32 s1, s0
	s_cbranch_execnz .LBB10_86
	s_branch .LBB10_87
.LBB10_596:
	s_mov_b32 s0, -1
	s_mov_b32 s2, exec_lo
	v_cmpx_eq_u16_e64 0x80, v254
; %bb.597:
	s_xor_b32 s0, exec_lo, -1
; %bb.598:
	s_or_b32 exec_lo, exec_lo, s2
	s_delay_alu instid0(SALU_CYCLE_1)
	s_and_b32 s0, s0, exec_lo
                                        ; implicit-def: $vgpr254
	s_or_saveexec_b32 s1, s1
	v_mov_b32_e32 v190, 0x7f800001
	s_xor_b32 exec_lo, exec_lo, s1
	s_cbranch_execz .LBB10_89
.LBB10_599:
	v_cmp_ne_u16_e64 vcc_lo, 0, v254
	v_mov_b32_e32 v190, 0
	s_and_not1_b32 s0, s0, exec_lo
	s_and_b32 s2, vcc_lo, exec_lo
	s_delay_alu instid0(SALU_CYCLE_1)
	s_or_b32 s0, s0, s2
	s_or_b32 exec_lo, exec_lo, s1
	s_and_saveexec_b32 s1, s0
	s_cbranch_execnz .LBB10_90
	s_branch .LBB10_91
.LBB10_600:
	s_mov_b32 s1, -1
	s_mov_b32 s2, exec_lo
	v_cmpx_eq_u16_e64 0x80, v193
; %bb.601:
	s_xor_b32 s1, exec_lo, -1
; %bb.602:
	s_or_b32 exec_lo, exec_lo, s2
	s_delay_alu instid0(SALU_CYCLE_1)
	s_and_b32 s1, s1, exec_lo
	s_or_saveexec_b32 s0, s0
	v_mov_b32_e32 v192, 0x7f800001
	s_xor_b32 exec_lo, exec_lo, s0
	s_cbranch_execz .LBB10_93
.LBB10_603:
	v_cmp_ne_u16_e64 vcc_lo, 0, v193
	v_mov_b32_e32 v192, 0
	s_and_not1_b32 s1, s1, exec_lo
	s_and_b32 s2, vcc_lo, exec_lo
	s_delay_alu instid0(SALU_CYCLE_1)
	s_or_b32 s1, s1, s2
	s_or_b32 exec_lo, exec_lo, s0
	s_and_saveexec_b32 s0, s1
	s_cbranch_execnz .LBB10_94
	s_branch .LBB10_95
.LBB10_604:
	s_mov_b32 s0, -1
	s_mov_b32 s2, exec_lo
	v_cmpx_eq_u16_e64 0x80, v254
; %bb.605:
	s_xor_b32 s0, exec_lo, -1
; %bb.606:
	s_or_b32 exec_lo, exec_lo, s2
	s_delay_alu instid0(SALU_CYCLE_1)
	s_and_b32 s0, s0, exec_lo
                                        ; implicit-def: $vgpr254
	s_or_saveexec_b32 s1, s1
	v_mov_b32_e32 v193, 0x7f800001
	s_xor_b32 exec_lo, exec_lo, s1
	s_cbranch_execz .LBB10_97
.LBB10_607:
	v_cmp_ne_u16_e64 vcc_lo, 0, v254
	v_mov_b32_e32 v193, 0
	s_and_not1_b32 s0, s0, exec_lo
	s_and_b32 s2, vcc_lo, exec_lo
	s_delay_alu instid0(SALU_CYCLE_1)
	s_or_b32 s0, s0, s2
	s_or_b32 exec_lo, exec_lo, s1
	s_and_saveexec_b32 s1, s0
	s_cbranch_execnz .LBB10_98
	s_branch .LBB10_99
.LBB10_608:
	s_mov_b32 s0, -1
	s_mov_b32 s2, exec_lo
	v_cmpx_eq_u16_e64 0x80, v254
; %bb.609:
	s_xor_b32 s0, exec_lo, -1
; %bb.610:
	s_or_b32 exec_lo, exec_lo, s2
	s_delay_alu instid0(SALU_CYCLE_1)
	s_and_b32 s0, s0, exec_lo
                                        ; implicit-def: $vgpr254
	s_or_saveexec_b32 s1, s1
	v_mov_b32_e32 v154, 0x7f800001
	s_xor_b32 exec_lo, exec_lo, s1
	s_cbranch_execz .LBB10_101
.LBB10_611:
	v_cmp_ne_u16_e64 vcc_lo, 0, v254
	v_mov_b32_e32 v154, 0
	s_and_not1_b32 s0, s0, exec_lo
	s_and_b32 s2, vcc_lo, exec_lo
	s_delay_alu instid0(SALU_CYCLE_1)
	s_or_b32 s0, s0, s2
	s_or_b32 exec_lo, exec_lo, s1
	s_and_saveexec_b32 s1, s0
	s_cbranch_execnz .LBB10_102
	s_branch .LBB10_103
.LBB10_612:
	s_mov_b32 s0, -1
	s_mov_b32 s2, exec_lo
	v_cmpx_eq_u16_e64 0x80, v254
; %bb.613:
	s_xor_b32 s0, exec_lo, -1
; %bb.614:
	s_or_b32 exec_lo, exec_lo, s2
	s_delay_alu instid0(SALU_CYCLE_1)
	s_and_b32 s0, s0, exec_lo
                                        ; implicit-def: $vgpr254
	s_or_saveexec_b32 s1, s1
	v_mov_b32_e32 v196, 0x7f800001
	s_xor_b32 exec_lo, exec_lo, s1
	s_cbranch_execz .LBB10_105
.LBB10_615:
	v_cmp_ne_u16_e64 vcc_lo, 0, v254
	v_mov_b32_e32 v196, 0
	s_and_not1_b32 s0, s0, exec_lo
	s_and_b32 s2, vcc_lo, exec_lo
	s_delay_alu instid0(SALU_CYCLE_1)
	s_or_b32 s0, s0, s2
	s_or_b32 exec_lo, exec_lo, s1
	s_and_saveexec_b32 s1, s0
	s_cbranch_execnz .LBB10_106
	s_branch .LBB10_107
.LBB10_616:
	s_mov_b32 s1, -1
	s_mov_b32 s2, exec_lo
	v_cmpx_eq_u16_e64 0x80, v199
; %bb.617:
	s_xor_b32 s1, exec_lo, -1
; %bb.618:
	s_or_b32 exec_lo, exec_lo, s2
	s_delay_alu instid0(SALU_CYCLE_1)
	s_and_b32 s1, s1, exec_lo
	s_or_saveexec_b32 s0, s0
	v_mov_b32_e32 v198, 0x7f800001
	s_xor_b32 exec_lo, exec_lo, s0
	s_cbranch_execz .LBB10_109
.LBB10_619:
	v_cmp_ne_u16_e64 vcc_lo, 0, v199
	v_mov_b32_e32 v198, 0
	s_and_not1_b32 s1, s1, exec_lo
	s_and_b32 s2, vcc_lo, exec_lo
	s_delay_alu instid0(SALU_CYCLE_1)
	s_or_b32 s1, s1, s2
	s_or_b32 exec_lo, exec_lo, s0
	s_and_saveexec_b32 s0, s1
	s_cbranch_execnz .LBB10_110
	s_branch .LBB10_111
.LBB10_620:
	s_mov_b32 s0, -1
	s_mov_b32 s2, exec_lo
	v_cmpx_eq_u16_e64 0x80, v254
; %bb.621:
	s_xor_b32 s0, exec_lo, -1
; %bb.622:
	s_or_b32 exec_lo, exec_lo, s2
	s_delay_alu instid0(SALU_CYCLE_1)
	s_and_b32 s0, s0, exec_lo
                                        ; implicit-def: $vgpr254
	s_or_saveexec_b32 s1, s1
	v_mov_b32_e32 v199, 0x7f800001
	s_xor_b32 exec_lo, exec_lo, s1
	s_cbranch_execz .LBB10_113
.LBB10_623:
	v_cmp_ne_u16_e64 vcc_lo, 0, v254
	v_mov_b32_e32 v199, 0
	s_and_not1_b32 s0, s0, exec_lo
	s_and_b32 s2, vcc_lo, exec_lo
	s_delay_alu instid0(SALU_CYCLE_1)
	s_or_b32 s0, s0, s2
	s_or_b32 exec_lo, exec_lo, s1
	s_and_saveexec_b32 s1, s0
	s_cbranch_execnz .LBB10_114
	s_branch .LBB10_115
.LBB10_624:
	s_mov_b32 s0, -1
	s_mov_b32 s2, exec_lo
	v_cmpx_eq_u16_e64 0x80, v254
; %bb.625:
	s_xor_b32 s0, exec_lo, -1
; %bb.626:
	s_or_b32 exec_lo, exec_lo, s2
	s_delay_alu instid0(SALU_CYCLE_1)
	s_and_b32 s0, s0, exec_lo
                                        ; implicit-def: $vgpr254
	s_or_saveexec_b32 s1, s1
	v_mov_b32_e32 v155, 0x7f800001
	s_xor_b32 exec_lo, exec_lo, s1
	s_cbranch_execz .LBB10_117
.LBB10_627:
	v_cmp_ne_u16_e64 vcc_lo, 0, v254
	v_mov_b32_e32 v155, 0
	s_and_not1_b32 s0, s0, exec_lo
	s_and_b32 s2, vcc_lo, exec_lo
	s_delay_alu instid0(SALU_CYCLE_1)
	s_or_b32 s0, s0, s2
	s_or_b32 exec_lo, exec_lo, s1
	s_and_saveexec_b32 s1, s0
	s_cbranch_execnz .LBB10_118
	s_branch .LBB10_119
.LBB10_628:
	s_mov_b32 s0, -1
	s_mov_b32 s2, exec_lo
	v_cmpx_eq_u16_e64 0x80, v254
; %bb.629:
	s_xor_b32 s0, exec_lo, -1
; %bb.630:
	s_or_b32 exec_lo, exec_lo, s2
	s_delay_alu instid0(SALU_CYCLE_1)
	s_and_b32 s0, s0, exec_lo
                                        ; implicit-def: $vgpr254
	s_or_saveexec_b32 s1, s1
	v_mov_b32_e32 v202, 0x7f800001
	s_xor_b32 exec_lo, exec_lo, s1
	s_cbranch_execz .LBB10_121
.LBB10_631:
	v_cmp_ne_u16_e64 vcc_lo, 0, v254
	v_mov_b32_e32 v202, 0
	s_and_not1_b32 s0, s0, exec_lo
	s_and_b32 s2, vcc_lo, exec_lo
	s_delay_alu instid0(SALU_CYCLE_1)
	s_or_b32 s0, s0, s2
	s_or_b32 exec_lo, exec_lo, s1
	s_and_saveexec_b32 s1, s0
	s_cbranch_execnz .LBB10_122
	s_branch .LBB10_123
.LBB10_632:
	s_mov_b32 s1, -1
	s_mov_b32 s2, exec_lo
	v_cmpx_eq_u16_e64 0x80, v205
; %bb.633:
	s_xor_b32 s1, exec_lo, -1
; %bb.634:
	s_or_b32 exec_lo, exec_lo, s2
	s_delay_alu instid0(SALU_CYCLE_1)
	s_and_b32 s1, s1, exec_lo
	s_or_saveexec_b32 s0, s0
	v_mov_b32_e32 v204, 0x7f800001
	s_xor_b32 exec_lo, exec_lo, s0
	s_cbranch_execz .LBB10_125
.LBB10_635:
	v_cmp_ne_u16_e64 vcc_lo, 0, v205
	v_mov_b32_e32 v204, 0
	s_and_not1_b32 s1, s1, exec_lo
	s_and_b32 s2, vcc_lo, exec_lo
	s_delay_alu instid0(SALU_CYCLE_1)
	s_or_b32 s1, s1, s2
	s_or_b32 exec_lo, exec_lo, s0
	s_and_saveexec_b32 s0, s1
	s_cbranch_execnz .LBB10_126
	s_branch .LBB10_127
.LBB10_636:
	s_mov_b32 s0, -1
	s_mov_b32 s2, exec_lo
	v_cmpx_eq_u16_e64 0x80, v254
; %bb.637:
	s_xor_b32 s0, exec_lo, -1
; %bb.638:
	s_or_b32 exec_lo, exec_lo, s2
	s_delay_alu instid0(SALU_CYCLE_1)
	s_and_b32 s0, s0, exec_lo
                                        ; implicit-def: $vgpr254
	s_or_saveexec_b32 s1, s1
	v_mov_b32_e32 v205, 0x7f800001
	s_xor_b32 exec_lo, exec_lo, s1
	s_cbranch_execz .LBB10_129
.LBB10_639:
	v_cmp_ne_u16_e64 vcc_lo, 0, v254
	v_mov_b32_e32 v205, 0
	s_and_not1_b32 s0, s0, exec_lo
	s_and_b32 s2, vcc_lo, exec_lo
	s_delay_alu instid0(SALU_CYCLE_1)
	s_or_b32 s0, s0, s2
	s_or_b32 exec_lo, exec_lo, s1
	s_and_saveexec_b32 s1, s0
	s_cbranch_execnz .LBB10_130
	s_branch .LBB10_131
.LBB10_640:
	s_mov_b32 s0, -1
	s_mov_b32 s2, exec_lo
	v_cmpx_eq_u16_e64 0x80, v254
; %bb.641:
	s_xor_b32 s0, exec_lo, -1
; %bb.642:
	s_or_b32 exec_lo, exec_lo, s2
	s_delay_alu instid0(SALU_CYCLE_1)
	s_and_b32 s0, s0, exec_lo
                                        ; implicit-def: $vgpr254
	s_or_saveexec_b32 s1, s1
	v_mov_b32_e32 v156, 0x7f800001
	s_xor_b32 exec_lo, exec_lo, s1
	s_cbranch_execz .LBB10_133
.LBB10_643:
	v_cmp_ne_u16_e64 vcc_lo, 0, v254
	v_mov_b32_e32 v156, 0
	s_and_not1_b32 s0, s0, exec_lo
	s_and_b32 s2, vcc_lo, exec_lo
	s_delay_alu instid0(SALU_CYCLE_1)
	s_or_b32 s0, s0, s2
	s_or_b32 exec_lo, exec_lo, s1
	s_and_saveexec_b32 s1, s0
	s_cbranch_execnz .LBB10_134
	s_branch .LBB10_135
.LBB10_644:
	s_mov_b32 s0, -1
	s_mov_b32 s2, exec_lo
	v_cmpx_eq_u16_e64 0x80, v254
; %bb.645:
	s_xor_b32 s0, exec_lo, -1
; %bb.646:
	s_or_b32 exec_lo, exec_lo, s2
	s_delay_alu instid0(SALU_CYCLE_1)
	s_and_b32 s0, s0, exec_lo
                                        ; implicit-def: $vgpr254
	s_or_saveexec_b32 s1, s1
	v_mov_b32_e32 v208, 0x7f800001
	s_xor_b32 exec_lo, exec_lo, s1
	s_cbranch_execz .LBB10_137
.LBB10_647:
	v_cmp_ne_u16_e64 vcc_lo, 0, v254
	v_mov_b32_e32 v208, 0
	s_and_not1_b32 s0, s0, exec_lo
	s_and_b32 s2, vcc_lo, exec_lo
	s_delay_alu instid0(SALU_CYCLE_1)
	s_or_b32 s0, s0, s2
	s_or_b32 exec_lo, exec_lo, s1
	s_and_saveexec_b32 s1, s0
	s_cbranch_execnz .LBB10_138
	s_branch .LBB10_139
.LBB10_648:
	s_mov_b32 s1, -1
	s_mov_b32 s2, exec_lo
	v_cmpx_eq_u16_e64 0x80, v211
; %bb.649:
	s_xor_b32 s1, exec_lo, -1
; %bb.650:
	s_or_b32 exec_lo, exec_lo, s2
	s_delay_alu instid0(SALU_CYCLE_1)
	s_and_b32 s1, s1, exec_lo
	s_or_saveexec_b32 s0, s0
	v_mov_b32_e32 v210, 0x7f800001
	s_xor_b32 exec_lo, exec_lo, s0
	s_cbranch_execz .LBB10_141
.LBB10_651:
	v_cmp_ne_u16_e64 vcc_lo, 0, v211
	v_mov_b32_e32 v210, 0
	s_and_not1_b32 s1, s1, exec_lo
	s_and_b32 s2, vcc_lo, exec_lo
	s_delay_alu instid0(SALU_CYCLE_1)
	s_or_b32 s1, s1, s2
	s_or_b32 exec_lo, exec_lo, s0
	s_and_saveexec_b32 s0, s1
	s_cbranch_execnz .LBB10_142
	s_branch .LBB10_143
.LBB10_652:
	s_mov_b32 s0, -1
	s_mov_b32 s2, exec_lo
	v_cmpx_eq_u16_e64 0x80, v254
; %bb.653:
	s_xor_b32 s0, exec_lo, -1
; %bb.654:
	s_or_b32 exec_lo, exec_lo, s2
	s_delay_alu instid0(SALU_CYCLE_1)
	s_and_b32 s0, s0, exec_lo
                                        ; implicit-def: $vgpr254
	s_or_saveexec_b32 s1, s1
	v_mov_b32_e32 v211, 0x7f800001
	s_xor_b32 exec_lo, exec_lo, s1
	s_cbranch_execz .LBB10_145
.LBB10_655:
	v_cmp_ne_u16_e64 vcc_lo, 0, v254
	v_mov_b32_e32 v211, 0
	s_and_not1_b32 s0, s0, exec_lo
	s_and_b32 s2, vcc_lo, exec_lo
	s_delay_alu instid0(SALU_CYCLE_1)
	s_or_b32 s0, s0, s2
	s_or_b32 exec_lo, exec_lo, s1
	s_and_saveexec_b32 s1, s0
	s_cbranch_execnz .LBB10_146
	s_branch .LBB10_147
.LBB10_656:
	s_mov_b32 s0, -1
	s_mov_b32 s2, exec_lo
	v_cmpx_eq_u16_e64 0x80, v254
; %bb.657:
	s_xor_b32 s0, exec_lo, -1
; %bb.658:
	s_or_b32 exec_lo, exec_lo, s2
	s_delay_alu instid0(SALU_CYCLE_1)
	s_and_b32 s0, s0, exec_lo
                                        ; implicit-def: $vgpr254
	s_or_saveexec_b32 s1, s1
	v_mov_b32_e32 v149, 0x7f800001
	s_xor_b32 exec_lo, exec_lo, s1
	s_cbranch_execz .LBB10_149
.LBB10_659:
	v_cmp_ne_u16_e64 vcc_lo, 0, v254
	v_mov_b32_e32 v149, 0
	s_and_not1_b32 s0, s0, exec_lo
	s_and_b32 s2, vcc_lo, exec_lo
	s_delay_alu instid0(SALU_CYCLE_1)
	s_or_b32 s0, s0, s2
	s_or_b32 exec_lo, exec_lo, s1
	s_and_saveexec_b32 s1, s0
	s_cbranch_execnz .LBB10_150
	s_branch .LBB10_151
.LBB10_660:
	s_mov_b32 s0, -1
	s_mov_b32 s2, exec_lo
	v_cmpx_eq_u16_e64 0x80, v254
; %bb.661:
	s_xor_b32 s0, exec_lo, -1
; %bb.662:
	s_or_b32 exec_lo, exec_lo, s2
	s_delay_alu instid0(SALU_CYCLE_1)
	s_and_b32 s0, s0, exec_lo
                                        ; implicit-def: $vgpr254
	s_or_saveexec_b32 s1, s1
	v_mov_b32_e32 v214, 0x7f800001
	s_xor_b32 exec_lo, exec_lo, s1
	s_cbranch_execz .LBB10_153
.LBB10_663:
	v_cmp_ne_u16_e64 vcc_lo, 0, v254
	v_mov_b32_e32 v214, 0
	s_and_not1_b32 s0, s0, exec_lo
	s_and_b32 s2, vcc_lo, exec_lo
	s_delay_alu instid0(SALU_CYCLE_1)
	s_or_b32 s0, s0, s2
	s_or_b32 exec_lo, exec_lo, s1
	s_and_saveexec_b32 s1, s0
	s_cbranch_execnz .LBB10_154
	s_branch .LBB10_155
.LBB10_664:
	s_mov_b32 s1, -1
	s_mov_b32 s2, exec_lo
	v_cmpx_eq_u16_e64 0x80, v217
; %bb.665:
	s_xor_b32 s1, exec_lo, -1
; %bb.666:
	s_or_b32 exec_lo, exec_lo, s2
	s_delay_alu instid0(SALU_CYCLE_1)
	s_and_b32 s1, s1, exec_lo
	s_or_saveexec_b32 s0, s0
	v_mov_b32_e32 v216, 0x7f800001
	s_xor_b32 exec_lo, exec_lo, s0
	s_cbranch_execz .LBB10_157
.LBB10_667:
	v_cmp_ne_u16_e64 vcc_lo, 0, v217
	v_mov_b32_e32 v216, 0
	s_and_not1_b32 s1, s1, exec_lo
	s_and_b32 s2, vcc_lo, exec_lo
	s_delay_alu instid0(SALU_CYCLE_1)
	s_or_b32 s1, s1, s2
	s_or_b32 exec_lo, exec_lo, s0
	s_and_saveexec_b32 s0, s1
	s_cbranch_execnz .LBB10_158
	s_branch .LBB10_159
.LBB10_668:
	s_mov_b32 s0, -1
	s_mov_b32 s2, exec_lo
	v_cmpx_eq_u16_e64 0x80, v254
; %bb.669:
	s_xor_b32 s0, exec_lo, -1
; %bb.670:
	s_or_b32 exec_lo, exec_lo, s2
	s_delay_alu instid0(SALU_CYCLE_1)
	s_and_b32 s0, s0, exec_lo
                                        ; implicit-def: $vgpr254
	s_or_saveexec_b32 s1, s1
	v_mov_b32_e32 v217, 0x7f800001
	s_xor_b32 exec_lo, exec_lo, s1
	s_cbranch_execz .LBB10_161
.LBB10_671:
	v_cmp_ne_u16_e64 vcc_lo, 0, v254
	v_mov_b32_e32 v217, 0
	s_and_not1_b32 s0, s0, exec_lo
	s_and_b32 s2, vcc_lo, exec_lo
	s_delay_alu instid0(SALU_CYCLE_1)
	s_or_b32 s0, s0, s2
	s_or_b32 exec_lo, exec_lo, s1
	s_and_saveexec_b32 s1, s0
	s_cbranch_execnz .LBB10_162
	s_branch .LBB10_163
.LBB10_672:
	s_mov_b32 s0, -1
	s_mov_b32 s2, exec_lo
	v_cmpx_eq_u16_e64 0x80, v254
; %bb.673:
	s_xor_b32 s0, exec_lo, -1
; %bb.674:
	s_or_b32 exec_lo, exec_lo, s2
	s_delay_alu instid0(SALU_CYCLE_1)
	s_and_b32 s0, s0, exec_lo
                                        ; implicit-def: $vgpr254
	s_or_saveexec_b32 s1, s1
	v_mov_b32_e32 v150, 0x7f800001
	s_xor_b32 exec_lo, exec_lo, s1
	s_cbranch_execz .LBB10_165
.LBB10_675:
	v_cmp_ne_u16_e64 vcc_lo, 0, v254
	v_mov_b32_e32 v150, 0
	s_and_not1_b32 s0, s0, exec_lo
	s_and_b32 s2, vcc_lo, exec_lo
	s_delay_alu instid0(SALU_CYCLE_1)
	s_or_b32 s0, s0, s2
	s_or_b32 exec_lo, exec_lo, s1
	s_and_saveexec_b32 s1, s0
	s_cbranch_execnz .LBB10_166
	s_branch .LBB10_167
.LBB10_676:
	s_mov_b32 s0, -1
	s_mov_b32 s2, exec_lo
	v_cmpx_eq_u16_e64 0x80, v254
; %bb.677:
	s_xor_b32 s0, exec_lo, -1
; %bb.678:
	s_or_b32 exec_lo, exec_lo, s2
	s_delay_alu instid0(SALU_CYCLE_1)
	s_and_b32 s0, s0, exec_lo
                                        ; implicit-def: $vgpr254
	s_or_saveexec_b32 s1, s1
	v_mov_b32_e32 v220, 0x7f800001
	s_xor_b32 exec_lo, exec_lo, s1
	s_cbranch_execz .LBB10_169
.LBB10_679:
	v_cmp_ne_u16_e64 vcc_lo, 0, v254
	v_mov_b32_e32 v220, 0
	s_and_not1_b32 s0, s0, exec_lo
	s_and_b32 s2, vcc_lo, exec_lo
	s_delay_alu instid0(SALU_CYCLE_1)
	s_or_b32 s0, s0, s2
	s_or_b32 exec_lo, exec_lo, s1
	s_and_saveexec_b32 s1, s0
	s_cbranch_execnz .LBB10_170
	s_branch .LBB10_171
.LBB10_680:
	s_mov_b32 s1, -1
	s_mov_b32 s2, exec_lo
	v_cmpx_eq_u16_e64 0x80, v223
; %bb.681:
	s_xor_b32 s1, exec_lo, -1
; %bb.682:
	s_or_b32 exec_lo, exec_lo, s2
	s_delay_alu instid0(SALU_CYCLE_1)
	s_and_b32 s1, s1, exec_lo
	s_or_saveexec_b32 s0, s0
	v_mov_b32_e32 v222, 0x7f800001
	s_xor_b32 exec_lo, exec_lo, s0
	s_cbranch_execz .LBB10_173
.LBB10_683:
	v_cmp_ne_u16_e64 vcc_lo, 0, v223
	v_mov_b32_e32 v222, 0
	s_and_not1_b32 s1, s1, exec_lo
	s_and_b32 s2, vcc_lo, exec_lo
	s_delay_alu instid0(SALU_CYCLE_1)
	s_or_b32 s1, s1, s2
	s_or_b32 exec_lo, exec_lo, s0
	s_and_saveexec_b32 s0, s1
	s_cbranch_execnz .LBB10_174
	s_branch .LBB10_175
.LBB10_684:
	s_mov_b32 s0, -1
	s_mov_b32 s2, exec_lo
	v_cmpx_eq_u16_e64 0x80, v254
; %bb.685:
	s_xor_b32 s0, exec_lo, -1
; %bb.686:
	s_or_b32 exec_lo, exec_lo, s2
	s_delay_alu instid0(SALU_CYCLE_1)
	s_and_b32 s0, s0, exec_lo
                                        ; implicit-def: $vgpr254
	s_or_saveexec_b32 s1, s1
	v_mov_b32_e32 v223, 0x7f800001
	s_xor_b32 exec_lo, exec_lo, s1
	s_cbranch_execz .LBB10_177
.LBB10_687:
	v_cmp_ne_u16_e64 vcc_lo, 0, v254
	v_mov_b32_e32 v223, 0
	s_and_not1_b32 s0, s0, exec_lo
	s_and_b32 s2, vcc_lo, exec_lo
	s_delay_alu instid0(SALU_CYCLE_1)
	s_or_b32 s0, s0, s2
	s_or_b32 exec_lo, exec_lo, s1
	s_and_saveexec_b32 s1, s0
	s_cbranch_execnz .LBB10_178
	s_branch .LBB10_179
.LBB10_688:
	s_mov_b32 s0, -1
	s_mov_b32 s2, exec_lo
	v_cmpx_eq_u16_e64 0x80, v254
; %bb.689:
	s_xor_b32 s0, exec_lo, -1
; %bb.690:
	s_or_b32 exec_lo, exec_lo, s2
	s_delay_alu instid0(SALU_CYCLE_1)
	s_and_b32 s0, s0, exec_lo
                                        ; implicit-def: $vgpr254
	s_or_saveexec_b32 s1, s1
	v_mov_b32_e32 v151, 0x7f800001
	s_xor_b32 exec_lo, exec_lo, s1
	s_cbranch_execz .LBB10_181
.LBB10_691:
	v_cmp_ne_u16_e64 vcc_lo, 0, v254
	v_mov_b32_e32 v151, 0
	s_and_not1_b32 s0, s0, exec_lo
	s_and_b32 s2, vcc_lo, exec_lo
	s_delay_alu instid0(SALU_CYCLE_1)
	s_or_b32 s0, s0, s2
	s_or_b32 exec_lo, exec_lo, s1
	s_and_saveexec_b32 s1, s0
	s_cbranch_execnz .LBB10_182
	s_branch .LBB10_183
.LBB10_692:
	s_mov_b32 s0, -1
	s_mov_b32 s2, exec_lo
	v_cmpx_eq_u16_e64 0x80, v254
; %bb.693:
	s_xor_b32 s0, exec_lo, -1
; %bb.694:
	s_or_b32 exec_lo, exec_lo, s2
	s_delay_alu instid0(SALU_CYCLE_1)
	s_and_b32 s0, s0, exec_lo
                                        ; implicit-def: $vgpr254
	s_or_saveexec_b32 s1, s1
	v_mov_b32_e32 v226, 0x7f800001
	s_xor_b32 exec_lo, exec_lo, s1
	s_cbranch_execz .LBB10_185
.LBB10_695:
	v_cmp_ne_u16_e64 vcc_lo, 0, v254
	v_mov_b32_e32 v226, 0
	s_and_not1_b32 s0, s0, exec_lo
	s_and_b32 s2, vcc_lo, exec_lo
	s_delay_alu instid0(SALU_CYCLE_1)
	s_or_b32 s0, s0, s2
	s_or_b32 exec_lo, exec_lo, s1
	s_and_saveexec_b32 s1, s0
	s_cbranch_execnz .LBB10_186
	s_branch .LBB10_187
.LBB10_696:
	s_mov_b32 s1, -1
	s_mov_b32 s2, exec_lo
	v_cmpx_eq_u16_e64 0x80, v229
; %bb.697:
	s_xor_b32 s1, exec_lo, -1
; %bb.698:
	s_or_b32 exec_lo, exec_lo, s2
	s_delay_alu instid0(SALU_CYCLE_1)
	s_and_b32 s1, s1, exec_lo
	s_or_saveexec_b32 s0, s0
	v_mov_b32_e32 v228, 0x7f800001
	s_xor_b32 exec_lo, exec_lo, s0
	s_cbranch_execz .LBB10_189
.LBB10_699:
	v_cmp_ne_u16_e64 vcc_lo, 0, v229
	v_mov_b32_e32 v228, 0
	s_and_not1_b32 s1, s1, exec_lo
	s_and_b32 s2, vcc_lo, exec_lo
	s_delay_alu instid0(SALU_CYCLE_1)
	s_or_b32 s1, s1, s2
	s_or_b32 exec_lo, exec_lo, s0
	s_and_saveexec_b32 s0, s1
	s_cbranch_execnz .LBB10_190
	s_branch .LBB10_191
.LBB10_700:
	s_mov_b32 s0, -1
	s_mov_b32 s2, exec_lo
	v_cmpx_eq_u16_e64 0x80, v254
; %bb.701:
	s_xor_b32 s0, exec_lo, -1
; %bb.702:
	s_or_b32 exec_lo, exec_lo, s2
	s_delay_alu instid0(SALU_CYCLE_1)
	s_and_b32 s0, s0, exec_lo
                                        ; implicit-def: $vgpr254
	s_or_saveexec_b32 s1, s1
	v_mov_b32_e32 v229, 0x7f800001
	s_xor_b32 exec_lo, exec_lo, s1
	s_cbranch_execz .LBB10_193
.LBB10_703:
	v_cmp_ne_u16_e64 vcc_lo, 0, v254
	v_mov_b32_e32 v229, 0
	s_and_not1_b32 s0, s0, exec_lo
	s_and_b32 s2, vcc_lo, exec_lo
	s_delay_alu instid0(SALU_CYCLE_1)
	s_or_b32 s0, s0, s2
	s_or_b32 exec_lo, exec_lo, s1
	s_and_saveexec_b32 s1, s0
	s_cbranch_execnz .LBB10_194
	s_branch .LBB10_195
.LBB10_704:
	s_mov_b32 s0, -1
	s_mov_b32 s2, exec_lo
	v_cmpx_eq_u16_e64 0x80, v254
; %bb.705:
	s_xor_b32 s0, exec_lo, -1
; %bb.706:
	s_or_b32 exec_lo, exec_lo, s2
	s_delay_alu instid0(SALU_CYCLE_1)
	s_and_b32 s0, s0, exec_lo
                                        ; implicit-def: $vgpr254
	s_or_saveexec_b32 s1, s1
	v_mov_b32_e32 v152, 0x7f800001
	s_xor_b32 exec_lo, exec_lo, s1
	s_cbranch_execz .LBB10_197
.LBB10_707:
	v_cmp_ne_u16_e64 vcc_lo, 0, v254
	v_mov_b32_e32 v152, 0
	s_and_not1_b32 s0, s0, exec_lo
	s_and_b32 s2, vcc_lo, exec_lo
	s_delay_alu instid0(SALU_CYCLE_1)
	s_or_b32 s0, s0, s2
	s_or_b32 exec_lo, exec_lo, s1
	s_and_saveexec_b32 s1, s0
	s_cbranch_execnz .LBB10_198
	s_branch .LBB10_199
.LBB10_708:
	s_mov_b32 s0, -1
	s_mov_b32 s2, exec_lo
	v_cmpx_eq_u16_e64 0x80, v254
; %bb.709:
	s_xor_b32 s0, exec_lo, -1
; %bb.710:
	s_or_b32 exec_lo, exec_lo, s2
	s_delay_alu instid0(SALU_CYCLE_1)
	s_and_b32 s0, s0, exec_lo
                                        ; implicit-def: $vgpr254
	s_or_saveexec_b32 s1, s1
	v_mov_b32_e32 v232, 0x7f800001
	s_xor_b32 exec_lo, exec_lo, s1
	s_cbranch_execz .LBB10_201
.LBB10_711:
	v_cmp_ne_u16_e64 vcc_lo, 0, v254
	v_mov_b32_e32 v232, 0
	s_and_not1_b32 s0, s0, exec_lo
	s_and_b32 s2, vcc_lo, exec_lo
	s_delay_alu instid0(SALU_CYCLE_1)
	s_or_b32 s0, s0, s2
	s_or_b32 exec_lo, exec_lo, s1
	s_and_saveexec_b32 s1, s0
	s_cbranch_execnz .LBB10_202
	s_branch .LBB10_203
.LBB10_712:
	s_mov_b32 s1, -1
	s_mov_b32 s2, exec_lo
	v_cmpx_eq_u16_e64 0x80, v236
; %bb.713:
	s_xor_b32 s1, exec_lo, -1
; %bb.714:
	s_or_b32 exec_lo, exec_lo, s2
	s_delay_alu instid0(SALU_CYCLE_1)
	s_and_b32 s1, s1, exec_lo
	s_or_saveexec_b32 s0, s0
	v_mov_b32_e32 v234, 0x7f800001
	s_xor_b32 exec_lo, exec_lo, s0
	s_cbranch_execz .LBB10_205
.LBB10_715:
	v_cmp_ne_u16_e64 vcc_lo, 0, v236
	v_mov_b32_e32 v234, 0
	s_and_not1_b32 s1, s1, exec_lo
	s_and_b32 s2, vcc_lo, exec_lo
	s_delay_alu instid0(SALU_CYCLE_1)
	s_or_b32 s1, s1, s2
	s_or_b32 exec_lo, exec_lo, s0
	s_and_saveexec_b32 s0, s1
	s_cbranch_execnz .LBB10_206
	s_branch .LBB10_207
.LBB10_716:
	s_mov_b32 s0, -1
	s_mov_b32 s2, exec_lo
	v_cmpx_eq_u16_e64 0x80, v254
; %bb.717:
	s_xor_b32 s0, exec_lo, -1
; %bb.718:
	s_or_b32 exec_lo, exec_lo, s2
	s_delay_alu instid0(SALU_CYCLE_1)
	s_and_b32 s0, s0, exec_lo
                                        ; implicit-def: $vgpr254
	s_or_saveexec_b32 s1, s1
	v_mov_b32_e32 v236, 0x7f800001
	s_xor_b32 exec_lo, exec_lo, s1
	s_cbranch_execz .LBB10_209
.LBB10_719:
	v_cmp_ne_u16_e64 vcc_lo, 0, v254
	v_mov_b32_e32 v236, 0
	s_and_not1_b32 s0, s0, exec_lo
	s_and_b32 s2, vcc_lo, exec_lo
	s_delay_alu instid0(SALU_CYCLE_1)
	s_or_b32 s0, s0, s2
	s_or_b32 exec_lo, exec_lo, s1
	s_and_saveexec_b32 s1, s0
	s_cbranch_execnz .LBB10_210
	s_branch .LBB10_211
.LBB10_720:
	s_mov_b32 s0, -1
	s_mov_b32 s2, exec_lo
	v_cmpx_eq_u16_e64 0x80, v254
; %bb.721:
	s_xor_b32 s0, exec_lo, -1
; %bb.722:
	s_or_b32 exec_lo, exec_lo, s2
	s_delay_alu instid0(SALU_CYCLE_1)
	s_and_b32 s0, s0, exec_lo
                                        ; implicit-def: $vgpr254
	s_or_saveexec_b32 s1, s1
	v_mov_b32_e32 v145, 0x7f800001
	s_xor_b32 exec_lo, exec_lo, s1
	s_cbranch_execz .LBB10_213
.LBB10_723:
	v_cmp_ne_u16_e64 vcc_lo, 0, v254
	v_mov_b32_e32 v145, 0
	s_and_not1_b32 s0, s0, exec_lo
	s_and_b32 s2, vcc_lo, exec_lo
	s_delay_alu instid0(SALU_CYCLE_1)
	s_or_b32 s0, s0, s2
	s_or_b32 exec_lo, exec_lo, s1
	s_and_saveexec_b32 s1, s0
	s_cbranch_execnz .LBB10_214
	s_branch .LBB10_215
.LBB10_724:
	s_mov_b32 s0, -1
	s_mov_b32 s2, exec_lo
	v_cmpx_eq_u16_e64 0x80, v254
; %bb.725:
	s_xor_b32 s0, exec_lo, -1
; %bb.726:
	s_or_b32 exec_lo, exec_lo, s2
	s_delay_alu instid0(SALU_CYCLE_1)
	s_and_b32 s0, s0, exec_lo
                                        ; implicit-def: $vgpr254
	s_or_saveexec_b32 s1, s1
	v_mov_b32_e32 v239, 0x7f800001
	s_xor_b32 exec_lo, exec_lo, s1
	s_cbranch_execz .LBB10_217
.LBB10_727:
	v_cmp_ne_u16_e64 vcc_lo, 0, v254
	v_mov_b32_e32 v239, 0
	s_and_not1_b32 s0, s0, exec_lo
	s_and_b32 s2, vcc_lo, exec_lo
	s_delay_alu instid0(SALU_CYCLE_1)
	s_or_b32 s0, s0, s2
	s_or_b32 exec_lo, exec_lo, s1
	s_and_saveexec_b32 s1, s0
	s_cbranch_execnz .LBB10_218
	s_branch .LBB10_219
.LBB10_728:
	s_mov_b32 s1, -1
	s_mov_b32 s2, exec_lo
	v_cmpx_eq_u16_e64 0x80, v242
; %bb.729:
	s_xor_b32 s1, exec_lo, -1
; %bb.730:
	s_or_b32 exec_lo, exec_lo, s2
	s_delay_alu instid0(SALU_CYCLE_1)
	s_and_b32 s1, s1, exec_lo
	s_or_saveexec_b32 s0, s0
	v_mov_b32_e32 v240, 0x7f800001
	s_xor_b32 exec_lo, exec_lo, s0
	s_cbranch_execz .LBB10_221
.LBB10_731:
	v_cmp_ne_u16_e64 vcc_lo, 0, v242
	v_mov_b32_e32 v240, 0
	s_and_not1_b32 s1, s1, exec_lo
	s_and_b32 s2, vcc_lo, exec_lo
	s_delay_alu instid0(SALU_CYCLE_1)
	s_or_b32 s1, s1, s2
	s_or_b32 exec_lo, exec_lo, s0
	s_and_saveexec_b32 s0, s1
	s_cbranch_execnz .LBB10_222
	s_branch .LBB10_223
.LBB10_732:
	s_mov_b32 s0, -1
	s_mov_b32 s2, exec_lo
	v_cmpx_eq_u16_e64 0x80, v254
; %bb.733:
	s_xor_b32 s0, exec_lo, -1
; %bb.734:
	s_or_b32 exec_lo, exec_lo, s2
	s_delay_alu instid0(SALU_CYCLE_1)
	s_and_b32 s0, s0, exec_lo
                                        ; implicit-def: $vgpr254
	s_or_saveexec_b32 s1, s1
	v_mov_b32_e32 v242, 0x7f800001
	s_xor_b32 exec_lo, exec_lo, s1
	s_cbranch_execz .LBB10_225
.LBB10_735:
	v_cmp_ne_u16_e64 vcc_lo, 0, v254
	v_mov_b32_e32 v242, 0
	s_and_not1_b32 s0, s0, exec_lo
	s_and_b32 s2, vcc_lo, exec_lo
	s_delay_alu instid0(SALU_CYCLE_1)
	s_or_b32 s0, s0, s2
	s_or_b32 exec_lo, exec_lo, s1
	s_and_saveexec_b32 s1, s0
	s_cbranch_execnz .LBB10_226
	s_branch .LBB10_227
.LBB10_736:
	s_mov_b32 s0, -1
	s_mov_b32 s2, exec_lo
	v_cmpx_eq_u16_e64 0x80, v254
; %bb.737:
	s_xor_b32 s0, exec_lo, -1
; %bb.738:
	s_or_b32 exec_lo, exec_lo, s2
	s_delay_alu instid0(SALU_CYCLE_1)
	s_and_b32 s0, s0, exec_lo
                                        ; implicit-def: $vgpr254
	s_or_saveexec_b32 s1, s1
	v_mov_b32_e32 v146, 0x7f800001
	s_xor_b32 exec_lo, exec_lo, s1
	s_cbranch_execz .LBB10_229
.LBB10_739:
	v_cmp_ne_u16_e64 vcc_lo, 0, v254
	v_mov_b32_e32 v146, 0
	s_and_not1_b32 s0, s0, exec_lo
	s_and_b32 s2, vcc_lo, exec_lo
	s_delay_alu instid0(SALU_CYCLE_1)
	s_or_b32 s0, s0, s2
	s_or_b32 exec_lo, exec_lo, s1
	s_and_saveexec_b32 s1, s0
	s_cbranch_execnz .LBB10_230
	s_branch .LBB10_231
.LBB10_740:
	s_mov_b32 s0, -1
	s_mov_b32 s2, exec_lo
	v_cmpx_eq_u16_e64 0x80, v254
; %bb.741:
	s_xor_b32 s0, exec_lo, -1
; %bb.742:
	s_or_b32 exec_lo, exec_lo, s2
	s_delay_alu instid0(SALU_CYCLE_1)
	s_and_b32 s0, s0, exec_lo
                                        ; implicit-def: $vgpr254
	s_or_saveexec_b32 s1, s1
	v_mov_b32_e32 v245, 0x7f800001
	s_xor_b32 exec_lo, exec_lo, s1
	s_cbranch_execz .LBB10_233
.LBB10_743:
	v_cmp_ne_u16_e64 vcc_lo, 0, v254
	v_mov_b32_e32 v245, 0
	s_and_not1_b32 s0, s0, exec_lo
	s_and_b32 s2, vcc_lo, exec_lo
	s_delay_alu instid0(SALU_CYCLE_1)
	s_or_b32 s0, s0, s2
	s_or_b32 exec_lo, exec_lo, s1
	s_and_saveexec_b32 s1, s0
	s_cbranch_execnz .LBB10_234
	s_branch .LBB10_235
.LBB10_744:
	s_mov_b32 s1, -1
	s_mov_b32 s2, exec_lo
	v_cmpx_eq_u16_e64 0x80, v248
; %bb.745:
	s_xor_b32 s1, exec_lo, -1
; %bb.746:
	s_or_b32 exec_lo, exec_lo, s2
	s_delay_alu instid0(SALU_CYCLE_1)
	s_and_b32 s1, s1, exec_lo
	s_or_saveexec_b32 s0, s0
	v_mov_b32_e32 v246, 0x7f800001
	s_xor_b32 exec_lo, exec_lo, s0
	s_cbranch_execz .LBB10_237
.LBB10_747:
	v_cmp_ne_u16_e64 vcc_lo, 0, v248
	v_mov_b32_e32 v246, 0
	s_and_not1_b32 s1, s1, exec_lo
	s_and_b32 s2, vcc_lo, exec_lo
	s_delay_alu instid0(SALU_CYCLE_1)
	s_or_b32 s1, s1, s2
	s_or_b32 exec_lo, exec_lo, s0
	s_and_saveexec_b32 s0, s1
	s_cbranch_execnz .LBB10_238
	s_branch .LBB10_239
.LBB10_748:
	s_mov_b32 s0, -1
	s_mov_b32 s2, exec_lo
	v_cmpx_eq_u16_e64 0x80, v254
; %bb.749:
	s_xor_b32 s0, exec_lo, -1
; %bb.750:
	s_or_b32 exec_lo, exec_lo, s2
	s_delay_alu instid0(SALU_CYCLE_1)
	s_and_b32 s0, s0, exec_lo
                                        ; implicit-def: $vgpr254
	s_or_saveexec_b32 s1, s1
	v_mov_b32_e32 v248, 0x7f800001
	s_xor_b32 exec_lo, exec_lo, s1
	s_cbranch_execz .LBB10_241
.LBB10_751:
	v_cmp_ne_u16_e64 vcc_lo, 0, v254
	v_mov_b32_e32 v248, 0
	s_and_not1_b32 s0, s0, exec_lo
	s_and_b32 s2, vcc_lo, exec_lo
	s_delay_alu instid0(SALU_CYCLE_1)
	s_or_b32 s0, s0, s2
	s_or_b32 exec_lo, exec_lo, s1
	s_and_saveexec_b32 s1, s0
	s_cbranch_execnz .LBB10_242
	s_branch .LBB10_243
.LBB10_752:
	s_mov_b32 s0, -1
	s_mov_b32 s2, exec_lo
	v_cmpx_eq_u16_e64 0x80, v254
; %bb.753:
	s_xor_b32 s0, exec_lo, -1
; %bb.754:
	s_or_b32 exec_lo, exec_lo, s2
	s_delay_alu instid0(SALU_CYCLE_1)
	s_and_b32 s0, s0, exec_lo
                                        ; implicit-def: $vgpr254
	s_or_saveexec_b32 s1, s1
	v_mov_b32_e32 v147, 0x7f800001
	s_xor_b32 exec_lo, exec_lo, s1
	s_cbranch_execz .LBB10_245
.LBB10_755:
	v_cmp_ne_u16_e64 vcc_lo, 0, v254
	v_mov_b32_e32 v147, 0
	s_and_not1_b32 s0, s0, exec_lo
	s_and_b32 s2, vcc_lo, exec_lo
	s_delay_alu instid0(SALU_CYCLE_1)
	s_or_b32 s0, s0, s2
	s_or_b32 exec_lo, exec_lo, s1
	s_and_saveexec_b32 s1, s0
	s_cbranch_execnz .LBB10_246
	s_branch .LBB10_247
.LBB10_756:
	s_mov_b32 s0, -1
	s_mov_b32 s2, exec_lo
	v_cmpx_eq_u16_e64 0x80, v254
; %bb.757:
	s_xor_b32 s0, exec_lo, -1
; %bb.758:
	s_or_b32 exec_lo, exec_lo, s2
	s_delay_alu instid0(SALU_CYCLE_1)
	s_and_b32 s0, s0, exec_lo
                                        ; implicit-def: $vgpr254
	s_or_saveexec_b32 s1, s1
	v_mov_b32_e32 v251, 0x7f800001
	s_xor_b32 exec_lo, exec_lo, s1
	s_cbranch_execz .LBB10_249
.LBB10_759:
	v_cmp_ne_u16_e64 vcc_lo, 0, v254
	v_mov_b32_e32 v251, 0
	s_and_not1_b32 s0, s0, exec_lo
	s_and_b32 s2, vcc_lo, exec_lo
	s_delay_alu instid0(SALU_CYCLE_1)
	s_or_b32 s0, s0, s2
	s_or_b32 exec_lo, exec_lo, s1
	s_and_saveexec_b32 s1, s0
	s_cbranch_execnz .LBB10_250
	s_branch .LBB10_251
.LBB10_760:
	s_mov_b32 s1, -1
	s_mov_b32 s2, exec_lo
	v_cmpx_eq_u16_e32 0x80, v4
; %bb.761:
	s_xor_b32 s1, exec_lo, -1
; %bb.762:
	s_or_b32 exec_lo, exec_lo, s2
	s_delay_alu instid0(SALU_CYCLE_1)
	s_and_b32 s1, s1, exec_lo
	s_or_saveexec_b32 s0, s0
	v_mov_b32_e32 v252, 0x7f800001
	s_xor_b32 exec_lo, exec_lo, s0
	s_cbranch_execz .LBB10_253
.LBB10_763:
	v_cmp_ne_u16_e32 vcc_lo, 0, v4
	v_mov_b32_e32 v252, 0
	s_and_not1_b32 s1, s1, exec_lo
	s_and_b32 s2, vcc_lo, exec_lo
	s_delay_alu instid0(SALU_CYCLE_1)
	s_or_b32 s1, s1, s2
	s_or_b32 exec_lo, exec_lo, s0
	s_and_saveexec_b32 s0, s1
	s_cbranch_execnz .LBB10_254
	s_branch .LBB10_255
.LBB10_764:
	s_mov_b32 s0, -1
	s_mov_b32 s2, exec_lo
	v_cmpx_eq_u16_e32 0x80, v4
; %bb.765:
	s_xor_b32 s0, exec_lo, -1
; %bb.766:
	s_or_b32 exec_lo, exec_lo, s2
	s_delay_alu instid0(SALU_CYCLE_1)
	s_and_b32 s0, s0, exec_lo
                                        ; implicit-def: $vgpr4
	s_or_saveexec_b32 s1, s1
	v_mov_b32_e32 v254, 0x7f800001
	s_xor_b32 exec_lo, exec_lo, s1
	s_cbranch_execz .LBB10_257
.LBB10_767:
	v_cmp_ne_u16_e32 vcc_lo, 0, v4
	v_mov_b32_e32 v254, 0
	s_and_not1_b32 s0, s0, exec_lo
	s_and_b32 s2, vcc_lo, exec_lo
	s_delay_alu instid0(SALU_CYCLE_1)
	s_or_b32 s0, s0, s2
	s_or_b32 exec_lo, exec_lo, s1
	s_and_saveexec_b32 s1, s0
	s_cbranch_execnz .LBB10_258
	s_branch .LBB10_259
.LBB10_768:
	s_mov_b32 s0, -1
	s_mov_b32 s2, exec_lo
	v_cmpx_eq_u16_e32 0x80, v4
; %bb.769:
	s_xor_b32 s0, exec_lo, -1
; %bb.770:
	s_or_b32 exec_lo, exec_lo, s2
	s_delay_alu instid0(SALU_CYCLE_1)
	s_and_b32 s0, s0, exec_lo
                                        ; implicit-def: $vgpr4
	s_or_saveexec_b32 s1, s1
	v_mov_b32_e32 v148, 0x7f800001
	s_xor_b32 exec_lo, exec_lo, s1
	s_cbranch_execz .LBB10_261
.LBB10_771:
	v_cmp_ne_u16_e32 vcc_lo, 0, v4
	v_mov_b32_e32 v148, 0
	s_and_not1_b32 s0, s0, exec_lo
	s_and_b32 s2, vcc_lo, exec_lo
	s_delay_alu instid0(SALU_CYCLE_1)
	s_or_b32 s0, s0, s2
	s_or_b32 exec_lo, exec_lo, s1
	s_and_saveexec_b32 s1, s0
	s_cbranch_execnz .LBB10_262
	s_branch .LBB10_263
.LBB10_772:
	s_mov_b32 s0, -1
	s_mov_b32 s2, exec_lo
	v_cmpx_eq_u16_e32 0x80, v4
; %bb.773:
	s_xor_b32 s0, exec_lo, -1
; %bb.774:
	s_or_b32 exec_lo, exec_lo, s2
	s_delay_alu instid0(SALU_CYCLE_1)
	s_and_b32 s0, s0, exec_lo
                                        ; implicit-def: $vgpr4
	s_or_saveexec_b32 s1, s1
	v_mov_b32_e32 v1, 0x7f800001
	s_xor_b32 exec_lo, exec_lo, s1
	s_cbranch_execz .LBB10_265
.LBB10_775:
	v_cmp_ne_u16_e32 vcc_lo, 0, v4
	v_mov_b32_e32 v1, 0
	s_and_not1_b32 s0, s0, exec_lo
	s_and_b32 s2, vcc_lo, exec_lo
	s_delay_alu instid0(SALU_CYCLE_1)
	s_or_b32 s0, s0, s2
	s_or_b32 exec_lo, exec_lo, s1
	s_and_saveexec_b32 s1, s0
	s_cbranch_execnz .LBB10_266
	s_branch .LBB10_267
.LBB10_776:
	s_mov_b32 s1, -1
	s_mov_b32 s2, exec_lo
	v_cmpx_eq_u16_e32 0x80, v3
; %bb.777:
	s_xor_b32 s1, exec_lo, -1
; %bb.778:
	s_or_b32 exec_lo, exec_lo, s2
	s_delay_alu instid0(SALU_CYCLE_1)
	s_and_b32 s1, s1, exec_lo
	s_or_saveexec_b32 s0, s0
	v_mov_b32_e32 v2, 0x7f800001
	s_xor_b32 exec_lo, exec_lo, s0
	s_cbranch_execz .LBB10_269
.LBB10_779:
	v_cmp_ne_u16_e32 vcc_lo, 0, v3
	v_mov_b32_e32 v2, 0
	s_and_not1_b32 s1, s1, exec_lo
	s_and_b32 s2, vcc_lo, exec_lo
	s_delay_alu instid0(SALU_CYCLE_1)
	s_or_b32 s1, s1, s2
	s_or_b32 exec_lo, exec_lo, s0
	s_and_saveexec_b32 s0, s1
	s_cbranch_execnz .LBB10_270
	s_branch .LBB10_271
.LBB10_780:
	s_mov_b32 s0, -1
	s_mov_b32 s2, exec_lo
	v_cmpx_eq_u16_e32 0x80, v4
; %bb.781:
	s_xor_b32 s0, exec_lo, -1
; %bb.782:
	s_or_b32 exec_lo, exec_lo, s2
	s_delay_alu instid0(SALU_CYCLE_1)
	s_and_b32 s0, s0, exec_lo
                                        ; implicit-def: $vgpr4
	s_or_saveexec_b32 s1, s1
	v_mov_b32_e32 v3, 0x7f800001
	s_xor_b32 exec_lo, exec_lo, s1
	s_cbranch_execz .LBB10_273
.LBB10_783:
	v_cmp_ne_u16_e32 vcc_lo, 0, v4
	v_mov_b32_e32 v3, 0
	s_and_not1_b32 s0, s0, exec_lo
	s_and_b32 s2, vcc_lo, exec_lo
	s_delay_alu instid0(SALU_CYCLE_1)
	s_or_b32 s0, s0, s2
	s_or_b32 exec_lo, exec_lo, s1
	s_and_saveexec_b32 s1, s0
	s_cbranch_execnz .LBB10_274
	s_branch .LBB10_275
.LBB10_784:
	s_mov_b32 s0, -1
	s_mov_b32 s2, exec_lo
	v_cmpx_eq_u16_e64 0x80, v141
; %bb.785:
	s_xor_b32 s0, exec_lo, -1
; %bb.786:
	s_or_b32 exec_lo, exec_lo, s2
	s_delay_alu instid0(SALU_CYCLE_1)
	s_and_b32 s0, s0, exec_lo
                                        ; implicit-def: $vgpr141
	s_or_saveexec_b32 s1, s1
	v_mov_b32_e32 v4, 0x7f800001
	s_xor_b32 exec_lo, exec_lo, s1
	s_cbranch_execz .LBB10_277
.LBB10_787:
	v_cmp_ne_u16_e64 vcc_lo, 0, v141
	v_mov_b32_e32 v4, 0
	s_and_not1_b32 s0, s0, exec_lo
	s_and_b32 s2, vcc_lo, exec_lo
	s_delay_alu instid0(SALU_CYCLE_1)
	s_or_b32 s0, s0, s2
	s_or_b32 exec_lo, exec_lo, s1
	s_and_saveexec_b32 s1, s0
	s_cbranch_execnz .LBB10_278
	s_branch .LBB10_279
.LBB10_788:
	s_mov_b32 s0, -1
	s_mov_b32 s2, exec_lo
	v_cmpx_eq_u16_e64 0x80, v162
; %bb.789:
	s_xor_b32 s0, exec_lo, -1
; %bb.790:
	s_or_b32 exec_lo, exec_lo, s2
	s_delay_alu instid0(SALU_CYCLE_1)
	s_and_b32 s0, s0, exec_lo
                                        ; implicit-def: $vgpr162
	s_or_saveexec_b32 s1, s1
	v_mov_b32_e32 v141, 0x7f800001
	s_xor_b32 exec_lo, exec_lo, s1
	s_cbranch_execz .LBB10_281
.LBB10_791:
	v_cmp_ne_u16_e64 vcc_lo, 0, v162
	v_mov_b32_e32 v141, 0
	s_and_not1_b32 s0, s0, exec_lo
	s_and_b32 s2, vcc_lo, exec_lo
	s_delay_alu instid0(SALU_CYCLE_1)
	s_or_b32 s0, s0, s2
	s_or_b32 exec_lo, exec_lo, s1
	s_and_saveexec_b32 s1, s0
	s_cbranch_execnz .LBB10_282
	s_branch .LBB10_283
.LBB10_792:
	s_mov_b32 s1, -1
	s_mov_b32 s2, exec_lo
	v_cmpx_eq_u16_e64 0x80, v253
; %bb.793:
	s_xor_b32 s1, exec_lo, -1
; %bb.794:
	s_or_b32 exec_lo, exec_lo, s2
	s_delay_alu instid0(SALU_CYCLE_1)
	s_and_b32 s1, s1, exec_lo
	s_or_saveexec_b32 s0, s0
	v_mov_b32_e32 v162, 0x7f800001
	s_xor_b32 exec_lo, exec_lo, s0
	s_cbranch_execz .LBB10_285
.LBB10_795:
	v_cmp_ne_u16_e64 vcc_lo, 0, v253
	v_mov_b32_e32 v162, 0
	s_and_not1_b32 s1, s1, exec_lo
	s_and_b32 s2, vcc_lo, exec_lo
	s_delay_alu instid0(SALU_CYCLE_1)
	s_or_b32 s1, s1, s2
	s_or_b32 exec_lo, exec_lo, s0
	s_and_saveexec_b32 s0, s1
	s_cbranch_execnz .LBB10_286
	s_branch .LBB10_287
.LBB10_796:
	s_mov_b32 s0, -1
	s_mov_b32 s2, exec_lo
	v_cmpx_eq_u16_e64 0x80, v255
; %bb.797:
	s_xor_b32 s0, exec_lo, -1
; %bb.798:
	s_or_b32 exec_lo, exec_lo, s2
	s_delay_alu instid0(SALU_CYCLE_1)
	s_and_b32 s0, s0, exec_lo
                                        ; implicit-def: $vgpr255
	s_or_saveexec_b32 s1, s1
	v_mov_b32_e32 v253, 0x7f800001
	s_xor_b32 exec_lo, exec_lo, s1
	s_cbranch_execz .LBB10_289
.LBB10_799:
	v_cmp_ne_u16_e64 vcc_lo, 0, v255
	v_mov_b32_e32 v253, 0
	s_and_not1_b32 s0, s0, exec_lo
	s_and_b32 s2, vcc_lo, exec_lo
	s_delay_alu instid0(SALU_CYCLE_1)
	s_or_b32 s0, s0, s2
	s_or_b32 exec_lo, exec_lo, s1
	s_and_saveexec_b32 s1, s0
	s_cbranch_execnz .LBB10_290
	s_branch .LBB10_291
.LBB10_800:
	s_mov_b32 s0, -1
	s_mov_b32 s2, exec_lo
	v_cmpx_eq_u16_e64 0x80, v255
; %bb.801:
	s_xor_b32 s0, exec_lo, -1
; %bb.802:
	s_or_b32 exec_lo, exec_lo, s2
	s_delay_alu instid0(SALU_CYCLE_1)
	s_and_b32 s0, s0, exec_lo
                                        ; implicit-def: $vgpr255
	s_or_saveexec_b32 s1, s1
	v_mov_b32_e32 v142, 0x7f800001
	s_xor_b32 exec_lo, exec_lo, s1
	s_cbranch_execz .LBB10_293
.LBB10_803:
	v_cmp_ne_u16_e64 vcc_lo, 0, v255
	v_mov_b32_e32 v142, 0
	s_and_not1_b32 s0, s0, exec_lo
	s_and_b32 s2, vcc_lo, exec_lo
	s_delay_alu instid0(SALU_CYCLE_1)
	s_or_b32 s0, s0, s2
	s_or_b32 exec_lo, exec_lo, s1
	s_and_saveexec_b32 s1, s0
	s_cbranch_execnz .LBB10_294
	s_branch .LBB10_295
.LBB10_804:
	s_mov_b32 s0, -1
	s_mov_b32 s2, exec_lo
	v_cmpx_eq_u16_e64 0x80, v255
; %bb.805:
	s_xor_b32 s0, exec_lo, -1
; %bb.806:
	s_or_b32 exec_lo, exec_lo, s2
	s_delay_alu instid0(SALU_CYCLE_1)
	s_and_b32 s0, s0, exec_lo
                                        ; implicit-def: $vgpr255
	s_or_saveexec_b32 s1, s1
	v_mov_b32_e32 v250, 0x7f800001
	s_xor_b32 exec_lo, exec_lo, s1
	s_cbranch_execz .LBB10_297
.LBB10_807:
	v_cmp_ne_u16_e64 vcc_lo, 0, v255
	v_mov_b32_e32 v250, 0
	s_and_not1_b32 s0, s0, exec_lo
	s_and_b32 s2, vcc_lo, exec_lo
	s_delay_alu instid0(SALU_CYCLE_1)
	s_or_b32 s0, s0, s2
	s_or_b32 exec_lo, exec_lo, s1
	s_and_saveexec_b32 s1, s0
	s_cbranch_execnz .LBB10_298
	s_branch .LBB10_299
.LBB10_808:
	s_mov_b32 s1, -1
	s_mov_b32 s2, exec_lo
	v_cmpx_eq_u16_e64 0x80, v247
; %bb.809:
	s_xor_b32 s1, exec_lo, -1
; %bb.810:
	s_or_b32 exec_lo, exec_lo, s2
	s_delay_alu instid0(SALU_CYCLE_1)
	s_and_b32 s1, s1, exec_lo
	s_or_saveexec_b32 s0, s0
	v_mov_b32_e32 v249, 0x7f800001
	s_xor_b32 exec_lo, exec_lo, s0
	s_cbranch_execz .LBB10_301
.LBB10_811:
	v_cmp_ne_u16_e64 vcc_lo, 0, v247
	v_mov_b32_e32 v249, 0
	s_and_not1_b32 s1, s1, exec_lo
	s_and_b32 s2, vcc_lo, exec_lo
	s_delay_alu instid0(SALU_CYCLE_1)
	s_or_b32 s1, s1, s2
	s_or_b32 exec_lo, exec_lo, s0
	s_and_saveexec_b32 s0, s1
	s_cbranch_execnz .LBB10_302
	s_branch .LBB10_303
.LBB10_812:
	s_mov_b32 s0, -1
	s_mov_b32 s2, exec_lo
	v_cmpx_eq_u16_e64 0x80, v255
; %bb.813:
	s_xor_b32 s0, exec_lo, -1
; %bb.814:
	s_or_b32 exec_lo, exec_lo, s2
	s_delay_alu instid0(SALU_CYCLE_1)
	s_and_b32 s0, s0, exec_lo
                                        ; implicit-def: $vgpr255
	s_or_saveexec_b32 s1, s1
	v_mov_b32_e32 v247, 0x7f800001
	s_xor_b32 exec_lo, exec_lo, s1
	s_cbranch_execz .LBB10_305
.LBB10_815:
	v_cmp_ne_u16_e64 vcc_lo, 0, v255
	v_mov_b32_e32 v247, 0
	s_and_not1_b32 s0, s0, exec_lo
	s_and_b32 s2, vcc_lo, exec_lo
	s_delay_alu instid0(SALU_CYCLE_1)
	s_or_b32 s0, s0, s2
	s_or_b32 exec_lo, exec_lo, s1
	s_and_saveexec_b32 s1, s0
	s_cbranch_execnz .LBB10_306
	s_branch .LBB10_307
.LBB10_816:
	s_mov_b32 s0, -1
	s_mov_b32 s2, exec_lo
	v_cmpx_eq_u16_e64 0x80, v255
; %bb.817:
	s_xor_b32 s0, exec_lo, -1
; %bb.818:
	s_or_b32 exec_lo, exec_lo, s2
	s_delay_alu instid0(SALU_CYCLE_1)
	s_and_b32 s0, s0, exec_lo
                                        ; implicit-def: $vgpr255
	s_or_saveexec_b32 s1, s1
	v_mov_b32_e32 v143, 0x7f800001
	s_xor_b32 exec_lo, exec_lo, s1
	s_cbranch_execz .LBB10_309
.LBB10_819:
	v_cmp_ne_u16_e64 vcc_lo, 0, v255
	v_mov_b32_e32 v143, 0
	s_and_not1_b32 s0, s0, exec_lo
	s_and_b32 s2, vcc_lo, exec_lo
	s_delay_alu instid0(SALU_CYCLE_1)
	s_or_b32 s0, s0, s2
	s_or_b32 exec_lo, exec_lo, s1
	s_and_saveexec_b32 s1, s0
	s_cbranch_execnz .LBB10_310
	s_branch .LBB10_311
.LBB10_820:
	s_mov_b32 s0, -1
	s_mov_b32 s2, exec_lo
	v_cmpx_eq_u16_e64 0x80, v255
; %bb.821:
	s_xor_b32 s0, exec_lo, -1
; %bb.822:
	s_or_b32 exec_lo, exec_lo, s2
	s_delay_alu instid0(SALU_CYCLE_1)
	s_and_b32 s0, s0, exec_lo
                                        ; implicit-def: $vgpr255
	s_or_saveexec_b32 s1, s1
	v_mov_b32_e32 v244, 0x7f800001
	s_xor_b32 exec_lo, exec_lo, s1
	s_cbranch_execz .LBB10_313
.LBB10_823:
	v_cmp_ne_u16_e64 vcc_lo, 0, v255
	v_mov_b32_e32 v244, 0
	s_and_not1_b32 s0, s0, exec_lo
	s_and_b32 s2, vcc_lo, exec_lo
	s_delay_alu instid0(SALU_CYCLE_1)
	s_or_b32 s0, s0, s2
	s_or_b32 exec_lo, exec_lo, s1
	s_and_saveexec_b32 s1, s0
	s_cbranch_execnz .LBB10_314
	s_branch .LBB10_315
.LBB10_824:
	s_mov_b32 s1, -1
	s_mov_b32 s2, exec_lo
	v_cmpx_eq_u16_e64 0x80, v241
; %bb.825:
	s_xor_b32 s1, exec_lo, -1
; %bb.826:
	s_or_b32 exec_lo, exec_lo, s2
	s_delay_alu instid0(SALU_CYCLE_1)
	s_and_b32 s1, s1, exec_lo
	s_or_saveexec_b32 s0, s0
	v_mov_b32_e32 v243, 0x7f800001
	s_xor_b32 exec_lo, exec_lo, s0
	s_cbranch_execz .LBB10_317
.LBB10_827:
	v_cmp_ne_u16_e64 vcc_lo, 0, v241
	v_mov_b32_e32 v243, 0
	s_and_not1_b32 s1, s1, exec_lo
	s_and_b32 s2, vcc_lo, exec_lo
	s_delay_alu instid0(SALU_CYCLE_1)
	s_or_b32 s1, s1, s2
	s_or_b32 exec_lo, exec_lo, s0
	s_and_saveexec_b32 s0, s1
	s_cbranch_execnz .LBB10_318
	s_branch .LBB10_319
.LBB10_828:
	s_mov_b32 s0, -1
	s_mov_b32 s2, exec_lo
	v_cmpx_eq_u16_e64 0x80, v255
; %bb.829:
	s_xor_b32 s0, exec_lo, -1
; %bb.830:
	s_or_b32 exec_lo, exec_lo, s2
	s_delay_alu instid0(SALU_CYCLE_1)
	s_and_b32 s0, s0, exec_lo
                                        ; implicit-def: $vgpr255
	s_or_saveexec_b32 s1, s1
	v_mov_b32_e32 v241, 0x7f800001
	s_xor_b32 exec_lo, exec_lo, s1
	s_cbranch_execz .LBB10_321
.LBB10_831:
	v_cmp_ne_u16_e64 vcc_lo, 0, v255
	v_mov_b32_e32 v241, 0
	s_and_not1_b32 s0, s0, exec_lo
	s_and_b32 s2, vcc_lo, exec_lo
	s_delay_alu instid0(SALU_CYCLE_1)
	s_or_b32 s0, s0, s2
	s_or_b32 exec_lo, exec_lo, s1
	s_and_saveexec_b32 s1, s0
	s_cbranch_execnz .LBB10_322
	s_branch .LBB10_323
.LBB10_832:
	s_mov_b32 s0, -1
	s_mov_b32 s2, exec_lo
	v_cmpx_eq_u16_e64 0x80, v255
; %bb.833:
	s_xor_b32 s0, exec_lo, -1
; %bb.834:
	s_or_b32 exec_lo, exec_lo, s2
	s_delay_alu instid0(SALU_CYCLE_1)
	s_and_b32 s0, s0, exec_lo
                                        ; implicit-def: $vgpr255
	s_or_saveexec_b32 s1, s1
	v_mov_b32_e32 v144, 0x7f800001
	s_xor_b32 exec_lo, exec_lo, s1
	s_cbranch_execz .LBB10_325
.LBB10_835:
	v_cmp_ne_u16_e64 vcc_lo, 0, v255
	v_mov_b32_e32 v144, 0
	s_and_not1_b32 s0, s0, exec_lo
	s_and_b32 s2, vcc_lo, exec_lo
	s_delay_alu instid0(SALU_CYCLE_1)
	s_or_b32 s0, s0, s2
	s_or_b32 exec_lo, exec_lo, s1
	s_and_saveexec_b32 s1, s0
	s_cbranch_execnz .LBB10_326
	s_branch .LBB10_327
.LBB10_836:
	s_mov_b32 s0, -1
	s_mov_b32 s2, exec_lo
	v_cmpx_eq_u16_e64 0x80, v255
; %bb.837:
	s_xor_b32 s0, exec_lo, -1
; %bb.838:
	s_or_b32 exec_lo, exec_lo, s2
	s_delay_alu instid0(SALU_CYCLE_1)
	s_and_b32 s0, s0, exec_lo
                                        ; implicit-def: $vgpr255
	s_or_saveexec_b32 s1, s1
	v_mov_b32_e32 v238, 0x7f800001
	s_xor_b32 exec_lo, exec_lo, s1
	s_cbranch_execz .LBB10_329
.LBB10_839:
	v_cmp_ne_u16_e64 vcc_lo, 0, v255
	v_mov_b32_e32 v238, 0
	s_and_not1_b32 s0, s0, exec_lo
	s_and_b32 s2, vcc_lo, exec_lo
	s_delay_alu instid0(SALU_CYCLE_1)
	s_or_b32 s0, s0, s2
	s_or_b32 exec_lo, exec_lo, s1
	s_and_saveexec_b32 s1, s0
	s_cbranch_execnz .LBB10_330
	s_branch .LBB10_331
.LBB10_840:
	s_mov_b32 s1, -1
	s_mov_b32 s2, exec_lo
	v_cmpx_eq_u16_e64 0x80, v235
; %bb.841:
	s_xor_b32 s1, exec_lo, -1
; %bb.842:
	s_or_b32 exec_lo, exec_lo, s2
	s_delay_alu instid0(SALU_CYCLE_1)
	s_and_b32 s1, s1, exec_lo
	s_or_saveexec_b32 s0, s0
	v_mov_b32_e32 v237, 0x7f800001
	s_xor_b32 exec_lo, exec_lo, s0
	s_cbranch_execz .LBB10_333
.LBB10_843:
	v_cmp_ne_u16_e64 vcc_lo, 0, v235
	v_mov_b32_e32 v237, 0
	s_and_not1_b32 s1, s1, exec_lo
	s_and_b32 s2, vcc_lo, exec_lo
	s_delay_alu instid0(SALU_CYCLE_1)
	s_or_b32 s1, s1, s2
	s_or_b32 exec_lo, exec_lo, s0
	s_and_saveexec_b32 s0, s1
	s_cbranch_execnz .LBB10_334
	s_branch .LBB10_335
.LBB10_844:
	s_mov_b32 s0, -1
	s_mov_b32 s2, exec_lo
	v_cmpx_eq_u16_e64 0x80, v255
; %bb.845:
	s_xor_b32 s0, exec_lo, -1
; %bb.846:
	s_or_b32 exec_lo, exec_lo, s2
	s_delay_alu instid0(SALU_CYCLE_1)
	s_and_b32 s0, s0, exec_lo
                                        ; implicit-def: $vgpr255
	s_or_saveexec_b32 s1, s1
	v_mov_b32_e32 v235, 0x7f800001
	s_xor_b32 exec_lo, exec_lo, s1
	s_cbranch_execz .LBB10_337
.LBB10_847:
	v_cmp_ne_u16_e64 vcc_lo, 0, v255
	v_mov_b32_e32 v235, 0
	s_and_not1_b32 s0, s0, exec_lo
	s_and_b32 s2, vcc_lo, exec_lo
	s_delay_alu instid0(SALU_CYCLE_1)
	s_or_b32 s0, s0, s2
	s_or_b32 exec_lo, exec_lo, s1
	s_and_saveexec_b32 s1, s0
	s_cbranch_execnz .LBB10_338
	s_branch .LBB10_339
.LBB10_848:
	s_mov_b32 s0, -1
	s_mov_b32 s2, exec_lo
	v_cmpx_eq_u16_e64 0x80, v255
; %bb.849:
	s_xor_b32 s0, exec_lo, -1
; %bb.850:
	s_or_b32 exec_lo, exec_lo, s2
	s_delay_alu instid0(SALU_CYCLE_1)
	s_and_b32 s0, s0, exec_lo
                                        ; implicit-def: $vgpr255
	s_or_saveexec_b32 s1, s1
	v_mov_b32_e32 v137, 0x7f800001
	s_xor_b32 exec_lo, exec_lo, s1
	s_cbranch_execz .LBB10_341
.LBB10_851:
	v_cmp_ne_u16_e64 vcc_lo, 0, v255
	v_mov_b32_e32 v137, 0
	s_and_not1_b32 s0, s0, exec_lo
	s_and_b32 s2, vcc_lo, exec_lo
	s_delay_alu instid0(SALU_CYCLE_1)
	s_or_b32 s0, s0, s2
	s_or_b32 exec_lo, exec_lo, s1
	s_and_saveexec_b32 s1, s0
	s_cbranch_execnz .LBB10_342
	s_branch .LBB10_343
.LBB10_852:
	s_mov_b32 s0, -1
	s_mov_b32 s2, exec_lo
	v_cmpx_eq_u16_e64 0x80, v255
; %bb.853:
	s_xor_b32 s0, exec_lo, -1
; %bb.854:
	s_or_b32 exec_lo, exec_lo, s2
	s_delay_alu instid0(SALU_CYCLE_1)
	s_and_b32 s0, s0, exec_lo
                                        ; implicit-def: $vgpr255
	s_or_saveexec_b32 s1, s1
	v_mov_b32_e32 v233, 0x7f800001
	s_xor_b32 exec_lo, exec_lo, s1
	s_cbranch_execz .LBB10_345
.LBB10_855:
	v_cmp_ne_u16_e64 vcc_lo, 0, v255
	v_mov_b32_e32 v233, 0
	s_and_not1_b32 s0, s0, exec_lo
	s_and_b32 s2, vcc_lo, exec_lo
	s_delay_alu instid0(SALU_CYCLE_1)
	s_or_b32 s0, s0, s2
	s_or_b32 exec_lo, exec_lo, s1
	s_and_saveexec_b32 s1, s0
	s_cbranch_execnz .LBB10_346
	s_branch .LBB10_347
.LBB10_856:
	s_mov_b32 s1, -1
	s_mov_b32 s2, exec_lo
	v_cmpx_eq_u16_e64 0x80, v230
; %bb.857:
	s_xor_b32 s1, exec_lo, -1
; %bb.858:
	s_or_b32 exec_lo, exec_lo, s2
	s_delay_alu instid0(SALU_CYCLE_1)
	s_and_b32 s1, s1, exec_lo
	s_or_saveexec_b32 s0, s0
	v_mov_b32_e32 v231, 0x7f800001
	s_xor_b32 exec_lo, exec_lo, s0
	s_cbranch_execz .LBB10_349
.LBB10_859:
	v_cmp_ne_u16_e64 vcc_lo, 0, v230
	v_mov_b32_e32 v231, 0
	s_and_not1_b32 s1, s1, exec_lo
	s_and_b32 s2, vcc_lo, exec_lo
	s_delay_alu instid0(SALU_CYCLE_1)
	s_or_b32 s1, s1, s2
	s_or_b32 exec_lo, exec_lo, s0
	s_and_saveexec_b32 s0, s1
	s_cbranch_execnz .LBB10_350
	s_branch .LBB10_351
.LBB10_860:
	s_mov_b32 s0, -1
	s_mov_b32 s2, exec_lo
	v_cmpx_eq_u16_e64 0x80, v255
; %bb.861:
	s_xor_b32 s0, exec_lo, -1
; %bb.862:
	s_or_b32 exec_lo, exec_lo, s2
	s_delay_alu instid0(SALU_CYCLE_1)
	s_and_b32 s0, s0, exec_lo
                                        ; implicit-def: $vgpr255
	s_or_saveexec_b32 s1, s1
	v_mov_b32_e32 v230, 0x7f800001
	s_xor_b32 exec_lo, exec_lo, s1
	s_cbranch_execz .LBB10_353
.LBB10_863:
	v_cmp_ne_u16_e64 vcc_lo, 0, v255
	v_mov_b32_e32 v230, 0
	s_and_not1_b32 s0, s0, exec_lo
	s_and_b32 s2, vcc_lo, exec_lo
	s_delay_alu instid0(SALU_CYCLE_1)
	s_or_b32 s0, s0, s2
	s_or_b32 exec_lo, exec_lo, s1
	s_and_saveexec_b32 s1, s0
	s_cbranch_execnz .LBB10_354
	s_branch .LBB10_355
.LBB10_864:
	s_mov_b32 s0, -1
	s_mov_b32 s2, exec_lo
	v_cmpx_eq_u16_e64 0x80, v255
; %bb.865:
	s_xor_b32 s0, exec_lo, -1
; %bb.866:
	s_or_b32 exec_lo, exec_lo, s2
	s_delay_alu instid0(SALU_CYCLE_1)
	s_and_b32 s0, s0, exec_lo
                                        ; implicit-def: $vgpr255
	s_or_saveexec_b32 s1, s1
	v_mov_b32_e32 v138, 0x7f800001
	s_xor_b32 exec_lo, exec_lo, s1
	s_cbranch_execz .LBB10_357
.LBB10_867:
	v_cmp_ne_u16_e64 vcc_lo, 0, v255
	v_mov_b32_e32 v138, 0
	s_and_not1_b32 s0, s0, exec_lo
	s_and_b32 s2, vcc_lo, exec_lo
	s_delay_alu instid0(SALU_CYCLE_1)
	s_or_b32 s0, s0, s2
	s_or_b32 exec_lo, exec_lo, s1
	s_and_saveexec_b32 s1, s0
	s_cbranch_execnz .LBB10_358
	s_branch .LBB10_359
.LBB10_868:
	s_mov_b32 s0, -1
	s_mov_b32 s2, exec_lo
	v_cmpx_eq_u16_e64 0x80, v255
; %bb.869:
	s_xor_b32 s0, exec_lo, -1
; %bb.870:
	s_or_b32 exec_lo, exec_lo, s2
	s_delay_alu instid0(SALU_CYCLE_1)
	s_and_b32 s0, s0, exec_lo
                                        ; implicit-def: $vgpr255
	s_or_saveexec_b32 s1, s1
	v_mov_b32_e32 v227, 0x7f800001
	s_xor_b32 exec_lo, exec_lo, s1
	s_cbranch_execz .LBB10_361
.LBB10_871:
	v_cmp_ne_u16_e64 vcc_lo, 0, v255
	v_mov_b32_e32 v227, 0
	s_and_not1_b32 s0, s0, exec_lo
	s_and_b32 s2, vcc_lo, exec_lo
	s_delay_alu instid0(SALU_CYCLE_1)
	s_or_b32 s0, s0, s2
	s_or_b32 exec_lo, exec_lo, s1
	s_and_saveexec_b32 s1, s0
	s_cbranch_execnz .LBB10_362
	s_branch .LBB10_363
.LBB10_872:
	s_mov_b32 s1, -1
	s_mov_b32 s2, exec_lo
	v_cmpx_eq_u16_e64 0x80, v224
; %bb.873:
	s_xor_b32 s1, exec_lo, -1
; %bb.874:
	s_or_b32 exec_lo, exec_lo, s2
	s_delay_alu instid0(SALU_CYCLE_1)
	s_and_b32 s1, s1, exec_lo
	s_or_saveexec_b32 s0, s0
	v_mov_b32_e32 v225, 0x7f800001
	s_xor_b32 exec_lo, exec_lo, s0
	s_cbranch_execz .LBB10_365
.LBB10_875:
	v_cmp_ne_u16_e64 vcc_lo, 0, v224
	v_mov_b32_e32 v225, 0
	s_and_not1_b32 s1, s1, exec_lo
	s_and_b32 s2, vcc_lo, exec_lo
	s_delay_alu instid0(SALU_CYCLE_1)
	s_or_b32 s1, s1, s2
	s_or_b32 exec_lo, exec_lo, s0
	s_and_saveexec_b32 s0, s1
	s_cbranch_execnz .LBB10_366
	s_branch .LBB10_367
.LBB10_876:
	s_mov_b32 s0, -1
	s_mov_b32 s2, exec_lo
	v_cmpx_eq_u16_e64 0x80, v255
; %bb.877:
	s_xor_b32 s0, exec_lo, -1
; %bb.878:
	s_or_b32 exec_lo, exec_lo, s2
	s_delay_alu instid0(SALU_CYCLE_1)
	s_and_b32 s0, s0, exec_lo
                                        ; implicit-def: $vgpr255
	s_or_saveexec_b32 s1, s1
	v_mov_b32_e32 v224, 0x7f800001
	s_xor_b32 exec_lo, exec_lo, s1
	s_cbranch_execz .LBB10_369
.LBB10_879:
	v_cmp_ne_u16_e64 vcc_lo, 0, v255
	v_mov_b32_e32 v224, 0
	s_and_not1_b32 s0, s0, exec_lo
	s_and_b32 s2, vcc_lo, exec_lo
	s_delay_alu instid0(SALU_CYCLE_1)
	s_or_b32 s0, s0, s2
	s_or_b32 exec_lo, exec_lo, s1
	s_and_saveexec_b32 s1, s0
	s_cbranch_execnz .LBB10_370
	s_branch .LBB10_371
.LBB10_880:
	s_mov_b32 s0, -1
	s_mov_b32 s2, exec_lo
	v_cmpx_eq_u16_e64 0x80, v255
; %bb.881:
	s_xor_b32 s0, exec_lo, -1
; %bb.882:
	s_or_b32 exec_lo, exec_lo, s2
	s_delay_alu instid0(SALU_CYCLE_1)
	s_and_b32 s0, s0, exec_lo
                                        ; implicit-def: $vgpr255
	s_or_saveexec_b32 s1, s1
	v_mov_b32_e32 v139, 0x7f800001
	s_xor_b32 exec_lo, exec_lo, s1
	s_cbranch_execz .LBB10_373
.LBB10_883:
	v_cmp_ne_u16_e64 vcc_lo, 0, v255
	v_mov_b32_e32 v139, 0
	s_and_not1_b32 s0, s0, exec_lo
	s_and_b32 s2, vcc_lo, exec_lo
	s_delay_alu instid0(SALU_CYCLE_1)
	s_or_b32 s0, s0, s2
	s_or_b32 exec_lo, exec_lo, s1
	s_and_saveexec_b32 s1, s0
	s_cbranch_execnz .LBB10_374
	s_branch .LBB10_375
.LBB10_884:
	s_mov_b32 s0, -1
	s_mov_b32 s2, exec_lo
	v_cmpx_eq_u16_e64 0x80, v255
; %bb.885:
	s_xor_b32 s0, exec_lo, -1
; %bb.886:
	s_or_b32 exec_lo, exec_lo, s2
	s_delay_alu instid0(SALU_CYCLE_1)
	s_and_b32 s0, s0, exec_lo
                                        ; implicit-def: $vgpr255
	s_or_saveexec_b32 s1, s1
	v_mov_b32_e32 v221, 0x7f800001
	s_xor_b32 exec_lo, exec_lo, s1
	s_cbranch_execz .LBB10_377
.LBB10_887:
	v_cmp_ne_u16_e64 vcc_lo, 0, v255
	v_mov_b32_e32 v221, 0
	s_and_not1_b32 s0, s0, exec_lo
	s_and_b32 s2, vcc_lo, exec_lo
	s_delay_alu instid0(SALU_CYCLE_1)
	s_or_b32 s0, s0, s2
	s_or_b32 exec_lo, exec_lo, s1
	s_and_saveexec_b32 s1, s0
	s_cbranch_execnz .LBB10_378
	s_branch .LBB10_379
.LBB10_888:
	s_mov_b32 s1, -1
	s_mov_b32 s2, exec_lo
	v_cmpx_eq_u16_e64 0x80, v218
; %bb.889:
	s_xor_b32 s1, exec_lo, -1
; %bb.890:
	s_or_b32 exec_lo, exec_lo, s2
	s_delay_alu instid0(SALU_CYCLE_1)
	s_and_b32 s1, s1, exec_lo
	s_or_saveexec_b32 s0, s0
	v_mov_b32_e32 v219, 0x7f800001
	s_xor_b32 exec_lo, exec_lo, s0
	s_cbranch_execz .LBB10_381
.LBB10_891:
	v_cmp_ne_u16_e64 vcc_lo, 0, v218
	v_mov_b32_e32 v219, 0
	s_and_not1_b32 s1, s1, exec_lo
	s_and_b32 s2, vcc_lo, exec_lo
	s_delay_alu instid0(SALU_CYCLE_1)
	s_or_b32 s1, s1, s2
	s_or_b32 exec_lo, exec_lo, s0
	s_and_saveexec_b32 s0, s1
	s_cbranch_execnz .LBB10_382
	s_branch .LBB10_383
.LBB10_892:
	s_mov_b32 s0, -1
	s_mov_b32 s2, exec_lo
	v_cmpx_eq_u16_e64 0x80, v255
; %bb.893:
	s_xor_b32 s0, exec_lo, -1
; %bb.894:
	s_or_b32 exec_lo, exec_lo, s2
	s_delay_alu instid0(SALU_CYCLE_1)
	s_and_b32 s0, s0, exec_lo
                                        ; implicit-def: $vgpr255
	s_or_saveexec_b32 s1, s1
	v_mov_b32_e32 v218, 0x7f800001
	s_xor_b32 exec_lo, exec_lo, s1
	s_cbranch_execz .LBB10_385
.LBB10_895:
	v_cmp_ne_u16_e64 vcc_lo, 0, v255
	v_mov_b32_e32 v218, 0
	s_and_not1_b32 s0, s0, exec_lo
	s_and_b32 s2, vcc_lo, exec_lo
	s_delay_alu instid0(SALU_CYCLE_1)
	s_or_b32 s0, s0, s2
	s_or_b32 exec_lo, exec_lo, s1
	s_and_saveexec_b32 s1, s0
	s_cbranch_execnz .LBB10_386
	s_branch .LBB10_387
.LBB10_896:
	s_mov_b32 s0, -1
	s_mov_b32 s2, exec_lo
	v_cmpx_eq_u16_e64 0x80, v255
; %bb.897:
	s_xor_b32 s0, exec_lo, -1
; %bb.898:
	s_or_b32 exec_lo, exec_lo, s2
	s_delay_alu instid0(SALU_CYCLE_1)
	s_and_b32 s0, s0, exec_lo
                                        ; implicit-def: $vgpr255
	s_or_saveexec_b32 s1, s1
	v_mov_b32_e32 v140, 0x7f800001
	s_xor_b32 exec_lo, exec_lo, s1
	s_cbranch_execz .LBB10_389
.LBB10_899:
	v_cmp_ne_u16_e64 vcc_lo, 0, v255
	v_mov_b32_e32 v140, 0
	s_and_not1_b32 s0, s0, exec_lo
	s_and_b32 s2, vcc_lo, exec_lo
	s_delay_alu instid0(SALU_CYCLE_1)
	s_or_b32 s0, s0, s2
	s_or_b32 exec_lo, exec_lo, s1
	s_and_saveexec_b32 s1, s0
	s_cbranch_execnz .LBB10_390
	s_branch .LBB10_391
.LBB10_900:
	s_mov_b32 s0, -1
	s_mov_b32 s2, exec_lo
	v_cmpx_eq_u16_e64 0x80, v255
; %bb.901:
	s_xor_b32 s0, exec_lo, -1
; %bb.902:
	s_or_b32 exec_lo, exec_lo, s2
	s_delay_alu instid0(SALU_CYCLE_1)
	s_and_b32 s0, s0, exec_lo
                                        ; implicit-def: $vgpr255
	s_or_saveexec_b32 s1, s1
	v_mov_b32_e32 v215, 0x7f800001
	s_xor_b32 exec_lo, exec_lo, s1
	s_cbranch_execz .LBB10_393
.LBB10_903:
	v_cmp_ne_u16_e64 vcc_lo, 0, v255
	v_mov_b32_e32 v215, 0
	s_and_not1_b32 s0, s0, exec_lo
	s_and_b32 s2, vcc_lo, exec_lo
	s_delay_alu instid0(SALU_CYCLE_1)
	s_or_b32 s0, s0, s2
	s_or_b32 exec_lo, exec_lo, s1
	s_and_saveexec_b32 s1, s0
	s_cbranch_execnz .LBB10_394
	s_branch .LBB10_395
.LBB10_904:
	s_mov_b32 s1, -1
	s_mov_b32 s2, exec_lo
	v_cmpx_eq_u16_e64 0x80, v212
; %bb.905:
	s_xor_b32 s1, exec_lo, -1
; %bb.906:
	s_or_b32 exec_lo, exec_lo, s2
	s_delay_alu instid0(SALU_CYCLE_1)
	s_and_b32 s1, s1, exec_lo
	s_or_saveexec_b32 s0, s0
	v_mov_b32_e32 v213, 0x7f800001
	s_xor_b32 exec_lo, exec_lo, s0
	s_cbranch_execz .LBB10_397
.LBB10_907:
	v_cmp_ne_u16_e64 vcc_lo, 0, v212
	v_mov_b32_e32 v213, 0
	s_and_not1_b32 s1, s1, exec_lo
	s_and_b32 s2, vcc_lo, exec_lo
	s_delay_alu instid0(SALU_CYCLE_1)
	s_or_b32 s1, s1, s2
	s_or_b32 exec_lo, exec_lo, s0
	s_and_saveexec_b32 s0, s1
	s_cbranch_execnz .LBB10_398
	s_branch .LBB10_399
.LBB10_908:
	s_mov_b32 s0, -1
	s_mov_b32 s2, exec_lo
	v_cmpx_eq_u16_e64 0x80, v255
; %bb.909:
	s_xor_b32 s0, exec_lo, -1
; %bb.910:
	s_or_b32 exec_lo, exec_lo, s2
	s_delay_alu instid0(SALU_CYCLE_1)
	s_and_b32 s0, s0, exec_lo
                                        ; implicit-def: $vgpr255
	s_or_saveexec_b32 s1, s1
	v_mov_b32_e32 v212, 0x7f800001
	s_xor_b32 exec_lo, exec_lo, s1
	s_cbranch_execz .LBB10_401
.LBB10_911:
	v_cmp_ne_u16_e64 vcc_lo, 0, v255
	v_mov_b32_e32 v212, 0
	s_and_not1_b32 s0, s0, exec_lo
	s_and_b32 s2, vcc_lo, exec_lo
	s_delay_alu instid0(SALU_CYCLE_1)
	s_or_b32 s0, s0, s2
	s_or_b32 exec_lo, exec_lo, s1
	s_and_saveexec_b32 s1, s0
	s_cbranch_execnz .LBB10_402
	s_branch .LBB10_403
.LBB10_912:
	s_mov_b32 s0, -1
	s_mov_b32 s2, exec_lo
	v_cmpx_eq_u16_e64 0x80, v255
; %bb.913:
	s_xor_b32 s0, exec_lo, -1
; %bb.914:
	s_or_b32 exec_lo, exec_lo, s2
	s_delay_alu instid0(SALU_CYCLE_1)
	s_and_b32 s0, s0, exec_lo
                                        ; implicit-def: $vgpr255
	s_or_saveexec_b32 s1, s1
	v_mov_b32_e32 v133, 0x7f800001
	s_xor_b32 exec_lo, exec_lo, s1
	s_cbranch_execz .LBB10_405
.LBB10_915:
	v_cmp_ne_u16_e64 vcc_lo, 0, v255
	v_mov_b32_e32 v133, 0
	s_and_not1_b32 s0, s0, exec_lo
	s_and_b32 s2, vcc_lo, exec_lo
	s_delay_alu instid0(SALU_CYCLE_1)
	s_or_b32 s0, s0, s2
	s_or_b32 exec_lo, exec_lo, s1
	s_and_saveexec_b32 s1, s0
	s_cbranch_execnz .LBB10_406
	s_branch .LBB10_407
.LBB10_916:
	s_mov_b32 s0, -1
	s_mov_b32 s2, exec_lo
	v_cmpx_eq_u16_e64 0x80, v255
; %bb.917:
	s_xor_b32 s0, exec_lo, -1
; %bb.918:
	s_or_b32 exec_lo, exec_lo, s2
	s_delay_alu instid0(SALU_CYCLE_1)
	s_and_b32 s0, s0, exec_lo
                                        ; implicit-def: $vgpr255
	s_or_saveexec_b32 s1, s1
	v_mov_b32_e32 v209, 0x7f800001
	s_xor_b32 exec_lo, exec_lo, s1
	s_cbranch_execz .LBB10_409
.LBB10_919:
	v_cmp_ne_u16_e64 vcc_lo, 0, v255
	v_mov_b32_e32 v209, 0
	s_and_not1_b32 s0, s0, exec_lo
	s_and_b32 s2, vcc_lo, exec_lo
	s_delay_alu instid0(SALU_CYCLE_1)
	s_or_b32 s0, s0, s2
	s_or_b32 exec_lo, exec_lo, s1
	s_and_saveexec_b32 s1, s0
	s_cbranch_execnz .LBB10_410
	s_branch .LBB10_411
.LBB10_920:
	s_mov_b32 s1, -1
	s_mov_b32 s2, exec_lo
	v_cmpx_eq_u16_e64 0x80, v206
; %bb.921:
	s_xor_b32 s1, exec_lo, -1
; %bb.922:
	s_or_b32 exec_lo, exec_lo, s2
	s_delay_alu instid0(SALU_CYCLE_1)
	s_and_b32 s1, s1, exec_lo
	s_or_saveexec_b32 s0, s0
	v_mov_b32_e32 v207, 0x7f800001
	s_xor_b32 exec_lo, exec_lo, s0
	s_cbranch_execz .LBB10_413
.LBB10_923:
	v_cmp_ne_u16_e64 vcc_lo, 0, v206
	v_mov_b32_e32 v207, 0
	s_and_not1_b32 s1, s1, exec_lo
	s_and_b32 s2, vcc_lo, exec_lo
	s_delay_alu instid0(SALU_CYCLE_1)
	s_or_b32 s1, s1, s2
	s_or_b32 exec_lo, exec_lo, s0
	s_and_saveexec_b32 s0, s1
	s_cbranch_execnz .LBB10_414
	s_branch .LBB10_415
.LBB10_924:
	s_mov_b32 s0, -1
	s_mov_b32 s2, exec_lo
	v_cmpx_eq_u16_e64 0x80, v255
; %bb.925:
	s_xor_b32 s0, exec_lo, -1
; %bb.926:
	s_or_b32 exec_lo, exec_lo, s2
	s_delay_alu instid0(SALU_CYCLE_1)
	s_and_b32 s0, s0, exec_lo
                                        ; implicit-def: $vgpr255
	s_or_saveexec_b32 s1, s1
	v_mov_b32_e32 v206, 0x7f800001
	s_xor_b32 exec_lo, exec_lo, s1
	s_cbranch_execz .LBB10_417
.LBB10_927:
	v_cmp_ne_u16_e64 vcc_lo, 0, v255
	v_mov_b32_e32 v206, 0
	s_and_not1_b32 s0, s0, exec_lo
	s_and_b32 s2, vcc_lo, exec_lo
	s_delay_alu instid0(SALU_CYCLE_1)
	s_or_b32 s0, s0, s2
	s_or_b32 exec_lo, exec_lo, s1
	s_and_saveexec_b32 s1, s0
	s_cbranch_execnz .LBB10_418
	s_branch .LBB10_419
.LBB10_928:
	s_mov_b32 s0, -1
	s_mov_b32 s2, exec_lo
	v_cmpx_eq_u16_e64 0x80, v255
; %bb.929:
	s_xor_b32 s0, exec_lo, -1
; %bb.930:
	s_or_b32 exec_lo, exec_lo, s2
	s_delay_alu instid0(SALU_CYCLE_1)
	s_and_b32 s0, s0, exec_lo
                                        ; implicit-def: $vgpr255
	s_or_saveexec_b32 s1, s1
	v_mov_b32_e32 v134, 0x7f800001
	s_xor_b32 exec_lo, exec_lo, s1
	s_cbranch_execz .LBB10_421
.LBB10_931:
	v_cmp_ne_u16_e64 vcc_lo, 0, v255
	v_mov_b32_e32 v134, 0
	s_and_not1_b32 s0, s0, exec_lo
	s_and_b32 s2, vcc_lo, exec_lo
	s_delay_alu instid0(SALU_CYCLE_1)
	s_or_b32 s0, s0, s2
	s_or_b32 exec_lo, exec_lo, s1
	s_and_saveexec_b32 s1, s0
	s_cbranch_execnz .LBB10_422
	s_branch .LBB10_423
.LBB10_932:
	s_mov_b32 s0, -1
	s_mov_b32 s2, exec_lo
	v_cmpx_eq_u16_e64 0x80, v255
; %bb.933:
	s_xor_b32 s0, exec_lo, -1
; %bb.934:
	s_or_b32 exec_lo, exec_lo, s2
	s_delay_alu instid0(SALU_CYCLE_1)
	s_and_b32 s0, s0, exec_lo
                                        ; implicit-def: $vgpr255
	s_or_saveexec_b32 s1, s1
	v_mov_b32_e32 v203, 0x7f800001
	s_xor_b32 exec_lo, exec_lo, s1
	s_cbranch_execz .LBB10_425
.LBB10_935:
	v_cmp_ne_u16_e64 vcc_lo, 0, v255
	v_mov_b32_e32 v203, 0
	s_and_not1_b32 s0, s0, exec_lo
	s_and_b32 s2, vcc_lo, exec_lo
	s_delay_alu instid0(SALU_CYCLE_1)
	s_or_b32 s0, s0, s2
	s_or_b32 exec_lo, exec_lo, s1
	s_and_saveexec_b32 s1, s0
	s_cbranch_execnz .LBB10_426
	s_branch .LBB10_427
.LBB10_936:
	s_mov_b32 s1, -1
	s_mov_b32 s2, exec_lo
	v_cmpx_eq_u16_e64 0x80, v200
; %bb.937:
	s_xor_b32 s1, exec_lo, -1
; %bb.938:
	s_or_b32 exec_lo, exec_lo, s2
	s_delay_alu instid0(SALU_CYCLE_1)
	s_and_b32 s1, s1, exec_lo
	s_or_saveexec_b32 s0, s0
	v_mov_b32_e32 v201, 0x7f800001
	s_xor_b32 exec_lo, exec_lo, s0
	s_cbranch_execz .LBB10_429
.LBB10_939:
	v_cmp_ne_u16_e64 vcc_lo, 0, v200
	v_mov_b32_e32 v201, 0
	s_and_not1_b32 s1, s1, exec_lo
	s_and_b32 s2, vcc_lo, exec_lo
	s_delay_alu instid0(SALU_CYCLE_1)
	s_or_b32 s1, s1, s2
	s_or_b32 exec_lo, exec_lo, s0
	s_and_saveexec_b32 s0, s1
	s_cbranch_execnz .LBB10_430
	s_branch .LBB10_431
.LBB10_940:
	s_mov_b32 s0, -1
	s_mov_b32 s2, exec_lo
	v_cmpx_eq_u16_e64 0x80, v255
; %bb.941:
	s_xor_b32 s0, exec_lo, -1
; %bb.942:
	s_or_b32 exec_lo, exec_lo, s2
	s_delay_alu instid0(SALU_CYCLE_1)
	s_and_b32 s0, s0, exec_lo
                                        ; implicit-def: $vgpr255
	s_or_saveexec_b32 s1, s1
	v_mov_b32_e32 v200, 0x7f800001
	s_xor_b32 exec_lo, exec_lo, s1
	s_cbranch_execz .LBB10_433
.LBB10_943:
	v_cmp_ne_u16_e64 vcc_lo, 0, v255
	v_mov_b32_e32 v200, 0
	s_and_not1_b32 s0, s0, exec_lo
	s_and_b32 s2, vcc_lo, exec_lo
	s_delay_alu instid0(SALU_CYCLE_1)
	s_or_b32 s0, s0, s2
	s_or_b32 exec_lo, exec_lo, s1
	s_and_saveexec_b32 s1, s0
	s_cbranch_execnz .LBB10_434
	s_branch .LBB10_435
.LBB10_944:
	s_mov_b32 s0, -1
	s_mov_b32 s2, exec_lo
	v_cmpx_eq_u16_e64 0x80, v255
; %bb.945:
	s_xor_b32 s0, exec_lo, -1
; %bb.946:
	s_or_b32 exec_lo, exec_lo, s2
	s_delay_alu instid0(SALU_CYCLE_1)
	s_and_b32 s0, s0, exec_lo
                                        ; implicit-def: $vgpr255
	s_or_saveexec_b32 s1, s1
	v_mov_b32_e32 v135, 0x7f800001
	s_xor_b32 exec_lo, exec_lo, s1
	s_cbranch_execz .LBB10_437
.LBB10_947:
	v_cmp_ne_u16_e64 vcc_lo, 0, v255
	v_mov_b32_e32 v135, 0
	s_and_not1_b32 s0, s0, exec_lo
	s_and_b32 s2, vcc_lo, exec_lo
	s_delay_alu instid0(SALU_CYCLE_1)
	s_or_b32 s0, s0, s2
	s_or_b32 exec_lo, exec_lo, s1
	s_and_saveexec_b32 s1, s0
	s_cbranch_execnz .LBB10_438
	s_branch .LBB10_439
.LBB10_948:
	s_mov_b32 s0, -1
	s_mov_b32 s2, exec_lo
	v_cmpx_eq_u16_e64 0x80, v255
; %bb.949:
	s_xor_b32 s0, exec_lo, -1
; %bb.950:
	s_or_b32 exec_lo, exec_lo, s2
	s_delay_alu instid0(SALU_CYCLE_1)
	s_and_b32 s0, s0, exec_lo
                                        ; implicit-def: $vgpr255
	s_or_saveexec_b32 s1, s1
	v_mov_b32_e32 v197, 0x7f800001
	s_xor_b32 exec_lo, exec_lo, s1
	s_cbranch_execz .LBB10_441
.LBB10_951:
	v_cmp_ne_u16_e64 vcc_lo, 0, v255
	v_mov_b32_e32 v197, 0
	s_and_not1_b32 s0, s0, exec_lo
	s_and_b32 s2, vcc_lo, exec_lo
	s_delay_alu instid0(SALU_CYCLE_1)
	s_or_b32 s0, s0, s2
	s_or_b32 exec_lo, exec_lo, s1
	s_and_saveexec_b32 s1, s0
	s_cbranch_execnz .LBB10_442
	s_branch .LBB10_443
.LBB10_952:
	s_mov_b32 s1, -1
	s_mov_b32 s2, exec_lo
	v_cmpx_eq_u16_e64 0x80, v194
; %bb.953:
	s_xor_b32 s1, exec_lo, -1
; %bb.954:
	s_or_b32 exec_lo, exec_lo, s2
	s_delay_alu instid0(SALU_CYCLE_1)
	s_and_b32 s1, s1, exec_lo
	s_or_saveexec_b32 s0, s0
	v_mov_b32_e32 v195, 0x7f800001
	s_xor_b32 exec_lo, exec_lo, s0
	s_cbranch_execz .LBB10_445
.LBB10_955:
	v_cmp_ne_u16_e64 vcc_lo, 0, v194
	v_mov_b32_e32 v195, 0
	s_and_not1_b32 s1, s1, exec_lo
	s_and_b32 s2, vcc_lo, exec_lo
	s_delay_alu instid0(SALU_CYCLE_1)
	s_or_b32 s1, s1, s2
	s_or_b32 exec_lo, exec_lo, s0
	s_and_saveexec_b32 s0, s1
	s_cbranch_execnz .LBB10_446
	s_branch .LBB10_447
.LBB10_956:
	s_mov_b32 s0, -1
	s_mov_b32 s2, exec_lo
	v_cmpx_eq_u16_e64 0x80, v255
; %bb.957:
	s_xor_b32 s0, exec_lo, -1
; %bb.958:
	s_or_b32 exec_lo, exec_lo, s2
	s_delay_alu instid0(SALU_CYCLE_1)
	s_and_b32 s0, s0, exec_lo
                                        ; implicit-def: $vgpr255
	s_or_saveexec_b32 s1, s1
	v_mov_b32_e32 v194, 0x7f800001
	s_xor_b32 exec_lo, exec_lo, s1
	s_cbranch_execz .LBB10_449
.LBB10_959:
	v_cmp_ne_u16_e64 vcc_lo, 0, v255
	v_mov_b32_e32 v194, 0
	s_and_not1_b32 s0, s0, exec_lo
	s_and_b32 s2, vcc_lo, exec_lo
	s_delay_alu instid0(SALU_CYCLE_1)
	s_or_b32 s0, s0, s2
	s_or_b32 exec_lo, exec_lo, s1
	s_and_saveexec_b32 s1, s0
	s_cbranch_execnz .LBB10_450
	s_branch .LBB10_451
.LBB10_960:
	s_mov_b32 s0, -1
	s_mov_b32 s2, exec_lo
	v_cmpx_eq_u16_e64 0x80, v255
; %bb.961:
	s_xor_b32 s0, exec_lo, -1
; %bb.962:
	s_or_b32 exec_lo, exec_lo, s2
	s_delay_alu instid0(SALU_CYCLE_1)
	s_and_b32 s0, s0, exec_lo
                                        ; implicit-def: $vgpr255
	s_or_saveexec_b32 s1, s1
	v_mov_b32_e32 v136, 0x7f800001
	s_xor_b32 exec_lo, exec_lo, s1
	s_cbranch_execz .LBB10_453
.LBB10_963:
	v_cmp_ne_u16_e64 vcc_lo, 0, v255
	v_mov_b32_e32 v136, 0
	s_and_not1_b32 s0, s0, exec_lo
	s_and_b32 s2, vcc_lo, exec_lo
	s_delay_alu instid0(SALU_CYCLE_1)
	s_or_b32 s0, s0, s2
	s_or_b32 exec_lo, exec_lo, s1
	s_and_saveexec_b32 s1, s0
	s_cbranch_execnz .LBB10_454
	s_branch .LBB10_455
.LBB10_964:
	s_mov_b32 s0, -1
	s_mov_b32 s2, exec_lo
	v_cmpx_eq_u16_e64 0x80, v255
; %bb.965:
	s_xor_b32 s0, exec_lo, -1
; %bb.966:
	s_or_b32 exec_lo, exec_lo, s2
	s_delay_alu instid0(SALU_CYCLE_1)
	s_and_b32 s0, s0, exec_lo
                                        ; implicit-def: $vgpr255
	s_or_saveexec_b32 s1, s1
	v_mov_b32_e32 v191, 0x7f800001
	s_xor_b32 exec_lo, exec_lo, s1
	s_cbranch_execz .LBB10_457
.LBB10_967:
	v_cmp_ne_u16_e64 vcc_lo, 0, v255
	v_mov_b32_e32 v191, 0
	s_and_not1_b32 s0, s0, exec_lo
	s_and_b32 s2, vcc_lo, exec_lo
	s_delay_alu instid0(SALU_CYCLE_1)
	s_or_b32 s0, s0, s2
	s_or_b32 exec_lo, exec_lo, s1
	s_and_saveexec_b32 s1, s0
	s_cbranch_execnz .LBB10_458
	s_branch .LBB10_459
.LBB10_968:
	s_mov_b32 s1, -1
	s_mov_b32 s2, exec_lo
	v_cmpx_eq_u16_e64 0x80, v188
; %bb.969:
	s_xor_b32 s1, exec_lo, -1
; %bb.970:
	s_or_b32 exec_lo, exec_lo, s2
	s_delay_alu instid0(SALU_CYCLE_1)
	s_and_b32 s1, s1, exec_lo
	s_or_saveexec_b32 s0, s0
	v_mov_b32_e32 v189, 0x7f800001
	s_xor_b32 exec_lo, exec_lo, s0
	s_cbranch_execz .LBB10_461
.LBB10_971:
	v_cmp_ne_u16_e64 vcc_lo, 0, v188
	v_mov_b32_e32 v189, 0
	s_and_not1_b32 s1, s1, exec_lo
	s_and_b32 s2, vcc_lo, exec_lo
	s_delay_alu instid0(SALU_CYCLE_1)
	s_or_b32 s1, s1, s2
	s_or_b32 exec_lo, exec_lo, s0
	s_and_saveexec_b32 s0, s1
	s_cbranch_execnz .LBB10_462
	s_branch .LBB10_463
.LBB10_972:
	s_mov_b32 s0, -1
	s_mov_b32 s2, exec_lo
	v_cmpx_eq_u16_e64 0x80, v255
; %bb.973:
	s_xor_b32 s0, exec_lo, -1
; %bb.974:
	s_or_b32 exec_lo, exec_lo, s2
	s_delay_alu instid0(SALU_CYCLE_1)
	s_and_b32 s0, s0, exec_lo
                                        ; implicit-def: $vgpr255
	s_or_saveexec_b32 s1, s1
	v_mov_b32_e32 v188, 0x7f800001
	s_xor_b32 exec_lo, exec_lo, s1
	s_cbranch_execz .LBB10_465
.LBB10_975:
	v_cmp_ne_u16_e64 vcc_lo, 0, v255
	v_mov_b32_e32 v188, 0
	s_and_not1_b32 s0, s0, exec_lo
	s_and_b32 s2, vcc_lo, exec_lo
	s_delay_alu instid0(SALU_CYCLE_1)
	s_or_b32 s0, s0, s2
	s_or_b32 exec_lo, exec_lo, s1
	s_and_saveexec_b32 s1, s0
	s_cbranch_execnz .LBB10_466
	s_branch .LBB10_467
.LBB10_976:
	s_mov_b32 s0, -1
	s_mov_b32 s2, exec_lo
	v_cmpx_eq_u16_e64 0x80, v255
; %bb.977:
	s_xor_b32 s0, exec_lo, -1
; %bb.978:
	s_or_b32 exec_lo, exec_lo, s2
	s_delay_alu instid0(SALU_CYCLE_1)
	s_and_b32 s0, s0, exec_lo
                                        ; implicit-def: $vgpr255
	s_or_saveexec_b32 s1, s1
	v_mov_b32_e32 v129, 0x7f800001
	s_xor_b32 exec_lo, exec_lo, s1
	s_cbranch_execz .LBB10_469
.LBB10_979:
	v_cmp_ne_u16_e64 vcc_lo, 0, v255
	v_mov_b32_e32 v129, 0
	s_and_not1_b32 s0, s0, exec_lo
	s_and_b32 s2, vcc_lo, exec_lo
	s_delay_alu instid0(SALU_CYCLE_1)
	s_or_b32 s0, s0, s2
	s_or_b32 exec_lo, exec_lo, s1
	s_and_saveexec_b32 s1, s0
	s_cbranch_execnz .LBB10_470
	s_branch .LBB10_471
.LBB10_980:
	s_mov_b32 s0, -1
	s_mov_b32 s2, exec_lo
	v_cmpx_eq_u16_e64 0x80, v255
; %bb.981:
	s_xor_b32 s0, exec_lo, -1
; %bb.982:
	s_or_b32 exec_lo, exec_lo, s2
	s_delay_alu instid0(SALU_CYCLE_1)
	s_and_b32 s0, s0, exec_lo
                                        ; implicit-def: $vgpr255
	s_or_saveexec_b32 s1, s1
	v_mov_b32_e32 v185, 0x7f800001
	s_xor_b32 exec_lo, exec_lo, s1
	s_cbranch_execz .LBB10_473
.LBB10_983:
	v_cmp_ne_u16_e64 vcc_lo, 0, v255
	v_mov_b32_e32 v185, 0
	s_and_not1_b32 s0, s0, exec_lo
	s_and_b32 s2, vcc_lo, exec_lo
	s_delay_alu instid0(SALU_CYCLE_1)
	s_or_b32 s0, s0, s2
	s_or_b32 exec_lo, exec_lo, s1
	s_and_saveexec_b32 s1, s0
	s_cbranch_execnz .LBB10_474
	s_branch .LBB10_475
.LBB10_984:
	s_mov_b32 s1, -1
	s_mov_b32 s2, exec_lo
	v_cmpx_eq_u16_e64 0x80, v182
; %bb.985:
	s_xor_b32 s1, exec_lo, -1
; %bb.986:
	s_or_b32 exec_lo, exec_lo, s2
	s_delay_alu instid0(SALU_CYCLE_1)
	s_and_b32 s1, s1, exec_lo
	s_or_saveexec_b32 s0, s0
	v_mov_b32_e32 v183, 0x7f800001
	s_xor_b32 exec_lo, exec_lo, s0
	s_cbranch_execz .LBB10_477
.LBB10_987:
	v_cmp_ne_u16_e64 vcc_lo, 0, v182
	v_mov_b32_e32 v183, 0
	s_and_not1_b32 s1, s1, exec_lo
	s_and_b32 s2, vcc_lo, exec_lo
	s_delay_alu instid0(SALU_CYCLE_1)
	s_or_b32 s1, s1, s2
	s_or_b32 exec_lo, exec_lo, s0
	s_and_saveexec_b32 s0, s1
	s_cbranch_execnz .LBB10_478
	s_branch .LBB10_479
.LBB10_988:
	s_mov_b32 s0, -1
	s_mov_b32 s2, exec_lo
	v_cmpx_eq_u16_e64 0x80, v255
; %bb.989:
	s_xor_b32 s0, exec_lo, -1
; %bb.990:
	s_or_b32 exec_lo, exec_lo, s2
	s_delay_alu instid0(SALU_CYCLE_1)
	s_and_b32 s0, s0, exec_lo
                                        ; implicit-def: $vgpr255
	s_or_saveexec_b32 s1, s1
	v_mov_b32_e32 v182, 0x7f800001
	s_xor_b32 exec_lo, exec_lo, s1
	s_cbranch_execz .LBB10_481
.LBB10_991:
	v_cmp_ne_u16_e64 vcc_lo, 0, v255
	v_mov_b32_e32 v182, 0
	s_and_not1_b32 s0, s0, exec_lo
	s_and_b32 s2, vcc_lo, exec_lo
	s_delay_alu instid0(SALU_CYCLE_1)
	s_or_b32 s0, s0, s2
	s_or_b32 exec_lo, exec_lo, s1
	s_and_saveexec_b32 s1, s0
	s_cbranch_execnz .LBB10_482
	s_branch .LBB10_483
.LBB10_992:
	s_mov_b32 s0, -1
	s_mov_b32 s2, exec_lo
	v_cmpx_eq_u16_e64 0x80, v255
; %bb.993:
	s_xor_b32 s0, exec_lo, -1
; %bb.994:
	s_or_b32 exec_lo, exec_lo, s2
	s_delay_alu instid0(SALU_CYCLE_1)
	s_and_b32 s0, s0, exec_lo
                                        ; implicit-def: $vgpr255
	s_or_saveexec_b32 s1, s1
	v_mov_b32_e32 v130, 0x7f800001
	s_xor_b32 exec_lo, exec_lo, s1
	s_cbranch_execz .LBB10_485
.LBB10_995:
	v_cmp_ne_u16_e64 vcc_lo, 0, v255
	v_mov_b32_e32 v130, 0
	s_and_not1_b32 s0, s0, exec_lo
	s_and_b32 s2, vcc_lo, exec_lo
	s_delay_alu instid0(SALU_CYCLE_1)
	s_or_b32 s0, s0, s2
	s_or_b32 exec_lo, exec_lo, s1
	s_and_saveexec_b32 s1, s0
	s_cbranch_execnz .LBB10_486
	s_branch .LBB10_487
.LBB10_996:
	s_mov_b32 s0, -1
	s_mov_b32 s2, exec_lo
	v_cmpx_eq_u16_e64 0x80, v255
; %bb.997:
	s_xor_b32 s0, exec_lo, -1
; %bb.998:
	s_or_b32 exec_lo, exec_lo, s2
	s_delay_alu instid0(SALU_CYCLE_1)
	s_and_b32 s0, s0, exec_lo
                                        ; implicit-def: $vgpr255
	s_or_saveexec_b32 s1, s1
	v_mov_b32_e32 v179, 0x7f800001
	s_xor_b32 exec_lo, exec_lo, s1
	s_cbranch_execz .LBB10_489
.LBB10_999:
	v_cmp_ne_u16_e64 vcc_lo, 0, v255
	v_mov_b32_e32 v179, 0
	s_and_not1_b32 s0, s0, exec_lo
	s_and_b32 s2, vcc_lo, exec_lo
	s_delay_alu instid0(SALU_CYCLE_1)
	s_or_b32 s0, s0, s2
	s_or_b32 exec_lo, exec_lo, s1
	s_and_saveexec_b32 s1, s0
	s_cbranch_execnz .LBB10_490
	s_branch .LBB10_491
.LBB10_1000:
	s_mov_b32 s1, -1
	s_mov_b32 s2, exec_lo
	v_cmpx_eq_u16_e64 0x80, v176
; %bb.1001:
	s_xor_b32 s1, exec_lo, -1
; %bb.1002:
	s_or_b32 exec_lo, exec_lo, s2
	s_delay_alu instid0(SALU_CYCLE_1)
	s_and_b32 s1, s1, exec_lo
	s_or_saveexec_b32 s0, s0
	v_mov_b32_e32 v177, 0x7f800001
	s_xor_b32 exec_lo, exec_lo, s0
	s_cbranch_execz .LBB10_493
.LBB10_1003:
	v_cmp_ne_u16_e64 vcc_lo, 0, v176
	v_mov_b32_e32 v177, 0
	s_and_not1_b32 s1, s1, exec_lo
	s_and_b32 s2, vcc_lo, exec_lo
	s_delay_alu instid0(SALU_CYCLE_1)
	s_or_b32 s1, s1, s2
	s_or_b32 exec_lo, exec_lo, s0
	s_and_saveexec_b32 s0, s1
	s_cbranch_execnz .LBB10_494
	s_branch .LBB10_495
.LBB10_1004:
	s_mov_b32 s0, -1
	s_mov_b32 s2, exec_lo
	v_cmpx_eq_u16_e64 0x80, v255
; %bb.1005:
	s_xor_b32 s0, exec_lo, -1
; %bb.1006:
	s_or_b32 exec_lo, exec_lo, s2
	s_delay_alu instid0(SALU_CYCLE_1)
	s_and_b32 s0, s0, exec_lo
                                        ; implicit-def: $vgpr255
	s_or_saveexec_b32 s1, s1
	v_mov_b32_e32 v176, 0x7f800001
	s_xor_b32 exec_lo, exec_lo, s1
	s_cbranch_execz .LBB10_497
.LBB10_1007:
	v_cmp_ne_u16_e64 vcc_lo, 0, v255
	v_mov_b32_e32 v176, 0
	s_and_not1_b32 s0, s0, exec_lo
	s_and_b32 s2, vcc_lo, exec_lo
	s_delay_alu instid0(SALU_CYCLE_1)
	s_or_b32 s0, s0, s2
	s_or_b32 exec_lo, exec_lo, s1
	s_and_saveexec_b32 s1, s0
	s_cbranch_execnz .LBB10_498
	s_branch .LBB10_499
.LBB10_1008:
	s_mov_b32 s0, -1
	s_mov_b32 s2, exec_lo
	v_cmpx_eq_u16_e64 0x80, v255
; %bb.1009:
	s_xor_b32 s0, exec_lo, -1
; %bb.1010:
	s_or_b32 exec_lo, exec_lo, s2
	s_delay_alu instid0(SALU_CYCLE_1)
	s_and_b32 s0, s0, exec_lo
                                        ; implicit-def: $vgpr255
	s_or_saveexec_b32 s1, s1
	v_mov_b32_e32 v131, 0x7f800001
	s_xor_b32 exec_lo, exec_lo, s1
	s_cbranch_execz .LBB10_501
.LBB10_1011:
	v_cmp_ne_u16_e64 vcc_lo, 0, v255
	v_mov_b32_e32 v131, 0
	s_and_not1_b32 s0, s0, exec_lo
	s_and_b32 s2, vcc_lo, exec_lo
	s_delay_alu instid0(SALU_CYCLE_1)
	s_or_b32 s0, s0, s2
	s_or_b32 exec_lo, exec_lo, s1
	s_and_saveexec_b32 s1, s0
	s_cbranch_execnz .LBB10_502
	s_branch .LBB10_503
.LBB10_1012:
	s_mov_b32 s0, -1
	s_mov_b32 s2, exec_lo
	v_cmpx_eq_u16_e64 0x80, v255
; %bb.1013:
	s_xor_b32 s0, exec_lo, -1
; %bb.1014:
	s_or_b32 exec_lo, exec_lo, s2
	s_delay_alu instid0(SALU_CYCLE_1)
	s_and_b32 s0, s0, exec_lo
                                        ; implicit-def: $vgpr255
	s_or_saveexec_b32 s1, s1
	v_mov_b32_e32 v173, 0x7f800001
	s_xor_b32 exec_lo, exec_lo, s1
	s_cbranch_execz .LBB10_505
.LBB10_1015:
	v_cmp_ne_u16_e64 vcc_lo, 0, v255
	v_mov_b32_e32 v173, 0
	s_and_not1_b32 s0, s0, exec_lo
	s_and_b32 s2, vcc_lo, exec_lo
	s_delay_alu instid0(SALU_CYCLE_1)
	s_or_b32 s0, s0, s2
	s_or_b32 exec_lo, exec_lo, s1
	s_and_saveexec_b32 s1, s0
	s_cbranch_execnz .LBB10_506
	s_branch .LBB10_507
.LBB10_1016:
	s_mov_b32 s1, -1
	s_mov_b32 s2, exec_lo
	v_cmpx_eq_u16_e64 0x80, v170
; %bb.1017:
	s_xor_b32 s1, exec_lo, -1
; %bb.1018:
	s_or_b32 exec_lo, exec_lo, s2
	s_delay_alu instid0(SALU_CYCLE_1)
	s_and_b32 s1, s1, exec_lo
	s_or_saveexec_b32 s0, s0
	v_mov_b32_e32 v171, 0x7f800001
	s_xor_b32 exec_lo, exec_lo, s0
	s_cbranch_execz .LBB10_509
.LBB10_1019:
	v_cmp_ne_u16_e64 vcc_lo, 0, v170
	v_mov_b32_e32 v171, 0
	s_and_not1_b32 s1, s1, exec_lo
	s_and_b32 s2, vcc_lo, exec_lo
	s_delay_alu instid0(SALU_CYCLE_1)
	s_or_b32 s1, s1, s2
	s_or_b32 exec_lo, exec_lo, s0
	s_and_saveexec_b32 s0, s1
	s_cbranch_execnz .LBB10_510
	s_branch .LBB10_511
.LBB10_1020:
	s_mov_b32 s0, -1
	s_mov_b32 s2, exec_lo
	v_cmpx_eq_u16_e64 0x80, v255
; %bb.1021:
	s_xor_b32 s0, exec_lo, -1
; %bb.1022:
	s_or_b32 exec_lo, exec_lo, s2
	s_delay_alu instid0(SALU_CYCLE_1)
	s_and_b32 s0, s0, exec_lo
                                        ; implicit-def: $vgpr255
	s_or_saveexec_b32 s1, s1
	v_mov_b32_e32 v170, 0x7f800001
	s_xor_b32 exec_lo, exec_lo, s1
	s_cbranch_execz .LBB10_513
.LBB10_1023:
	v_cmp_ne_u16_e64 vcc_lo, 0, v255
	v_mov_b32_e32 v170, 0
	s_and_not1_b32 s0, s0, exec_lo
	s_and_b32 s2, vcc_lo, exec_lo
	s_delay_alu instid0(SALU_CYCLE_1)
	s_or_b32 s0, s0, s2
	s_or_b32 exec_lo, exec_lo, s1
	s_and_saveexec_b32 s1, s0
	s_cbranch_execnz .LBB10_514
	s_branch .LBB10_515
.LBB10_1024:
	s_mov_b32 s0, -1
	s_mov_b32 s2, exec_lo
	v_cmpx_eq_u16_e64 0x80, v255
; %bb.1025:
	s_xor_b32 s0, exec_lo, -1
; %bb.1026:
	s_or_b32 exec_lo, exec_lo, s2
	s_delay_alu instid0(SALU_CYCLE_1)
	s_and_b32 s0, s0, exec_lo
                                        ; implicit-def: $vgpr255
	s_or_saveexec_b32 s1, s1
	v_mov_b32_e32 v132, 0x7f800001
	s_xor_b32 exec_lo, exec_lo, s1
	s_cbranch_execz .LBB10_517
.LBB10_1027:
	v_cmp_ne_u16_e64 vcc_lo, 0, v255
	v_mov_b32_e32 v132, 0
	s_and_not1_b32 s0, s0, exec_lo
	s_and_b32 s2, vcc_lo, exec_lo
	s_delay_alu instid0(SALU_CYCLE_1)
	s_or_b32 s0, s0, s2
	s_or_b32 exec_lo, exec_lo, s1
	s_and_saveexec_b32 s1, s0
	s_cbranch_execnz .LBB10_518
	s_branch .LBB10_519
.LBB10_1028:
	s_mov_b32 s0, -1
	s_mov_b32 s2, exec_lo
	v_cmpx_eq_u16_e64 0x80, v255
; %bb.1029:
	s_xor_b32 s0, exec_lo, -1
; %bb.1030:
	s_or_b32 exec_lo, exec_lo, s2
	s_delay_alu instid0(SALU_CYCLE_1)
	s_and_b32 s0, s0, exec_lo
                                        ; implicit-def: $vgpr255
	s_or_saveexec_b32 s1, s1
	v_mov_b32_e32 v167, 0x7f800001
	s_xor_b32 exec_lo, exec_lo, s1
	s_cbranch_execz .LBB10_521
.LBB10_1031:
	v_cmp_ne_u16_e64 vcc_lo, 0, v255
	v_mov_b32_e32 v167, 0
	s_and_not1_b32 s0, s0, exec_lo
	s_and_b32 s2, vcc_lo, exec_lo
	s_delay_alu instid0(SALU_CYCLE_1)
	s_or_b32 s0, s0, s2
	s_or_b32 exec_lo, exec_lo, s1
	s_and_saveexec_b32 s1, s0
	s_cbranch_execnz .LBB10_522
	s_branch .LBB10_523
.LBB10_1032:
	s_mov_b32 s1, -1
	s_mov_b32 s2, exec_lo
	v_cmpx_eq_u16_e64 0x80, v164
; %bb.1033:
	s_xor_b32 s1, exec_lo, -1
; %bb.1034:
	s_or_b32 exec_lo, exec_lo, s2
	s_delay_alu instid0(SALU_CYCLE_1)
	s_and_b32 s1, s1, exec_lo
	s_or_saveexec_b32 s0, s0
	v_mov_b32_e32 v165, 0x7f800001
	s_xor_b32 exec_lo, exec_lo, s0
	s_cbranch_execz .LBB10_525
.LBB10_1035:
	v_cmp_ne_u16_e64 vcc_lo, 0, v164
	v_mov_b32_e32 v165, 0
	s_and_not1_b32 s1, s1, exec_lo
	s_and_b32 s2, vcc_lo, exec_lo
	s_delay_alu instid0(SALU_CYCLE_1)
	s_or_b32 s1, s1, s2
	s_or_b32 exec_lo, exec_lo, s0
	s_and_saveexec_b32 s0, s1
	s_cbranch_execnz .LBB10_526
	s_branch .LBB10_527
	.section	.rodata,"a",@progbits
	.p2align	6, 0x0
	.amdhsa_kernel _ZN2ck27kernel_gemm_xdl_cshuffle_v3INS_28GridwiseGemm_xdl_cshuffle_v3INS_13tensor_layout4gemm8RowMajorENS3_11ColumnMajorES4_DF16_NS_9f8_fnuz_tEfDF16_DF16_NS_16tensor_operation12element_wise11PassThroughES9_S9_LNS7_6device18GemmSpecializationE0ELi64ELi32ELi32ELi256ELi8ELi16ELi16ELi16ELi2ELi1ENS_8SequenceIJLi32ELi2ELi1EEEENSC_IJLi1ELi0ELi2EEEESE_Li2ELi8ELi8ELb0ELi0ENSC_IJLi16ELi4ELi1EEEESE_SE_Li2ELi16ELi16ELb0ELi0ELi1ELi1ENSC_IJLi1ELi16ELi1ELi4EEEELi4ELNS_26BlockGemmPipelineSchedulerE1ELNS_24BlockGemmPipelineVersionE0EDF16_DF16_Lb0ELb0ELb0ELi0ELb0EEELb0ELNS_25InMemoryDataOperationEnumE1ELi2ELNS_10TailNumberE10EEEvNT_8ArgumentE
		.amdhsa_group_segment_fixed_size 24576
		.amdhsa_private_segment_fixed_size 84
		.amdhsa_kernarg_size 112
		.amdhsa_user_sgpr_count 2
		.amdhsa_user_sgpr_dispatch_ptr 0
		.amdhsa_user_sgpr_queue_ptr 0
		.amdhsa_user_sgpr_kernarg_segment_ptr 1
		.amdhsa_user_sgpr_dispatch_id 0
		.amdhsa_user_sgpr_private_segment_size 0
		.amdhsa_wavefront_size32 1
		.amdhsa_uses_dynamic_stack 0
		.amdhsa_enable_private_segment 1
		.amdhsa_system_sgpr_workgroup_id_x 1
		.amdhsa_system_sgpr_workgroup_id_y 0
		.amdhsa_system_sgpr_workgroup_id_z 1
		.amdhsa_system_sgpr_workgroup_info 0
		.amdhsa_system_vgpr_workitem_id 0
		.amdhsa_next_free_vgpr 256
		.amdhsa_next_free_sgpr 36
		.amdhsa_reserve_vcc 1
		.amdhsa_float_round_mode_32 0
		.amdhsa_float_round_mode_16_64 0
		.amdhsa_float_denorm_mode_32 3
		.amdhsa_float_denorm_mode_16_64 3
		.amdhsa_fp16_overflow 0
		.amdhsa_workgroup_processor_mode 1
		.amdhsa_memory_ordered 1
		.amdhsa_forward_progress 1
		.amdhsa_inst_pref_size 255
		.amdhsa_round_robin_scheduling 0
		.amdhsa_exception_fp_ieee_invalid_op 0
		.amdhsa_exception_fp_denorm_src 0
		.amdhsa_exception_fp_ieee_div_zero 0
		.amdhsa_exception_fp_ieee_overflow 0
		.amdhsa_exception_fp_ieee_underflow 0
		.amdhsa_exception_fp_ieee_inexact 0
		.amdhsa_exception_int_div_zero 0
	.end_amdhsa_kernel
	.section	.text._ZN2ck27kernel_gemm_xdl_cshuffle_v3INS_28GridwiseGemm_xdl_cshuffle_v3INS_13tensor_layout4gemm8RowMajorENS3_11ColumnMajorES4_DF16_NS_9f8_fnuz_tEfDF16_DF16_NS_16tensor_operation12element_wise11PassThroughES9_S9_LNS7_6device18GemmSpecializationE0ELi64ELi32ELi32ELi256ELi8ELi16ELi16ELi16ELi2ELi1ENS_8SequenceIJLi32ELi2ELi1EEEENSC_IJLi1ELi0ELi2EEEESE_Li2ELi8ELi8ELb0ELi0ENSC_IJLi16ELi4ELi1EEEESE_SE_Li2ELi16ELi16ELb0ELi0ELi1ELi1ENSC_IJLi1ELi16ELi1ELi4EEEELi4ELNS_26BlockGemmPipelineSchedulerE1ELNS_24BlockGemmPipelineVersionE0EDF16_DF16_Lb0ELb0ELb0ELi0ELb0EEELb0ELNS_25InMemoryDataOperationEnumE1ELi2ELNS_10TailNumberE10EEEvNT_8ArgumentE,"axG",@progbits,_ZN2ck27kernel_gemm_xdl_cshuffle_v3INS_28GridwiseGemm_xdl_cshuffle_v3INS_13tensor_layout4gemm8RowMajorENS3_11ColumnMajorES4_DF16_NS_9f8_fnuz_tEfDF16_DF16_NS_16tensor_operation12element_wise11PassThroughES9_S9_LNS7_6device18GemmSpecializationE0ELi64ELi32ELi32ELi256ELi8ELi16ELi16ELi16ELi2ELi1ENS_8SequenceIJLi32ELi2ELi1EEEENSC_IJLi1ELi0ELi2EEEESE_Li2ELi8ELi8ELb0ELi0ENSC_IJLi16ELi4ELi1EEEESE_SE_Li2ELi16ELi16ELb0ELi0ELi1ELi1ENSC_IJLi1ELi16ELi1ELi4EEEELi4ELNS_26BlockGemmPipelineSchedulerE1ELNS_24BlockGemmPipelineVersionE0EDF16_DF16_Lb0ELb0ELb0ELi0ELb0EEELb0ELNS_25InMemoryDataOperationEnumE1ELi2ELNS_10TailNumberE10EEEvNT_8ArgumentE,comdat
.Lfunc_end10:
	.size	_ZN2ck27kernel_gemm_xdl_cshuffle_v3INS_28GridwiseGemm_xdl_cshuffle_v3INS_13tensor_layout4gemm8RowMajorENS3_11ColumnMajorES4_DF16_NS_9f8_fnuz_tEfDF16_DF16_NS_16tensor_operation12element_wise11PassThroughES9_S9_LNS7_6device18GemmSpecializationE0ELi64ELi32ELi32ELi256ELi8ELi16ELi16ELi16ELi2ELi1ENS_8SequenceIJLi32ELi2ELi1EEEENSC_IJLi1ELi0ELi2EEEESE_Li2ELi8ELi8ELb0ELi0ENSC_IJLi16ELi4ELi1EEEESE_SE_Li2ELi16ELi16ELb0ELi0ELi1ELi1ENSC_IJLi1ELi16ELi1ELi4EEEELi4ELNS_26BlockGemmPipelineSchedulerE1ELNS_24BlockGemmPipelineVersionE0EDF16_DF16_Lb0ELb0ELb0ELi0ELb0EEELb0ELNS_25InMemoryDataOperationEnumE1ELi2ELNS_10TailNumberE10EEEvNT_8ArgumentE, .Lfunc_end10-_ZN2ck27kernel_gemm_xdl_cshuffle_v3INS_28GridwiseGemm_xdl_cshuffle_v3INS_13tensor_layout4gemm8RowMajorENS3_11ColumnMajorES4_DF16_NS_9f8_fnuz_tEfDF16_DF16_NS_16tensor_operation12element_wise11PassThroughES9_S9_LNS7_6device18GemmSpecializationE0ELi64ELi32ELi32ELi256ELi8ELi16ELi16ELi16ELi2ELi1ENS_8SequenceIJLi32ELi2ELi1EEEENSC_IJLi1ELi0ELi2EEEESE_Li2ELi8ELi8ELb0ELi0ENSC_IJLi16ELi4ELi1EEEESE_SE_Li2ELi16ELi16ELb0ELi0ELi1ELi1ENSC_IJLi1ELi16ELi1ELi4EEEELi4ELNS_26BlockGemmPipelineSchedulerE1ELNS_24BlockGemmPipelineVersionE0EDF16_DF16_Lb0ELb0ELb0ELi0ELb0EEELb0ELNS_25InMemoryDataOperationEnumE1ELi2ELNS_10TailNumberE10EEEvNT_8ArgumentE
                                        ; -- End function
	.set _ZN2ck27kernel_gemm_xdl_cshuffle_v3INS_28GridwiseGemm_xdl_cshuffle_v3INS_13tensor_layout4gemm8RowMajorENS3_11ColumnMajorES4_DF16_NS_9f8_fnuz_tEfDF16_DF16_NS_16tensor_operation12element_wise11PassThroughES9_S9_LNS7_6device18GemmSpecializationE0ELi64ELi32ELi32ELi256ELi8ELi16ELi16ELi16ELi2ELi1ENS_8SequenceIJLi32ELi2ELi1EEEENSC_IJLi1ELi0ELi2EEEESE_Li2ELi8ELi8ELb0ELi0ENSC_IJLi16ELi4ELi1EEEESE_SE_Li2ELi16ELi16ELb0ELi0ELi1ELi1ENSC_IJLi1ELi16ELi1ELi4EEEELi4ELNS_26BlockGemmPipelineSchedulerE1ELNS_24BlockGemmPipelineVersionE0EDF16_DF16_Lb0ELb0ELb0ELi0ELb0EEELb0ELNS_25InMemoryDataOperationEnumE1ELi2ELNS_10TailNumberE10EEEvNT_8ArgumentE.num_vgpr, 256
	.set _ZN2ck27kernel_gemm_xdl_cshuffle_v3INS_28GridwiseGemm_xdl_cshuffle_v3INS_13tensor_layout4gemm8RowMajorENS3_11ColumnMajorES4_DF16_NS_9f8_fnuz_tEfDF16_DF16_NS_16tensor_operation12element_wise11PassThroughES9_S9_LNS7_6device18GemmSpecializationE0ELi64ELi32ELi32ELi256ELi8ELi16ELi16ELi16ELi2ELi1ENS_8SequenceIJLi32ELi2ELi1EEEENSC_IJLi1ELi0ELi2EEEESE_Li2ELi8ELi8ELb0ELi0ENSC_IJLi16ELi4ELi1EEEESE_SE_Li2ELi16ELi16ELb0ELi0ELi1ELi1ENSC_IJLi1ELi16ELi1ELi4EEEELi4ELNS_26BlockGemmPipelineSchedulerE1ELNS_24BlockGemmPipelineVersionE0EDF16_DF16_Lb0ELb0ELb0ELi0ELb0EEELb0ELNS_25InMemoryDataOperationEnumE1ELi2ELNS_10TailNumberE10EEEvNT_8ArgumentE.num_agpr, 0
	.set _ZN2ck27kernel_gemm_xdl_cshuffle_v3INS_28GridwiseGemm_xdl_cshuffle_v3INS_13tensor_layout4gemm8RowMajorENS3_11ColumnMajorES4_DF16_NS_9f8_fnuz_tEfDF16_DF16_NS_16tensor_operation12element_wise11PassThroughES9_S9_LNS7_6device18GemmSpecializationE0ELi64ELi32ELi32ELi256ELi8ELi16ELi16ELi16ELi2ELi1ENS_8SequenceIJLi32ELi2ELi1EEEENSC_IJLi1ELi0ELi2EEEESE_Li2ELi8ELi8ELb0ELi0ENSC_IJLi16ELi4ELi1EEEESE_SE_Li2ELi16ELi16ELb0ELi0ELi1ELi1ENSC_IJLi1ELi16ELi1ELi4EEEELi4ELNS_26BlockGemmPipelineSchedulerE1ELNS_24BlockGemmPipelineVersionE0EDF16_DF16_Lb0ELb0ELb0ELi0ELb0EEELb0ELNS_25InMemoryDataOperationEnumE1ELi2ELNS_10TailNumberE10EEEvNT_8ArgumentE.numbered_sgpr, 36
	.set _ZN2ck27kernel_gemm_xdl_cshuffle_v3INS_28GridwiseGemm_xdl_cshuffle_v3INS_13tensor_layout4gemm8RowMajorENS3_11ColumnMajorES4_DF16_NS_9f8_fnuz_tEfDF16_DF16_NS_16tensor_operation12element_wise11PassThroughES9_S9_LNS7_6device18GemmSpecializationE0ELi64ELi32ELi32ELi256ELi8ELi16ELi16ELi16ELi2ELi1ENS_8SequenceIJLi32ELi2ELi1EEEENSC_IJLi1ELi0ELi2EEEESE_Li2ELi8ELi8ELb0ELi0ENSC_IJLi16ELi4ELi1EEEESE_SE_Li2ELi16ELi16ELb0ELi0ELi1ELi1ENSC_IJLi1ELi16ELi1ELi4EEEELi4ELNS_26BlockGemmPipelineSchedulerE1ELNS_24BlockGemmPipelineVersionE0EDF16_DF16_Lb0ELb0ELb0ELi0ELb0EEELb0ELNS_25InMemoryDataOperationEnumE1ELi2ELNS_10TailNumberE10EEEvNT_8ArgumentE.num_named_barrier, 0
	.set _ZN2ck27kernel_gemm_xdl_cshuffle_v3INS_28GridwiseGemm_xdl_cshuffle_v3INS_13tensor_layout4gemm8RowMajorENS3_11ColumnMajorES4_DF16_NS_9f8_fnuz_tEfDF16_DF16_NS_16tensor_operation12element_wise11PassThroughES9_S9_LNS7_6device18GemmSpecializationE0ELi64ELi32ELi32ELi256ELi8ELi16ELi16ELi16ELi2ELi1ENS_8SequenceIJLi32ELi2ELi1EEEENSC_IJLi1ELi0ELi2EEEESE_Li2ELi8ELi8ELb0ELi0ENSC_IJLi16ELi4ELi1EEEESE_SE_Li2ELi16ELi16ELb0ELi0ELi1ELi1ENSC_IJLi1ELi16ELi1ELi4EEEELi4ELNS_26BlockGemmPipelineSchedulerE1ELNS_24BlockGemmPipelineVersionE0EDF16_DF16_Lb0ELb0ELb0ELi0ELb0EEELb0ELNS_25InMemoryDataOperationEnumE1ELi2ELNS_10TailNumberE10EEEvNT_8ArgumentE.private_seg_size, 84
	.set _ZN2ck27kernel_gemm_xdl_cshuffle_v3INS_28GridwiseGemm_xdl_cshuffle_v3INS_13tensor_layout4gemm8RowMajorENS3_11ColumnMajorES4_DF16_NS_9f8_fnuz_tEfDF16_DF16_NS_16tensor_operation12element_wise11PassThroughES9_S9_LNS7_6device18GemmSpecializationE0ELi64ELi32ELi32ELi256ELi8ELi16ELi16ELi16ELi2ELi1ENS_8SequenceIJLi32ELi2ELi1EEEENSC_IJLi1ELi0ELi2EEEESE_Li2ELi8ELi8ELb0ELi0ENSC_IJLi16ELi4ELi1EEEESE_SE_Li2ELi16ELi16ELb0ELi0ELi1ELi1ENSC_IJLi1ELi16ELi1ELi4EEEELi4ELNS_26BlockGemmPipelineSchedulerE1ELNS_24BlockGemmPipelineVersionE0EDF16_DF16_Lb0ELb0ELb0ELi0ELb0EEELb0ELNS_25InMemoryDataOperationEnumE1ELi2ELNS_10TailNumberE10EEEvNT_8ArgumentE.uses_vcc, 1
	.set _ZN2ck27kernel_gemm_xdl_cshuffle_v3INS_28GridwiseGemm_xdl_cshuffle_v3INS_13tensor_layout4gemm8RowMajorENS3_11ColumnMajorES4_DF16_NS_9f8_fnuz_tEfDF16_DF16_NS_16tensor_operation12element_wise11PassThroughES9_S9_LNS7_6device18GemmSpecializationE0ELi64ELi32ELi32ELi256ELi8ELi16ELi16ELi16ELi2ELi1ENS_8SequenceIJLi32ELi2ELi1EEEENSC_IJLi1ELi0ELi2EEEESE_Li2ELi8ELi8ELb0ELi0ENSC_IJLi16ELi4ELi1EEEESE_SE_Li2ELi16ELi16ELb0ELi0ELi1ELi1ENSC_IJLi1ELi16ELi1ELi4EEEELi4ELNS_26BlockGemmPipelineSchedulerE1ELNS_24BlockGemmPipelineVersionE0EDF16_DF16_Lb0ELb0ELb0ELi0ELb0EEELb0ELNS_25InMemoryDataOperationEnumE1ELi2ELNS_10TailNumberE10EEEvNT_8ArgumentE.uses_flat_scratch, 1
	.set _ZN2ck27kernel_gemm_xdl_cshuffle_v3INS_28GridwiseGemm_xdl_cshuffle_v3INS_13tensor_layout4gemm8RowMajorENS3_11ColumnMajorES4_DF16_NS_9f8_fnuz_tEfDF16_DF16_NS_16tensor_operation12element_wise11PassThroughES9_S9_LNS7_6device18GemmSpecializationE0ELi64ELi32ELi32ELi256ELi8ELi16ELi16ELi16ELi2ELi1ENS_8SequenceIJLi32ELi2ELi1EEEENSC_IJLi1ELi0ELi2EEEESE_Li2ELi8ELi8ELb0ELi0ENSC_IJLi16ELi4ELi1EEEESE_SE_Li2ELi16ELi16ELb0ELi0ELi1ELi1ENSC_IJLi1ELi16ELi1ELi4EEEELi4ELNS_26BlockGemmPipelineSchedulerE1ELNS_24BlockGemmPipelineVersionE0EDF16_DF16_Lb0ELb0ELb0ELi0ELb0EEELb0ELNS_25InMemoryDataOperationEnumE1ELi2ELNS_10TailNumberE10EEEvNT_8ArgumentE.has_dyn_sized_stack, 0
	.set _ZN2ck27kernel_gemm_xdl_cshuffle_v3INS_28GridwiseGemm_xdl_cshuffle_v3INS_13tensor_layout4gemm8RowMajorENS3_11ColumnMajorES4_DF16_NS_9f8_fnuz_tEfDF16_DF16_NS_16tensor_operation12element_wise11PassThroughES9_S9_LNS7_6device18GemmSpecializationE0ELi64ELi32ELi32ELi256ELi8ELi16ELi16ELi16ELi2ELi1ENS_8SequenceIJLi32ELi2ELi1EEEENSC_IJLi1ELi0ELi2EEEESE_Li2ELi8ELi8ELb0ELi0ENSC_IJLi16ELi4ELi1EEEESE_SE_Li2ELi16ELi16ELb0ELi0ELi1ELi1ENSC_IJLi1ELi16ELi1ELi4EEEELi4ELNS_26BlockGemmPipelineSchedulerE1ELNS_24BlockGemmPipelineVersionE0EDF16_DF16_Lb0ELb0ELb0ELi0ELb0EEELb0ELNS_25InMemoryDataOperationEnumE1ELi2ELNS_10TailNumberE10EEEvNT_8ArgumentE.has_recursion, 0
	.set _ZN2ck27kernel_gemm_xdl_cshuffle_v3INS_28GridwiseGemm_xdl_cshuffle_v3INS_13tensor_layout4gemm8RowMajorENS3_11ColumnMajorES4_DF16_NS_9f8_fnuz_tEfDF16_DF16_NS_16tensor_operation12element_wise11PassThroughES9_S9_LNS7_6device18GemmSpecializationE0ELi64ELi32ELi32ELi256ELi8ELi16ELi16ELi16ELi2ELi1ENS_8SequenceIJLi32ELi2ELi1EEEENSC_IJLi1ELi0ELi2EEEESE_Li2ELi8ELi8ELb0ELi0ENSC_IJLi16ELi4ELi1EEEESE_SE_Li2ELi16ELi16ELb0ELi0ELi1ELi1ENSC_IJLi1ELi16ELi1ELi4EEEELi4ELNS_26BlockGemmPipelineSchedulerE1ELNS_24BlockGemmPipelineVersionE0EDF16_DF16_Lb0ELb0ELb0ELi0ELb0EEELb0ELNS_25InMemoryDataOperationEnumE1ELi2ELNS_10TailNumberE10EEEvNT_8ArgumentE.has_indirect_call, 0
	.section	.AMDGPU.csdata,"",@progbits
; Kernel info:
; codeLenInByte = 42336
; TotalNumSgprs: 38
; NumVgprs: 256
; ScratchSize: 84
; MemoryBound: 0
; FloatMode: 240
; IeeeMode: 1
; LDSByteSize: 24576 bytes/workgroup (compile time only)
; SGPRBlocks: 0
; VGPRBlocks: 31
; NumSGPRsForWavesPerEU: 38
; NumVGPRsForWavesPerEU: 256
; Occupancy: 3
; WaveLimiterHint : 0
; COMPUTE_PGM_RSRC2:SCRATCH_EN: 1
; COMPUTE_PGM_RSRC2:USER_SGPR: 2
; COMPUTE_PGM_RSRC2:TRAP_HANDLER: 0
; COMPUTE_PGM_RSRC2:TGID_X_EN: 1
; COMPUTE_PGM_RSRC2:TGID_Y_EN: 0
; COMPUTE_PGM_RSRC2:TGID_Z_EN: 1
; COMPUTE_PGM_RSRC2:TIDIG_COMP_CNT: 0
	.section	.text._ZN2ck27kernel_gemm_xdl_cshuffle_v3INS_28GridwiseGemm_xdl_cshuffle_v3INS_13tensor_layout4gemm8RowMajorENS3_11ColumnMajorES4_DF16_NS_9f8_fnuz_tEfDF16_DF16_NS_16tensor_operation12element_wise11PassThroughES9_S9_LNS7_6device18GemmSpecializationE0ELi64ELi32ELi32ELi256ELi8ELi16ELi16ELi16ELi2ELi1ENS_8SequenceIJLi32ELi2ELi1EEEENSC_IJLi1ELi0ELi2EEEESE_Li2ELi8ELi8ELb0ELi0ENSC_IJLi16ELi4ELi1EEEESE_SE_Li2ELi16ELi16ELb0ELi0ELi1ELi1ENSC_IJLi1ELi16ELi1ELi4EEEELi4ELNS_26BlockGemmPipelineSchedulerE1ELNS_24BlockGemmPipelineVersionE0EDF16_DF16_Lb0ELb0ELb0ELi0ELb0EEELb0ELNS_25InMemoryDataOperationEnumE0ELi2ELNS_10TailNumberE10EEEvNT_8ArgumentE,"axG",@progbits,_ZN2ck27kernel_gemm_xdl_cshuffle_v3INS_28GridwiseGemm_xdl_cshuffle_v3INS_13tensor_layout4gemm8RowMajorENS3_11ColumnMajorES4_DF16_NS_9f8_fnuz_tEfDF16_DF16_NS_16tensor_operation12element_wise11PassThroughES9_S9_LNS7_6device18GemmSpecializationE0ELi64ELi32ELi32ELi256ELi8ELi16ELi16ELi16ELi2ELi1ENS_8SequenceIJLi32ELi2ELi1EEEENSC_IJLi1ELi0ELi2EEEESE_Li2ELi8ELi8ELb0ELi0ENSC_IJLi16ELi4ELi1EEEESE_SE_Li2ELi16ELi16ELb0ELi0ELi1ELi1ENSC_IJLi1ELi16ELi1ELi4EEEELi4ELNS_26BlockGemmPipelineSchedulerE1ELNS_24BlockGemmPipelineVersionE0EDF16_DF16_Lb0ELb0ELb0ELi0ELb0EEELb0ELNS_25InMemoryDataOperationEnumE0ELi2ELNS_10TailNumberE10EEEvNT_8ArgumentE,comdat
	.protected	_ZN2ck27kernel_gemm_xdl_cshuffle_v3INS_28GridwiseGemm_xdl_cshuffle_v3INS_13tensor_layout4gemm8RowMajorENS3_11ColumnMajorES4_DF16_NS_9f8_fnuz_tEfDF16_DF16_NS_16tensor_operation12element_wise11PassThroughES9_S9_LNS7_6device18GemmSpecializationE0ELi64ELi32ELi32ELi256ELi8ELi16ELi16ELi16ELi2ELi1ENS_8SequenceIJLi32ELi2ELi1EEEENSC_IJLi1ELi0ELi2EEEESE_Li2ELi8ELi8ELb0ELi0ENSC_IJLi16ELi4ELi1EEEESE_SE_Li2ELi16ELi16ELb0ELi0ELi1ELi1ENSC_IJLi1ELi16ELi1ELi4EEEELi4ELNS_26BlockGemmPipelineSchedulerE1ELNS_24BlockGemmPipelineVersionE0EDF16_DF16_Lb0ELb0ELb0ELi0ELb0EEELb0ELNS_25InMemoryDataOperationEnumE0ELi2ELNS_10TailNumberE10EEEvNT_8ArgumentE ; -- Begin function _ZN2ck27kernel_gemm_xdl_cshuffle_v3INS_28GridwiseGemm_xdl_cshuffle_v3INS_13tensor_layout4gemm8RowMajorENS3_11ColumnMajorES4_DF16_NS_9f8_fnuz_tEfDF16_DF16_NS_16tensor_operation12element_wise11PassThroughES9_S9_LNS7_6device18GemmSpecializationE0ELi64ELi32ELi32ELi256ELi8ELi16ELi16ELi16ELi2ELi1ENS_8SequenceIJLi32ELi2ELi1EEEENSC_IJLi1ELi0ELi2EEEESE_Li2ELi8ELi8ELb0ELi0ENSC_IJLi16ELi4ELi1EEEESE_SE_Li2ELi16ELi16ELb0ELi0ELi1ELi1ENSC_IJLi1ELi16ELi1ELi4EEEELi4ELNS_26BlockGemmPipelineSchedulerE1ELNS_24BlockGemmPipelineVersionE0EDF16_DF16_Lb0ELb0ELb0ELi0ELb0EEELb0ELNS_25InMemoryDataOperationEnumE0ELi2ELNS_10TailNumberE10EEEvNT_8ArgumentE
	.globl	_ZN2ck27kernel_gemm_xdl_cshuffle_v3INS_28GridwiseGemm_xdl_cshuffle_v3INS_13tensor_layout4gemm8RowMajorENS3_11ColumnMajorES4_DF16_NS_9f8_fnuz_tEfDF16_DF16_NS_16tensor_operation12element_wise11PassThroughES9_S9_LNS7_6device18GemmSpecializationE0ELi64ELi32ELi32ELi256ELi8ELi16ELi16ELi16ELi2ELi1ENS_8SequenceIJLi32ELi2ELi1EEEENSC_IJLi1ELi0ELi2EEEESE_Li2ELi8ELi8ELb0ELi0ENSC_IJLi16ELi4ELi1EEEESE_SE_Li2ELi16ELi16ELb0ELi0ELi1ELi1ENSC_IJLi1ELi16ELi1ELi4EEEELi4ELNS_26BlockGemmPipelineSchedulerE1ELNS_24BlockGemmPipelineVersionE0EDF16_DF16_Lb0ELb0ELb0ELi0ELb0EEELb0ELNS_25InMemoryDataOperationEnumE0ELi2ELNS_10TailNumberE10EEEvNT_8ArgumentE
	.p2align	8
	.type	_ZN2ck27kernel_gemm_xdl_cshuffle_v3INS_28GridwiseGemm_xdl_cshuffle_v3INS_13tensor_layout4gemm8RowMajorENS3_11ColumnMajorES4_DF16_NS_9f8_fnuz_tEfDF16_DF16_NS_16tensor_operation12element_wise11PassThroughES9_S9_LNS7_6device18GemmSpecializationE0ELi64ELi32ELi32ELi256ELi8ELi16ELi16ELi16ELi2ELi1ENS_8SequenceIJLi32ELi2ELi1EEEENSC_IJLi1ELi0ELi2EEEESE_Li2ELi8ELi8ELb0ELi0ENSC_IJLi16ELi4ELi1EEEESE_SE_Li2ELi16ELi16ELb0ELi0ELi1ELi1ENSC_IJLi1ELi16ELi1ELi4EEEELi4ELNS_26BlockGemmPipelineSchedulerE1ELNS_24BlockGemmPipelineVersionE0EDF16_DF16_Lb0ELb0ELb0ELi0ELb0EEELb0ELNS_25InMemoryDataOperationEnumE0ELi2ELNS_10TailNumberE10EEEvNT_8ArgumentE,@function
_ZN2ck27kernel_gemm_xdl_cshuffle_v3INS_28GridwiseGemm_xdl_cshuffle_v3INS_13tensor_layout4gemm8RowMajorENS3_11ColumnMajorES4_DF16_NS_9f8_fnuz_tEfDF16_DF16_NS_16tensor_operation12element_wise11PassThroughES9_S9_LNS7_6device18GemmSpecializationE0ELi64ELi32ELi32ELi256ELi8ELi16ELi16ELi16ELi2ELi1ENS_8SequenceIJLi32ELi2ELi1EEEENSC_IJLi1ELi0ELi2EEEESE_Li2ELi8ELi8ELb0ELi0ENSC_IJLi16ELi4ELi1EEEESE_SE_Li2ELi16ELi16ELb0ELi0ELi1ELi1ENSC_IJLi1ELi16ELi1ELi4EEEELi4ELNS_26BlockGemmPipelineSchedulerE1ELNS_24BlockGemmPipelineVersionE0EDF16_DF16_Lb0ELb0ELb0ELi0ELb0EEELb0ELNS_25InMemoryDataOperationEnumE0ELi2ELNS_10TailNumberE10EEEvNT_8ArgumentE: ; @_ZN2ck27kernel_gemm_xdl_cshuffle_v3INS_28GridwiseGemm_xdl_cshuffle_v3INS_13tensor_layout4gemm8RowMajorENS3_11ColumnMajorES4_DF16_NS_9f8_fnuz_tEfDF16_DF16_NS_16tensor_operation12element_wise11PassThroughES9_S9_LNS7_6device18GemmSpecializationE0ELi64ELi32ELi32ELi256ELi8ELi16ELi16ELi16ELi2ELi1ENS_8SequenceIJLi32ELi2ELi1EEEENSC_IJLi1ELi0ELi2EEEESE_Li2ELi8ELi8ELb0ELi0ENSC_IJLi16ELi4ELi1EEEESE_SE_Li2ELi16ELi16ELb0ELi0ELi1ELi1ENSC_IJLi1ELi16ELi1ELi4EEEELi4ELNS_26BlockGemmPipelineSchedulerE1ELNS_24BlockGemmPipelineVersionE0EDF16_DF16_Lb0ELb0ELb0ELi0ELb0EEELb0ELNS_25InMemoryDataOperationEnumE0ELi2ELNS_10TailNumberE10EEEvNT_8ArgumentE
; %bb.0:
	s_clause 0x3
	s_load_b96 s[16:18], s[0:1], 0x20
	s_load_b96 s[20:22], s[0:1], 0x60
	s_load_b128 s[4:7], s[0:1], 0x10
	s_load_b128 s[8:11], s[0:1], 0x50
	s_lshr_b32 s2, ttmp7, 16
	s_mov_b32 s3, ttmp9
	s_wait_kmcnt 0x0
	s_cmp_gt_i32 s18, 1
	s_cselect_b32 s12, -1, 0
	s_bitcmp1_b32 s22, 0
	s_mov_b64 s[22:23], 0
	s_cselect_b32 s13, -1, 0
	s_delay_alu instid0(SALU_CYCLE_1) | instskip(NEXT) | instid1(SALU_CYCLE_1)
	s_and_b32 s12, s12, s13
	s_and_not1_b32 vcc_lo, exec_lo, s12
	s_cbranch_vccnz .LBB11_2
; %bb.1:
	s_mul_i32 s12, s4, s2
	s_delay_alu instid0(SALU_CYCLE_1) | instskip(NEXT) | instid1(SALU_CYCLE_1)
	s_mul_i32 s22, s12, s5
	s_ashr_i32 s23, s22, 31
.LBB11_2:
	s_load_b32 s0, s[0:1], 0x34
	s_add_co_i32 s25, s4, -1
	s_mov_b32 s24, 0
	s_cmp_lt_u32 s25, 32
	s_cbranch_scc1 .LBB11_6
; %bb.3:
	s_add_co_i32 s1, s5, -1
	s_delay_alu instid0(SALU_CYCLE_1)
	s_cmp_lt_u32 s1, 32
	s_mov_b32 s1, 0
	s_cbranch_scc1 .LBB11_10
; %bb.4:
	s_add_co_i32 s1, s4, 31
	s_add_co_i32 s12, s5, 31
	s_ashr_i32 s13, s1, 31
	s_ashr_i32 s14, s12, 31
	s_lshr_b32 s13, s13, 27
	s_lshr_b32 s14, s14, 27
	s_add_co_i32 s1, s1, s13
	s_add_co_i32 s13, s12, s14
	s_ashr_i32 s12, s1, 5
	s_ashr_i32 s1, s13, 5
	s_ashr_i32 s19, s3, 31
	s_mul_i32 s13, s1, s12
	s_delay_alu instid0(SALU_CYCLE_1) | instskip(NEXT) | instid1(SALU_CYCLE_1)
	s_add_co_i32 s14, s13, 7
	s_ashr_i32 s15, s14, 31
	s_delay_alu instid0(SALU_CYCLE_1) | instskip(NEXT) | instid1(SALU_CYCLE_1)
	s_lshr_b32 s15, s15, 29
	s_add_co_i32 s15, s14, s15
	s_lshr_b32 s14, s19, 29
	s_and_b32 s26, s15, -8
	s_add_co_i32 s19, s3, s14
	s_sub_co_i32 s13, s13, s26
	s_and_b32 s14, s19, -8
	s_add_co_i32 s13, s13, 8
	s_sub_co_i32 s14, s3, s14
	s_ashr_i32 s15, s15, 3
	s_cmp_gt_i32 s14, s13
	s_cbranch_scc1 .LBB11_7
; %bb.5:
	s_mul_i32 s3, s15, s14
	s_ashr_i32 s19, s19, 3
	s_cbranch_execz .LBB11_8
	s_branch .LBB11_9
.LBB11_6:
	s_mov_b32 s19, s24
	s_branch .LBB11_11
.LBB11_7:
                                        ; implicit-def: $sgpr3
	s_ashr_i32 s19, s19, 3
.LBB11_8:
	s_add_co_i32 s3, s15, -1
	s_delay_alu instid0(SALU_CYCLE_1) | instskip(NEXT) | instid1(SALU_CYCLE_1)
	s_mul_i32 s3, s3, s14
	s_add_co_i32 s3, s13, s3
.LBB11_9:
	s_abs_i32 s13, s1
	s_add_co_i32 s3, s3, s19
	s_cvt_f32_u32 s14, s13
	s_sub_co_i32 s15, 0, s13
	s_abs_i32 s19, s3
	s_delay_alu instid0(SALU_CYCLE_1) | instskip(NEXT) | instid1(TRANS32_DEP_1)
	v_rcp_iflag_f32_e32 v1, s14
	v_readfirstlane_b32 s14, v1
	s_mul_f32 s14, s14, 0x4f7ffffe
	s_wait_alu 0xfffe
	s_delay_alu instid0(SALU_CYCLE_2) | instskip(SKIP_1) | instid1(SALU_CYCLE_2)
	s_cvt_u32_f32 s14, s14
	s_wait_alu 0xfffe
	s_mul_i32 s15, s15, s14
	s_wait_alu 0xfffe
	s_mul_hi_u32 s15, s14, s15
	s_wait_alu 0xfffe
	s_add_co_i32 s14, s14, s15
	s_xor_b32 s15, s3, s1
	s_wait_alu 0xfffe
	s_mul_hi_u32 s14, s19, s14
	s_ashr_i32 s15, s15, 31
	s_wait_alu 0xfffe
	s_mul_i32 s26, s14, s13
	s_delay_alu instid0(SALU_CYCLE_1)
	s_sub_co_i32 s19, s19, s26
	s_add_co_i32 s26, s14, 1
	s_sub_co_i32 s27, s19, s13
	s_cmp_ge_u32 s19, s13
	s_cselect_b32 s14, s26, s14
	s_cselect_b32 s19, s27, s19
	s_wait_alu 0xfffe
	s_add_co_i32 s26, s14, 1
	s_cmp_ge_u32 s19, s13
	s_cselect_b32 s13, s26, s14
	s_lshr_b32 s14, s12, 30
	s_xor_b32 s13, s13, s15
	s_wait_alu 0xfffe
	s_add_co_i32 s14, s12, s14
	s_sub_co_i32 s13, s13, s15
	s_wait_alu 0xfffe
	s_and_b32 s14, s14, -4
	s_mul_i32 s15, s13, s1
	s_wait_alu 0xfffe
	s_sub_co_i32 s12, s12, s14
	s_sub_co_i32 s3, s3, s15
	s_cmp_ge_i32 s13, s14
	s_cselect_b32 s12, s12, 4
	s_ashr_i32 s19, s13, 31
	s_abs_i32 s14, s12
	s_lshr_b32 s19, s19, 30
	s_wait_alu 0xfffe
	s_cvt_f32_u32 s15, s14
	s_add_co_i32 s19, s13, s19
	s_sub_co_i32 s26, 0, s14
	s_and_b32 s19, s19, -4
	s_wait_alu 0xfffe
	v_rcp_iflag_f32_e32 v1, s15
	s_sub_co_i32 s19, s13, s19
	s_delay_alu instid0(SALU_CYCLE_1) | instskip(NEXT) | instid1(SALU_CYCLE_1)
	s_mul_i32 s1, s19, s1
	s_add_co_i32 s3, s1, s3
	s_delay_alu instid0(TRANS32_DEP_1) | instskip(SKIP_2) | instid1(SALU_CYCLE_2)
	v_readfirstlane_b32 s15, v1
	s_mul_f32 s15, s15, 0x4f7ffffe
	s_wait_alu 0xfffe
	s_cvt_u32_f32 s15, s15
	s_wait_alu 0xfffe
	s_delay_alu instid0(SALU_CYCLE_2) | instskip(NEXT) | instid1(SALU_CYCLE_1)
	s_mul_i32 s26, s26, s15
	s_mul_hi_u32 s1, s15, s26
	s_abs_i32 s26, s3
	s_add_co_i32 s15, s15, s1
	s_wait_alu 0xfffe
	s_mul_hi_u32 s1, s26, s15
	s_xor_b32 s15, s3, s12
	s_mul_i32 s27, s1, s14
	s_wait_alu 0xfffe
	s_ashr_i32 s15, s15, 31
	s_sub_co_i32 s26, s26, s27
	s_add_co_i32 s27, s1, 1
	s_sub_co_i32 s28, s26, s14
	s_cmp_ge_u32 s26, s14
	s_cselect_b32 s1, s27, s1
	s_cselect_b32 s26, s28, s26
	s_add_co_i32 s27, s1, 1
	s_cmp_ge_u32 s26, s14
	s_cselect_b32 s1, s27, s1
	s_wait_alu 0xfffe
	s_xor_b32 s1, s1, s15
	s_delay_alu instid0(SALU_CYCLE_1) | instskip(NEXT) | instid1(SALU_CYCLE_1)
	s_sub_co_i32 s1, s1, s15
	s_mul_i32 s12, s1, s12
	s_delay_alu instid0(SALU_CYCLE_1) | instskip(NEXT) | instid1(SALU_CYCLE_1)
	s_sub_co_i32 s3, s3, s12
	s_add_co_i32 s3, s3, s13
	s_delay_alu instid0(SALU_CYCLE_1)
	s_sub_co_i32 s3, s3, s19
.LBB11_10:
	s_delay_alu instid0(SALU_CYCLE_1)
	s_mov_b32 s19, s3
	s_mov_b32 s3, s1
.LBB11_11:
	v_lshrrev_b32_e32 v99, 1, v0
	v_and_b32_e32 v100, 31, v0
	s_add_co_i32 s1, s18, -1
	s_wait_kmcnt 0x0
	s_mul_i32 s12, s0, s2
	s_mul_i32 s13, s1, s0
	v_and_b32_e32 v2, 16, v99
	s_sub_co_i32 s6, s6, s13
	s_cmp_lt_u32 s2, s1
	s_mov_b32 s14, s7
	s_cselect_b32 s29, s0, s6
	v_lshl_or_b32 v1, s19, 5, v2
	v_cmp_eq_u32_e32 vcc_lo, 0, v2
	s_lshl_b32 s6, s3, 5
	s_mov_b32 s15, s24
	s_mov_b32 s26, s16
	v_mul_lo_u32 v1, v1, s7
	s_mov_b32 s27, s24
	s_mov_b32 s0, s24
	s_ashr_i32 s13, s12, 31
	s_add_co_i32 s1, s5, -1
	s_mov_b32 s28, s24
	s_wait_alu 0xfffe
	s_mul_u64 s[30:31], s[24:25], s[14:15]
	s_lshl_b64 s[34:35], s[12:13], 1
	v_lshl_add_u32 v3, v100, 3, v1
	v_and_b32_e32 v1, 15, v0
	v_and_b32_e32 v161, 24, v99
	s_add_nc_u64 s[12:13], s[10:11], s[12:13]
	s_mul_u64 s[10:11], s[0:1], s[26:27]
	v_add_nc_u32_e32 v4, s7, v3
	v_lshlrev_b32_e32 v3, 1, v3
	v_or_b32_e32 v5, s6, v161
	s_mov_b32 s3, 0x31004000
	s_add_co_i32 s2, s29, s31
	v_add_nc_u32_e32 v11, s7, v4
	s_add_nc_u64 s[0:1], s[8:9], s[34:35]
	v_mul_lo_u32 v5, v5, s16
	s_add_nc_u64 s[8:9], s[28:29], s[10:11]
	v_lshlrev_b32_e32 v7, 1, v4
	v_add_nc_u32_e32 v12, s7, v11
	v_lshlrev_b32_e32 v11, 1, v11
	s_mov_b32 s15, s3
	s_lshl_b32 s2, s2, 1
	s_and_b32 s13, s13, 0xffff
	v_add_nc_u32_e32 v13, s7, v12
	v_lshl_add_u32 v67, v1, 4, v5
	v_lshlrev_b32_e32 v15, 1, v12
	s_and_b32 s1, s1, 0xffff
	s_mov_b32 s14, s9
	v_add_nc_u32_e32 v14, s7, v13
	v_add_nc_u32_e32 v71, s16, v67
	v_lshlrev_b32_e32 v19, 1, v13
	s_clause 0x1
	buffer_load_b128 v[3:6], v3, s[0:3], null offen
	buffer_load_b128 v[7:10], v7, s[0:3], null offen
	v_and_b32_e32 v99, 8, v99
	v_add_nc_u32_e32 v27, s7, v14
	v_add_nc_u32_e32 v75, s16, v71
	v_lshlrev_b32_e32 v23, 1, v14
	s_clause 0x3
	buffer_load_b128 v[11:14], v11, s[0:3], null offen
	buffer_load_b128 v[15:18], v15, s[0:3], null offen
	;; [unrolled: 1-line block ×4, first 2 shown]
	v_add_nc_u32_e32 v28, s7, v27
	v_add_nc_u32_e32 v79, s16, v75
	v_lshlrev_b32_e32 v27, 1, v27
	v_xor_b32_e32 v101, v2, v100
	v_lshlrev_b32_e32 v102, 8, v2
	v_add_nc_u32_e32 v29, s7, v28
	v_add_nc_u32_e32 v83, s16, v79
	v_lshlrev_b32_e32 v31, 1, v28
	v_or_b32_e32 v105, 1, v2
	v_or_b32_e32 v106, 2, v2
	v_add_nc_u32_e32 v30, s7, v29
	v_add_nc_u32_e32 v87, s16, v83
	v_lshlrev_b32_e32 v35, 1, v29
	v_or_b32_e32 v107, 3, v2
	v_or_b32_e32 v108, 4, v2
	v_add_nc_u32_e32 v43, s7, v30
	v_add_nc_u32_e32 v91, s16, v87
	v_lshlrev_b32_e32 v39, 1, v30
	s_clause 0x3
	buffer_load_b128 v[27:30], v27, s[0:3], null offen
	buffer_load_b128 v[31:34], v31, s[0:3], null offen
	buffer_load_b128 v[35:38], v35, s[0:3], null offen
	buffer_load_b128 v[39:42], v39, s[0:3], null offen
	v_add_nc_u32_e32 v44, s7, v43
	v_lshlrev_b32_e32 v43, 1, v43
	v_add_nc_u32_e32 v95, s16, v91
	v_or_b32_e32 v109, 5, v2
	v_or_b32_e32 v110, 6, v2
	v_add_nc_u32_e32 v45, s7, v44
	v_lshlrev_b32_e32 v48, 1, v44
	v_or_b32_e32 v111, 7, v2
	v_or_b32_e32 v112, 8, v2
	v_or_b32_e32 v113, 9, v2
	v_add_nc_u32_e32 v46, s7, v45
	v_lshlrev_b32_e32 v51, 1, v45
	v_or_b32_e32 v114, 10, v2
	;; [unrolled: 5-line block ×3, first 2 shown]
	v_or_b32_e32 v118, 14, v2
	v_or_b32_e32 v119, 15, v2
	v_lshlrev_b32_e32 v59, 1, v47
	v_add_lshl_u32 v63, v47, s7, 1
	s_clause 0x5
	buffer_load_b128 v[43:46], v43, s[0:3], null offen
	buffer_load_b128 v[47:50], v48, s[0:3], null offen
	;; [unrolled: 1-line block ×6, first 2 shown]
	s_clause 0x7
	buffer_load_b128 v[67:70], v67, s[12:15], null offen
	buffer_load_b128 v[71:74], v71, s[12:15], null offen
	;; [unrolled: 1-line block ×8, first 2 shown]
	v_or_b32_e32 v120, 1, v99
	v_or_b32_e32 v121, 2, v99
	;; [unrolled: 1-line block ×6, first 2 shown]
	v_lshl_or_b32 v102, v101, 3, v102
	v_xor_b32_e32 v105, v105, v100
	v_xor_b32_e32 v106, v106, v100
	;; [unrolled: 1-line block ×3, first 2 shown]
	v_lshlrev_b32_e32 v104, 8, v161
	v_xor_b32_e32 v107, v107, v100
	v_xor_b32_e32 v108, v108, v100
	v_xor_b32_e32 v109, v109, v100
	v_xor_b32_e32 v110, v110, v100
	v_xor_b32_e32 v111, v111, v100
	v_xor_b32_e32 v112, v112, v100
	v_xor_b32_e32 v113, v113, v100
	v_xor_b32_e32 v114, v114, v100
	v_xor_b32_e32 v115, v115, v100
	v_xor_b32_e32 v116, v116, v100
	v_xor_b32_e32 v117, v117, v100
	v_xor_b32_e32 v118, v118, v100
	v_xor_b32_e32 v100, v119, v100
	v_xor_b32_e32 v119, v120, v1
	v_xor_b32_e32 v120, v121, v1
	v_xor_b32_e32 v121, v122, v1
	v_xor_b32_e32 v122, v123, v1
	v_xor_b32_e32 v123, v124, v1
	v_xor_b32_e32 v124, v125, v1
	v_lshlrev_b32_e32 v125, 1, v102
	v_sub_nc_u32_e32 v101, v105, v101
	v_sub_nc_u32_e32 v105, v106, v105
	v_or_b32_e32 v99, 7, v99
	v_lshl_or_b32 v104, v103, 4, v104
	v_sub_nc_u32_e32 v106, v107, v106
	v_sub_nc_u32_e32 v107, v108, v107
	;; [unrolled: 1-line block ×16, first 2 shown]
	v_lshl_add_u32 v120, v101, 4, v125
	v_lshlrev_b32_e32 v126, 4, v105
	v_xor_b32_e32 v99, v99, v1
	v_lshlrev_b32_e32 v127, 4, v106
	v_sub_nc_u32_e32 v121, v122, v121
	v_sub_nc_u32_e32 v122, v123, v122
	v_add3_u32 v126, 0x200, v120, v126
	v_sub_nc_u32_e32 v123, v124, v123
	v_sub_nc_u32_e32 v99, v99, v124
	v_lshlrev_b32_e32 v124, 4, v107
	v_lshlrev_b32_e32 v128, 3, v108
	v_add3_u32 v127, 0x200, v126, v127
	v_lshlrev_b32_e32 v108, 4, v108
	v_lshlrev_b32_e32 v129, 3, v109
	v_lshlrev_b32_e32 v109, 4, v109
	v_lshlrev_b32_e32 v101, 3, v101
	v_add3_u32 v124, 0x200, v127, v124
	v_lshlrev_b32_e32 v105, 3, v105
	v_lshlrev_b32_e32 v130, 3, v110
	;; [unrolled: 5-line block ×3, first 2 shown]
	v_lshlrev_b32_e32 v111, 4, v111
	v_add3_u32 v101, v101, v102, v105
	v_add3_u32 v109, 0x200, v108, v109
	v_lshl_add_u32 v103, v103, 4, v104
	v_lshlrev_b32_e32 v132, 3, v112
	v_lshlrev_b32_e32 v133, 3, v113
	v_add3_u32 v101, v101, v106, v107
	v_add3_u32 v102, 0x200, v109, v110
	v_lshlrev_b32_e32 v110, 4, v112
	v_lshlrev_b32_e32 v107, 4, v113
	v_lshl_add_u32 v112, v118, 4, v103
	v_add3_u32 v101, v101, v128, v129
	v_add3_u32 v106, 0x200, v102, v111
	v_lshlrev_b32_e32 v111, 4, v119
	v_lshlrev_b32_e32 v134, 3, v114
	;; [unrolled: 1-line block ×4, first 2 shown]
	v_add3_u32 v110, 0x200, v106, v110
	v_add3_u32 v111, 0x100, v112, v111
	;; [unrolled: 1-line block ×3, first 2 shown]
	v_lshlrev_b32_e32 v135, 3, v115
	v_lshlrev_b32_e32 v115, 4, v115
	v_add3_u32 v107, 0x200, v110, v107
	v_lshlrev_b32_e32 v118, 4, v122
	v_add3_u32 v114, 0x100, v111, v114
	v_add3_u32 v101, v101, v132, v133
	v_lshlrev_b32_e32 v136, 3, v116
	v_add3_u32 v113, 0x200, v107, v113
	v_lshlrev_b32_e32 v105, 3, v117
	v_lshlrev_b32_e32 v116, 4, v116
	;; [unrolled: 1-line block ×3, first 2 shown]
	v_add3_u32 v118, 0x100, v114, v118
	v_add3_u32 v101, v101, v134, v135
	;; [unrolled: 1-line block ×3, first 2 shown]
	v_lshlrev_b32_e32 v100, 4, v100
	v_lshlrev_b32_e32 v117, 4, v117
	v_add3_u32 v119, 0x100, v118, v119
	v_add3_u32 v101, v101, v136, v105
	;; [unrolled: 1-line block ×3, first 2 shown]
	s_mov_b32 s0, 0
	s_mov_b32 s1, exec_lo
	v_lshl_add_u32 v99, v99, 4, v119
	v_lshl_add_u32 v100, v101, 1, v100
	v_add3_u32 v101, 0x200, v105, v117
	s_wait_loadcnt 0x17
	ds_store_b128 v125, v[3:6]
	s_wait_loadcnt 0x16
	ds_store_b128 v120, v[7:10] offset:512
	s_wait_loadcnt 0x15
	ds_store_b128 v126, v[11:14] offset:512
	;; [unrolled: 2-line block ×23, first 2 shown]
	v_lshlrev_b32_e32 v4, 3, v0
	v_lshlrev_b32_e32 v5, 9, v1
	s_wait_dscnt 0x0
	s_barrier_signal -1
	s_barrier_wait -1
	v_and_b32_e32 v4, 0x80, v4
	v_or_b32_e32 v3, v2, v1
	s_delay_alu instid0(VALU_DEP_2)
	v_lshrrev_b32_e32 v7, 3, v4
	v_or_b32_e32 v9, 16, v4
	v_or_b32_e32 v10, 32, v4
	;; [unrolled: 1-line block ×6, first 2 shown]
	v_lshrrev_b32_e32 v15, 3, v9
	v_or_b32_e32 v13, v1, v7
	v_or_b32_e32 v18, 5, v7
	v_xor_b32_e32 v20, v14, v1
	v_xor_b32_e32 v22, v16, v1
	;; [unrolled: 1-line block ×3, first 2 shown]
	v_lshl_or_b32 v5, v13, 4, v5
	v_xor_b32_e32 v24, v18, v1
	v_sub_nc_u32_e32 v20, v20, v13
	v_sub_nc_u32_e32 v22, v22, v13
	;; [unrolled: 1-line block ×3, first 2 shown]
	v_lshrrev_b32_e32 v17, 3, v10
	v_lshrrev_b32_e32 v19, 3, v11
	v_lshl_add_u32 v20, v20, 4, v5
	v_lshl_add_u32 v22, v22, 4, v5
	v_lshl_add_u32 v21, v21, 4, v5
	ds_load_b128 v[57:60], v20
	ds_load_b128 v[29:32], v21
	v_sub_nc_u32_e32 v20, v24, v13
	ds_load_b128 v[24:27], v22
	v_xor_b32_e32 v23, v17, v1
	v_xor_b32_e32 v21, v19, v1
	v_or_b32_e32 v65, 7, v7
	v_lshl_add_u32 v20, v20, 4, v5
	v_lshrrev_b32_e32 v66, 3, v12
	v_sub_nc_u32_e32 v23, v23, v13
	v_sub_nc_u32_e32 v21, v21, v13
	v_or_b32_e32 v67, 9, v7
	v_or_b32_e32 v53, 0x50, v4
	;; [unrolled: 1-line block ×3, first 2 shown]
	v_lshl_add_u32 v23, v23, 4, v5
	v_lshl_add_u32 v21, v21, 4, v5
	v_lshrrev_b32_e32 v8, 4, v4
	v_lshrrev_b32_e32 v68, 3, v53
	v_or_b32_e32 v69, 11, v7
	v_lshrrev_b32_e32 v71, 3, v70
	v_or_b32_e32 v4, 0x70, v4
	v_or_b32_e32 v72, 13, v7
	v_lshlrev_b32_e32 v6, 8, v3
	s_wait_dscnt 0x0
	scratch_store_b128 off, v[24:27], off offset:64 ; 16-byte Folded Spill
	ds_load_b128 v[22:25], v23
	v_lshrrev_b32_e32 v73, 3, v4
	v_add_nc_u32_e32 v3, -16, v3
	v_or_b32_e32 v74, 15, v7
	v_lshrrev_b32_e32 v9, 4, v9
	v_lshrrev_b32_e32 v10, 4, v10
	;; [unrolled: 1-line block ×3, first 2 shown]
	v_cndmask_b32_e32 v2, v3, v1, vcc_lo
	v_xor_b32_e32 v8, v8, v1
	v_lshrrev_b32_e32 v12, 4, v12
	v_lshrrev_b32_e32 v4, 4, v4
	s_delay_alu instid0(VALU_DEP_4) | instskip(SKIP_3) | instid1(VALU_DEP_4)
	v_xor_b32_e32 v9, v2, v9
	v_xor_b32_e32 v10, v2, v10
	;; [unrolled: 1-line block ×3, first 2 shown]
	v_lshl_or_b32 v6, v8, 4, v6
	v_sub_nc_u32_e32 v9, v9, v8
	s_delay_alu instid0(VALU_DEP_4) | instskip(NEXT) | instid1(VALU_DEP_4)
	v_sub_nc_u32_e32 v10, v10, v8
	v_sub_nc_u32_e32 v11, v11, v8
	s_wait_dscnt 0x0
	scratch_store_b128 off, v[22:25], off   ; 16-byte Folded Spill
	ds_load_b128 v[33:36], v20
	ds_load_b128 v[25:28], v21
	v_xor_b32_e32 v22, v65, v1
	v_xor_b32_e32 v23, v66, v1
	;; [unrolled: 1-line block ×3, first 2 shown]
	v_lshl_add_u32 v9, v9, 4, v6
	s_delay_alu instid0(VALU_DEP_4) | instskip(NEXT) | instid1(VALU_DEP_4)
	v_sub_nc_u32_e32 v22, v22, v13
	v_sub_nc_u32_e32 v23, v23, v13
	s_delay_alu instid0(VALU_DEP_2)
	v_lshl_add_u32 v20, v22, 4, v5
	s_wait_dscnt 0x0
	scratch_store_b128 off, v[25:28], off offset:32 ; 16-byte Folded Spill
	v_lshl_add_u32 v25, v23, 4, v5
	v_sub_nc_u32_e32 v26, v24, v13
	ds_load_b128 v[21:24], v20
	ds_load_b128 v[37:40], v25
	v_xor_b32_e32 v27, v68, v1
	v_lshl_add_u32 v26, v26, 4, v5
	v_xor_b32_e32 v25, v69, v1
	v_xor_b32_e32 v28, v74, v1
	s_delay_alu instid0(VALU_DEP_4) | instskip(SKIP_1) | instid1(VALU_DEP_4)
	v_sub_nc_u32_e32 v20, v27, v13
	v_xor_b32_e32 v27, v71, v1
	v_sub_nc_u32_e32 v25, v25, v13
	s_delay_alu instid0(VALU_DEP_4) | instskip(NEXT) | instid1(VALU_DEP_4)
	v_sub_nc_u32_e32 v54, v28, v13
	v_lshl_add_u32 v20, v20, 4, v5
	s_delay_alu instid0(VALU_DEP_3)
	v_lshl_add_u32 v25, v25, 4, v5
	s_wait_dscnt 0x0
	scratch_store_b128 off, v[37:40], off offset:16 ; 16-byte Folded Spill
	ds_load_b128 v[41:44], v26
	ds_load_b128 v[37:40], v20
	v_xor_b32_e32 v26, v72, v1
	v_sub_nc_u32_e32 v20, v27, v13
	v_xor_b32_e32 v27, v73, v1
	v_or_b32_e32 v1, 16, v1
	s_delay_alu instid0(VALU_DEP_4) | instskip(NEXT) | instid1(VALU_DEP_4)
	v_sub_nc_u32_e32 v26, v26, v13
	v_lshl_add_u32 v20, v20, 4, v5
	s_delay_alu instid0(VALU_DEP_4) | instskip(NEXT) | instid1(VALU_DEP_4)
	v_sub_nc_u32_e32 v27, v27, v13
	v_xor_b32_e32 v7, v1, v7
	s_delay_alu instid0(VALU_DEP_4)
	v_lshl_add_u32 v3, v26, 4, v5
	s_wait_dscnt 0x0
	scratch_store_b128 off, v[37:40], off offset:48 ; 16-byte Folded Spill
	ds_load_b128 v[49:52], v25
	ds_load_b128 v[37:40], v20
	v_lshl_add_u32 v20, v27, 4, v5
	ds_load_b128 v[45:48], v3
	ds_load_b128 v[25:28], v20
	v_lshl_add_u32 v3, v54, 4, v5
	v_lshrrev_b32_e32 v20, 4, v53
	ds_load_b128 v[61:64], v5
	ds_load_b128 v[157:160], v6 offset:16384
	ds_load_b128 v[53:56], v3
	ds_load_b128 v[153:156], v9 offset:16384
	v_lshl_add_u32 v3, v10, 4, v6
	v_lshl_add_u32 v9, v11, 4, v6
	v_xor_b32_e32 v10, v2, v12
	v_xor_b32_e32 v11, v2, v20
	v_lshrrev_b32_e32 v12, 4, v70
	ds_load_b128 v[149:152], v3 offset:16384
	ds_load_b128 v[145:148], v9 offset:16384
	v_sub_nc_u32_e32 v3, v10, v8
	v_sub_nc_u32_e32 v9, v11, v8
	v_xor_b32_e32 v10, v2, v12
	v_xor_b32_e32 v2, v2, v4
	s_delay_alu instid0(VALU_DEP_4) | instskip(NEXT) | instid1(VALU_DEP_4)
	v_lshl_add_u32 v3, v3, 4, v6
	v_lshl_add_u32 v4, v9, 4, v6
	s_delay_alu instid0(VALU_DEP_4) | instskip(NEXT) | instid1(VALU_DEP_4)
	v_sub_nc_u32_e32 v9, v10, v8
	v_sub_nc_u32_e32 v2, v2, v8
	ds_load_b128 v[141:144], v3 offset:16384
	ds_load_b128 v[137:140], v4 offset:16384
	v_sub_nc_u32_e32 v4, v7, v13
	v_lshl_add_u32 v3, v9, 4, v6
	v_xor_b32_e32 v7, v1, v15
	v_lshl_add_u32 v2, v2, 4, v6
	v_xor_b32_e32 v6, v1, v14
	v_xor_b32_e32 v8, v1, v16
	ds_load_b128 v[133:136], v3 offset:16384
	ds_load_b128 v[129:132], v2 offset:16384
	v_lshl_add_u32 v2, v4, 4, v5
	v_sub_nc_u32_e32 v4, v7, v13
	v_xor_b32_e32 v7, v1, v17
	v_sub_nc_u32_e32 v3, v6, v13
	v_sub_nc_u32_e32 v6, v8, v13
	v_xor_b32_e32 v8, v1, v18
	v_lshl_add_u32 v4, v4, 4, v5
	v_sub_nc_u32_e32 v7, v7, v13
	v_lshl_add_u32 v3, v3, 4, v5
	v_lshl_add_u32 v6, v6, 4, v5
	v_sub_nc_u32_e32 v8, v8, v13
	ds_load_b128 v[125:128], v2 offset:8192
	ds_load_b128 v[121:124], v3 offset:8192
	;; [unrolled: 1-line block ×4, first 2 shown]
	v_lshl_add_u32 v2, v7, 4, v5
	v_xor_b32_e32 v4, v1, v19
	v_lshl_add_u32 v3, v8, 4, v5
	v_xor_b32_e32 v6, v1, v65
	v_xor_b32_e32 v7, v1, v66
	;; [unrolled: 1-line block ×3, first 2 shown]
	ds_load_b128 v[117:120], v2 offset:8192
	ds_load_b128 v[101:104], v3 offset:8192
	v_sub_nc_u32_e32 v2, v4, v13
	v_sub_nc_u32_e32 v3, v6, v13
	;; [unrolled: 1-line block ×4, first 2 shown]
	v_xor_b32_e32 v7, v1, v68
	v_lshl_add_u32 v2, v2, 4, v5
	v_lshl_add_u32 v3, v3, 4, v5
	;; [unrolled: 1-line block ×4, first 2 shown]
	v_sub_nc_u32_e32 v7, v7, v13
	ds_load_b128 v[109:112], v2 offset:8192
	ds_load_b128 v[93:96], v3 offset:8192
	;; [unrolled: 1-line block ×4, first 2 shown]
	v_xor_b32_e32 v3, v1, v69
	v_xor_b32_e32 v4, v1, v71
	;; [unrolled: 1-line block ×3, first 2 shown]
	v_lshl_add_u32 v2, v7, 4, v5
	v_xor_b32_e32 v7, v1, v73
	v_xor_b32_e32 v1, v1, v74
	v_sub_nc_u32_e32 v3, v3, v13
	v_sub_nc_u32_e32 v4, v4, v13
	;; [unrolled: 1-line block ×5, first 2 shown]
	v_lshl_add_u32 v3, v3, 4, v5
	v_lshl_add_u32 v4, v4, 4, v5
	v_lshl_add_u32 v6, v6, 4, v5
	v_lshl_add_u32 v7, v7, 4, v5
	v_lshl_add_u32 v1, v1, 4, v5
	ds_load_b128 v[105:108], v2 offset:8192
	ds_load_b128 v[89:92], v3 offset:8192
	;; [unrolled: 1-line block ×6, first 2 shown]
	s_wait_dscnt 0x18
	v_and_b32_e32 v1, 0xff, v157
	s_delay_alu instid0(VALU_DEP_1)
	v_cmpx_lt_i16_e32 0x7f, v1
	s_xor_b32 s1, exec_lo, s1
	s_cbranch_execz .LBB11_15
; %bb.12:
	s_mov_b32 s0, -1
	s_mov_b32 s2, exec_lo
	v_cmpx_eq_u16_e32 0x80, v1
; %bb.13:
	s_xor_b32 s0, exec_lo, -1
; %bb.14:
	s_or_b32 exec_lo, exec_lo, s2
	s_delay_alu instid0(SALU_CYCLE_1)
	s_and_b32 s0, s0, exec_lo
                                        ; implicit-def: $vgpr1
.LBB11_15:
	s_or_saveexec_b32 s1, s1
	v_mov_b32_e32 v163, 0x7f800001
	s_xor_b32 exec_lo, exec_lo, s1
; %bb.16:
	v_cmp_ne_u16_e32 vcc_lo, 0, v1
	v_mov_b32_e32 v163, 0
	s_and_not1_b32 s0, s0, exec_lo
	s_and_b32 s2, vcc_lo, exec_lo
	s_delay_alu instid0(SALU_CYCLE_1)
	s_or_b32 s0, s0, s2
; %bb.17:
	s_or_b32 exec_lo, exec_lo, s1
	v_lshrrev_b32_e32 v187, 24, v160
	v_lshrrev_b32_e32 v186, 16, v160
	v_lshrrev_b32_e32 v184, 8, v160
	v_lshrrev_b32_e32 v181, 24, v159
	v_lshrrev_b32_e32 v180, 16, v159
	v_lshrrev_b32_e32 v178, 8, v159
	v_lshrrev_b32_e32 v175, 24, v158
	v_lshrrev_b32_e32 v174, 16, v158
	v_lshrrev_b32_e32 v172, 8, v158
	v_lshrrev_b32_e32 v169, 24, v157
	v_lshrrev_b32_e32 v168, 16, v157
	v_lshrrev_b32_e32 v166, 8, v157
	s_wait_dscnt 0x16
	v_lshrrev_b32_e32 v211, 24, v156
	v_lshrrev_b32_e32 v210, 16, v156
	v_lshrrev_b32_e32 v208, 8, v156
	v_lshrrev_b32_e32 v205, 24, v155
	v_lshrrev_b32_e32 v204, 16, v155
	v_lshrrev_b32_e32 v202, 8, v155
	v_lshrrev_b32_e32 v199, 24, v154
	v_lshrrev_b32_e32 v198, 16, v154
	v_lshrrev_b32_e32 v196, 8, v154
	v_lshrrev_b32_e32 v193, 24, v153
	v_lshrrev_b32_e32 v192, 16, v153
	v_lshrrev_b32_e32 v190, 8, v153
	s_wait_dscnt 0x15
	;; [unrolled: 13-line block ×7, first 2 shown]
	v_lshrrev_b32_e32 v164, 24, v132
	v_lshrrev_b32_e32 v165, 16, v132
	;; [unrolled: 1-line block ×12, first 2 shown]
	s_and_saveexec_b32 s1, s0
	s_cbranch_execz .LBB11_19
; %bb.18:
	v_lshrrev_b16 v7, 3, v157
	v_lshrrev_b16 v9, 7, v157
	s_delay_alu instid0(VALU_DEP_2) | instskip(NEXT) | instid1(VALU_DEP_1)
	v_and_b32_e32 v7, 15, v7
	v_cmp_eq_u16_e32 vcc_lo, 0, v7
	v_and_b32_e32 v5, 7, v157
	s_delay_alu instid0(VALU_DEP_1) | instskip(NEXT) | instid1(VALU_DEP_1)
	v_clz_i32_u32_e32 v6, v5
	v_min_u32_e32 v6, 32, v6
	s_delay_alu instid0(VALU_DEP_1) | instskip(SKIP_2) | instid1(VALU_DEP_1)
	v_subrev_nc_u32_e32 v8, 28, v6
	v_sub_nc_u32_e32 v6, 29, v6
	s_wait_alu 0xfffd
	v_cndmask_b32_e32 v6, v7, v6, vcc_lo
	s_delay_alu instid0(VALU_DEP_3) | instskip(SKIP_1) | instid1(VALU_DEP_3)
	v_lshlrev_b32_e32 v8, v8, v5
	v_lshlrev_b32_e32 v7, 31, v9
	v_lshl_add_u32 v6, v6, 23, 0x3b800000
	s_delay_alu instid0(VALU_DEP_3) | instskip(NEXT) | instid1(VALU_DEP_1)
	v_and_b32_e32 v8, 7, v8
	v_cndmask_b32_e32 v5, v5, v8, vcc_lo
	s_delay_alu instid0(VALU_DEP_1) | instskip(NEXT) | instid1(VALU_DEP_1)
	v_lshlrev_b32_e32 v5, 20, v5
	v_or3_b32 v163, v7, v6, v5
.LBB11_19:
	s_or_b32 exec_lo, exec_lo, s1
	v_and_b32_e32 v254, 0xff, v166
	s_mov_b32 s0, 0
	s_mov_b32 s1, exec_lo
	s_delay_alu instid0(VALU_DEP_1)
	v_cmpx_lt_i16_e64 0x7f, v254
	s_xor_b32 s1, exec_lo, s1
	s_cbranch_execnz .LBB11_528
; %bb.20:
	s_or_saveexec_b32 s1, s1
	v_mov_b32_e32 v157, 0x7f800001
	s_xor_b32 exec_lo, exec_lo, s1
	s_cbranch_execnz .LBB11_531
.LBB11_21:
	s_or_b32 exec_lo, exec_lo, s1
	s_and_saveexec_b32 s1, s0
	s_cbranch_execz .LBB11_23
.LBB11_22:
	v_and_b32_e32 v5, 7, v166
	v_lshrrev_b16 v7, 3, v166
	v_lshrrev_b16 v9, 7, v166
	s_delay_alu instid0(VALU_DEP_3) | instskip(NEXT) | instid1(VALU_DEP_3)
	v_clz_i32_u32_e32 v6, v5
	v_and_b32_e32 v7, 15, v7
	s_delay_alu instid0(VALU_DEP_2) | instskip(NEXT) | instid1(VALU_DEP_2)
	v_min_u32_e32 v6, 32, v6
	v_cmp_eq_u16_e32 vcc_lo, 0, v7
	s_delay_alu instid0(VALU_DEP_2) | instskip(SKIP_1) | instid1(VALU_DEP_2)
	v_subrev_nc_u32_e32 v8, 28, v6
	v_sub_nc_u32_e32 v6, 29, v6
	v_lshlrev_b32_e32 v8, v8, v5
	s_wait_alu 0xfffd
	s_delay_alu instid0(VALU_DEP_2) | instskip(NEXT) | instid1(VALU_DEP_2)
	v_dual_cndmask_b32 v6, v7, v6 :: v_dual_lshlrev_b32 v7, 31, v9
	v_and_b32_e32 v8, 7, v8
	s_delay_alu instid0(VALU_DEP_2) | instskip(NEXT) | instid1(VALU_DEP_2)
	v_lshl_add_u32 v6, v6, 23, 0x3b800000
	v_cndmask_b32_e32 v5, v5, v8, vcc_lo
	s_delay_alu instid0(VALU_DEP_1) | instskip(NEXT) | instid1(VALU_DEP_1)
	v_lshlrev_b32_e32 v5, 20, v5
	v_or3_b32 v157, v7, v6, v5
.LBB11_23:
	s_or_b32 exec_lo, exec_lo, s1
	v_and_b32_e32 v254, 0xff, v168
	s_mov_b32 s0, 0
	s_mov_b32 s1, exec_lo
	s_delay_alu instid0(VALU_DEP_1)
	v_cmpx_lt_i16_e64 0x7f, v254
	s_xor_b32 s1, exec_lo, s1
	s_cbranch_execnz .LBB11_532
; %bb.24:
	s_or_saveexec_b32 s1, s1
	v_mov_b32_e32 v166, 0x7f800001
	s_xor_b32 exec_lo, exec_lo, s1
	s_cbranch_execnz .LBB11_535
.LBB11_25:
	s_or_b32 exec_lo, exec_lo, s1
	s_and_saveexec_b32 s1, s0
	s_cbranch_execz .LBB11_27
.LBB11_26:
	v_lshrrev_b16 v7, 3, v168
	v_lshrrev_b16 v9, 7, v168
	s_delay_alu instid0(VALU_DEP_2) | instskip(NEXT) | instid1(VALU_DEP_1)
	v_and_b32_e32 v7, 15, v7
	v_cmp_eq_u16_e32 vcc_lo, 0, v7
	v_and_b32_e32 v5, 7, v168
	s_delay_alu instid0(VALU_DEP_1) | instskip(NEXT) | instid1(VALU_DEP_1)
	v_clz_i32_u32_e32 v6, v5
	v_min_u32_e32 v6, 32, v6
	s_delay_alu instid0(VALU_DEP_1) | instskip(SKIP_2) | instid1(VALU_DEP_1)
	v_subrev_nc_u32_e32 v8, 28, v6
	v_sub_nc_u32_e32 v6, 29, v6
	s_wait_alu 0xfffd
	v_cndmask_b32_e32 v6, v7, v6, vcc_lo
	s_delay_alu instid0(VALU_DEP_3) | instskip(SKIP_1) | instid1(VALU_DEP_3)
	v_lshlrev_b32_e32 v8, v8, v5
	v_lshlrev_b32_e32 v7, 31, v9
	v_lshl_add_u32 v6, v6, 23, 0x3b800000
	s_delay_alu instid0(VALU_DEP_3) | instskip(NEXT) | instid1(VALU_DEP_1)
	v_and_b32_e32 v8, 7, v8
	v_cndmask_b32_e32 v5, v5, v8, vcc_lo
	s_delay_alu instid0(VALU_DEP_1) | instskip(NEXT) | instid1(VALU_DEP_1)
	v_lshlrev_b32_e32 v5, 20, v5
	v_or3_b32 v166, v7, v6, v5
.LBB11_27:
	s_or_b32 exec_lo, exec_lo, s1
	s_mov_b32 s1, 0
	s_mov_b32 s0, exec_lo
	v_cmpx_lt_i16_e64 0x7f, v169
	s_xor_b32 s0, exec_lo, s0
	s_cbranch_execnz .LBB11_536
; %bb.28:
	s_or_saveexec_b32 s0, s0
	v_mov_b32_e32 v168, 0x7f800001
	s_xor_b32 exec_lo, exec_lo, s0
	s_cbranch_execnz .LBB11_539
.LBB11_29:
	s_or_b32 exec_lo, exec_lo, s0
	s_and_saveexec_b32 s0, s1
	s_cbranch_execz .LBB11_31
.LBB11_30:
	v_lshrrev_b16 v7, 3, v169
	v_lshrrev_b16 v9, 7, v169
	s_delay_alu instid0(VALU_DEP_2) | instskip(NEXT) | instid1(VALU_DEP_1)
	v_and_b32_e32 v7, 15, v7
	v_cmp_eq_u16_e32 vcc_lo, 0, v7
	v_and_b32_e32 v5, 7, v169
	s_delay_alu instid0(VALU_DEP_1) | instskip(NEXT) | instid1(VALU_DEP_1)
	v_clz_i32_u32_e32 v6, v5
	v_min_u32_e32 v6, 32, v6
	s_delay_alu instid0(VALU_DEP_1) | instskip(SKIP_2) | instid1(VALU_DEP_1)
	v_subrev_nc_u32_e32 v8, 28, v6
	v_sub_nc_u32_e32 v6, 29, v6
	s_wait_alu 0xfffd
	v_cndmask_b32_e32 v6, v7, v6, vcc_lo
	s_delay_alu instid0(VALU_DEP_3) | instskip(SKIP_1) | instid1(VALU_DEP_3)
	v_lshlrev_b32_e32 v8, v8, v5
	v_lshlrev_b32_e32 v7, 31, v9
	v_lshl_add_u32 v6, v6, 23, 0x3b800000
	s_delay_alu instid0(VALU_DEP_3) | instskip(NEXT) | instid1(VALU_DEP_1)
	v_and_b32_e32 v8, 7, v8
	v_cndmask_b32_e32 v5, v5, v8, vcc_lo
	s_delay_alu instid0(VALU_DEP_1) | instskip(NEXT) | instid1(VALU_DEP_1)
	v_lshlrev_b32_e32 v5, 20, v5
	v_or3_b32 v168, v7, v6, v5
.LBB11_31:
	s_or_b32 exec_lo, exec_lo, s0
	v_and_b32_e32 v254, 0xff, v158
	s_mov_b32 s0, 0
	s_mov_b32 s1, exec_lo
	s_delay_alu instid0(VALU_DEP_1)
	v_cmpx_lt_i16_e64 0x7f, v254
	s_xor_b32 s1, exec_lo, s1
	s_cbranch_execnz .LBB11_540
; %bb.32:
	s_or_saveexec_b32 s1, s1
	v_mov_b32_e32 v169, 0x7f800001
	s_xor_b32 exec_lo, exec_lo, s1
	s_cbranch_execnz .LBB11_543
.LBB11_33:
	s_or_b32 exec_lo, exec_lo, s1
	s_and_saveexec_b32 s1, s0
	s_cbranch_execz .LBB11_35
.LBB11_34:
	v_and_b32_e32 v5, 7, v158
	v_lshrrev_b16 v7, 3, v158
	v_lshrrev_b16 v9, 7, v158
	s_delay_alu instid0(VALU_DEP_3) | instskip(NEXT) | instid1(VALU_DEP_3)
	v_clz_i32_u32_e32 v6, v5
	v_and_b32_e32 v7, 15, v7
	s_delay_alu instid0(VALU_DEP_2) | instskip(NEXT) | instid1(VALU_DEP_2)
	v_min_u32_e32 v6, 32, v6
	v_cmp_eq_u16_e32 vcc_lo, 0, v7
	s_delay_alu instid0(VALU_DEP_2) | instskip(SKIP_1) | instid1(VALU_DEP_2)
	v_subrev_nc_u32_e32 v8, 28, v6
	v_sub_nc_u32_e32 v6, 29, v6
	v_lshlrev_b32_e32 v8, v8, v5
	s_wait_alu 0xfffd
	s_delay_alu instid0(VALU_DEP_2) | instskip(NEXT) | instid1(VALU_DEP_2)
	v_dual_cndmask_b32 v6, v7, v6 :: v_dual_lshlrev_b32 v7, 31, v9
	v_and_b32_e32 v8, 7, v8
	s_delay_alu instid0(VALU_DEP_2) | instskip(NEXT) | instid1(VALU_DEP_2)
	v_lshl_add_u32 v6, v6, 23, 0x3b800000
	v_cndmask_b32_e32 v5, v5, v8, vcc_lo
	s_delay_alu instid0(VALU_DEP_1) | instskip(NEXT) | instid1(VALU_DEP_1)
	v_lshlrev_b32_e32 v5, 20, v5
	v_or3_b32 v169, v7, v6, v5
.LBB11_35:
	s_or_b32 exec_lo, exec_lo, s1
	v_and_b32_e32 v254, 0xff, v172
	s_mov_b32 s0, 0
	s_mov_b32 s1, exec_lo
	s_delay_alu instid0(VALU_DEP_1)
	v_cmpx_lt_i16_e64 0x7f, v254
	s_xor_b32 s1, exec_lo, s1
	s_cbranch_execnz .LBB11_544
; %bb.36:
	s_or_saveexec_b32 s1, s1
	v_mov_b32_e32 v158, 0x7f800001
	s_xor_b32 exec_lo, exec_lo, s1
	s_cbranch_execnz .LBB11_547
.LBB11_37:
	s_or_b32 exec_lo, exec_lo, s1
	s_and_saveexec_b32 s1, s0
	s_cbranch_execz .LBB11_39
.LBB11_38:
	v_lshrrev_b16 v7, 3, v172
	v_lshrrev_b16 v9, 7, v172
	s_delay_alu instid0(VALU_DEP_2) | instskip(NEXT) | instid1(VALU_DEP_1)
	v_and_b32_e32 v7, 15, v7
	v_cmp_eq_u16_e32 vcc_lo, 0, v7
	v_and_b32_e32 v5, 7, v172
	s_delay_alu instid0(VALU_DEP_1) | instskip(NEXT) | instid1(VALU_DEP_1)
	v_clz_i32_u32_e32 v6, v5
	v_min_u32_e32 v6, 32, v6
	s_delay_alu instid0(VALU_DEP_1) | instskip(SKIP_2) | instid1(VALU_DEP_1)
	v_subrev_nc_u32_e32 v8, 28, v6
	v_sub_nc_u32_e32 v6, 29, v6
	s_wait_alu 0xfffd
	v_cndmask_b32_e32 v6, v7, v6, vcc_lo
	s_delay_alu instid0(VALU_DEP_3) | instskip(SKIP_1) | instid1(VALU_DEP_3)
	v_lshlrev_b32_e32 v8, v8, v5
	v_lshlrev_b32_e32 v7, 31, v9
	v_lshl_add_u32 v6, v6, 23, 0x3b800000
	s_delay_alu instid0(VALU_DEP_3) | instskip(NEXT) | instid1(VALU_DEP_1)
	v_and_b32_e32 v8, 7, v8
	v_cndmask_b32_e32 v5, v5, v8, vcc_lo
	s_delay_alu instid0(VALU_DEP_1) | instskip(NEXT) | instid1(VALU_DEP_1)
	v_lshlrev_b32_e32 v5, 20, v5
	v_or3_b32 v158, v7, v6, v5
.LBB11_39:
	s_or_b32 exec_lo, exec_lo, s1
	v_and_b32_e32 v254, 0xff, v174
	s_mov_b32 s0, 0
	s_mov_b32 s1, exec_lo
	s_delay_alu instid0(VALU_DEP_1)
	v_cmpx_lt_i16_e64 0x7f, v254
	s_xor_b32 s1, exec_lo, s1
	s_cbranch_execnz .LBB11_548
; %bb.40:
	s_or_saveexec_b32 s1, s1
	v_mov_b32_e32 v172, 0x7f800001
	s_xor_b32 exec_lo, exec_lo, s1
	s_cbranch_execnz .LBB11_551
.LBB11_41:
	s_or_b32 exec_lo, exec_lo, s1
	s_and_saveexec_b32 s1, s0
	s_cbranch_execz .LBB11_43
.LBB11_42:
	v_and_b32_e32 v5, 7, v174
	v_lshrrev_b16 v7, 3, v174
	v_lshrrev_b16 v9, 7, v174
	s_delay_alu instid0(VALU_DEP_3) | instskip(NEXT) | instid1(VALU_DEP_3)
	v_clz_i32_u32_e32 v6, v5
	v_and_b32_e32 v7, 15, v7
	s_delay_alu instid0(VALU_DEP_2) | instskip(NEXT) | instid1(VALU_DEP_2)
	v_min_u32_e32 v6, 32, v6
	v_cmp_eq_u16_e32 vcc_lo, 0, v7
	s_delay_alu instid0(VALU_DEP_2) | instskip(SKIP_1) | instid1(VALU_DEP_2)
	v_subrev_nc_u32_e32 v8, 28, v6
	v_sub_nc_u32_e32 v6, 29, v6
	v_lshlrev_b32_e32 v8, v8, v5
	s_wait_alu 0xfffd
	s_delay_alu instid0(VALU_DEP_2) | instskip(NEXT) | instid1(VALU_DEP_2)
	v_dual_cndmask_b32 v6, v7, v6 :: v_dual_lshlrev_b32 v7, 31, v9
	v_and_b32_e32 v8, 7, v8
	s_delay_alu instid0(VALU_DEP_2) | instskip(NEXT) | instid1(VALU_DEP_2)
	v_lshl_add_u32 v6, v6, 23, 0x3b800000
	v_cndmask_b32_e32 v5, v5, v8, vcc_lo
	s_delay_alu instid0(VALU_DEP_1) | instskip(NEXT) | instid1(VALU_DEP_1)
	v_lshlrev_b32_e32 v5, 20, v5
	v_or3_b32 v172, v7, v6, v5
.LBB11_43:
	s_or_b32 exec_lo, exec_lo, s1
	s_mov_b32 s1, 0
	s_mov_b32 s0, exec_lo
	v_cmpx_lt_i16_e64 0x7f, v175
	s_xor_b32 s0, exec_lo, s0
	s_cbranch_execnz .LBB11_552
; %bb.44:
	s_or_saveexec_b32 s0, s0
	v_mov_b32_e32 v174, 0x7f800001
	s_xor_b32 exec_lo, exec_lo, s0
	s_cbranch_execnz .LBB11_555
.LBB11_45:
	s_or_b32 exec_lo, exec_lo, s0
	s_and_saveexec_b32 s0, s1
	s_cbranch_execz .LBB11_47
.LBB11_46:
	v_lshrrev_b16 v7, 3, v175
	v_lshrrev_b16 v9, 7, v175
	s_delay_alu instid0(VALU_DEP_2) | instskip(NEXT) | instid1(VALU_DEP_1)
	v_and_b32_e32 v7, 15, v7
	v_cmp_eq_u16_e32 vcc_lo, 0, v7
	v_and_b32_e32 v5, 7, v175
	s_delay_alu instid0(VALU_DEP_1) | instskip(NEXT) | instid1(VALU_DEP_1)
	v_clz_i32_u32_e32 v6, v5
	v_min_u32_e32 v6, 32, v6
	s_delay_alu instid0(VALU_DEP_1) | instskip(SKIP_2) | instid1(VALU_DEP_1)
	v_subrev_nc_u32_e32 v8, 28, v6
	v_sub_nc_u32_e32 v6, 29, v6
	s_wait_alu 0xfffd
	v_cndmask_b32_e32 v6, v7, v6, vcc_lo
	s_delay_alu instid0(VALU_DEP_3) | instskip(SKIP_1) | instid1(VALU_DEP_3)
	v_lshlrev_b32_e32 v8, v8, v5
	v_lshlrev_b32_e32 v7, 31, v9
	v_lshl_add_u32 v6, v6, 23, 0x3b800000
	s_delay_alu instid0(VALU_DEP_3) | instskip(NEXT) | instid1(VALU_DEP_1)
	v_and_b32_e32 v8, 7, v8
	v_cndmask_b32_e32 v5, v5, v8, vcc_lo
	s_delay_alu instid0(VALU_DEP_1) | instskip(NEXT) | instid1(VALU_DEP_1)
	v_lshlrev_b32_e32 v5, 20, v5
	v_or3_b32 v174, v7, v6, v5
.LBB11_47:
	s_or_b32 exec_lo, exec_lo, s0
	v_and_b32_e32 v254, 0xff, v159
	s_mov_b32 s0, 0
	s_mov_b32 s1, exec_lo
	s_delay_alu instid0(VALU_DEP_1)
	v_cmpx_lt_i16_e64 0x7f, v254
	s_xor_b32 s1, exec_lo, s1
	s_cbranch_execnz .LBB11_556
; %bb.48:
	s_or_saveexec_b32 s1, s1
	v_mov_b32_e32 v175, 0x7f800001
	s_xor_b32 exec_lo, exec_lo, s1
	s_cbranch_execnz .LBB11_559
.LBB11_49:
	s_or_b32 exec_lo, exec_lo, s1
	s_and_saveexec_b32 s1, s0
	s_cbranch_execz .LBB11_51
.LBB11_50:
	v_lshrrev_b16 v7, 3, v159
	v_lshrrev_b16 v9, 7, v159
	s_delay_alu instid0(VALU_DEP_2) | instskip(NEXT) | instid1(VALU_DEP_1)
	v_and_b32_e32 v7, 15, v7
	v_cmp_eq_u16_e32 vcc_lo, 0, v7
	v_and_b32_e32 v5, 7, v159
	s_delay_alu instid0(VALU_DEP_1) | instskip(NEXT) | instid1(VALU_DEP_1)
	v_clz_i32_u32_e32 v6, v5
	v_min_u32_e32 v6, 32, v6
	s_delay_alu instid0(VALU_DEP_1) | instskip(SKIP_2) | instid1(VALU_DEP_1)
	v_subrev_nc_u32_e32 v8, 28, v6
	v_sub_nc_u32_e32 v6, 29, v6
	s_wait_alu 0xfffd
	v_cndmask_b32_e32 v6, v7, v6, vcc_lo
	s_delay_alu instid0(VALU_DEP_3) | instskip(SKIP_1) | instid1(VALU_DEP_3)
	v_lshlrev_b32_e32 v8, v8, v5
	v_lshlrev_b32_e32 v7, 31, v9
	v_lshl_add_u32 v6, v6, 23, 0x3b800000
	s_delay_alu instid0(VALU_DEP_3) | instskip(NEXT) | instid1(VALU_DEP_1)
	v_and_b32_e32 v8, 7, v8
	v_cndmask_b32_e32 v5, v5, v8, vcc_lo
	s_delay_alu instid0(VALU_DEP_1) | instskip(NEXT) | instid1(VALU_DEP_1)
	v_lshlrev_b32_e32 v5, 20, v5
	v_or3_b32 v175, v7, v6, v5
.LBB11_51:
	s_or_b32 exec_lo, exec_lo, s1
	v_and_b32_e32 v254, 0xff, v178
	s_mov_b32 s0, 0
	s_mov_b32 s1, exec_lo
	s_delay_alu instid0(VALU_DEP_1)
	v_cmpx_lt_i16_e64 0x7f, v254
	s_xor_b32 s1, exec_lo, s1
	s_cbranch_execnz .LBB11_560
; %bb.52:
	s_or_saveexec_b32 s1, s1
	v_mov_b32_e32 v159, 0x7f800001
	s_xor_b32 exec_lo, exec_lo, s1
	s_cbranch_execnz .LBB11_563
.LBB11_53:
	s_or_b32 exec_lo, exec_lo, s1
	s_and_saveexec_b32 s1, s0
	s_cbranch_execz .LBB11_55
.LBB11_54:
	v_and_b32_e32 v5, 7, v178
	v_lshrrev_b16 v7, 3, v178
	v_lshrrev_b16 v9, 7, v178
	s_delay_alu instid0(VALU_DEP_3) | instskip(NEXT) | instid1(VALU_DEP_3)
	v_clz_i32_u32_e32 v6, v5
	v_and_b32_e32 v7, 15, v7
	s_delay_alu instid0(VALU_DEP_2) | instskip(NEXT) | instid1(VALU_DEP_2)
	v_min_u32_e32 v6, 32, v6
	v_cmp_eq_u16_e32 vcc_lo, 0, v7
	s_delay_alu instid0(VALU_DEP_2) | instskip(SKIP_1) | instid1(VALU_DEP_2)
	v_subrev_nc_u32_e32 v8, 28, v6
	v_sub_nc_u32_e32 v6, 29, v6
	v_lshlrev_b32_e32 v8, v8, v5
	s_wait_alu 0xfffd
	s_delay_alu instid0(VALU_DEP_2) | instskip(NEXT) | instid1(VALU_DEP_2)
	v_dual_cndmask_b32 v6, v7, v6 :: v_dual_lshlrev_b32 v7, 31, v9
	v_and_b32_e32 v8, 7, v8
	s_delay_alu instid0(VALU_DEP_2) | instskip(NEXT) | instid1(VALU_DEP_2)
	v_lshl_add_u32 v6, v6, 23, 0x3b800000
	v_cndmask_b32_e32 v5, v5, v8, vcc_lo
	s_delay_alu instid0(VALU_DEP_1) | instskip(NEXT) | instid1(VALU_DEP_1)
	v_lshlrev_b32_e32 v5, 20, v5
	v_or3_b32 v159, v7, v6, v5
.LBB11_55:
	s_or_b32 exec_lo, exec_lo, s1
	v_and_b32_e32 v254, 0xff, v180
	s_mov_b32 s0, 0
	s_mov_b32 s1, exec_lo
	s_delay_alu instid0(VALU_DEP_1)
	v_cmpx_lt_i16_e64 0x7f, v254
	s_xor_b32 s1, exec_lo, s1
	s_cbranch_execnz .LBB11_564
; %bb.56:
	s_or_saveexec_b32 s1, s1
	v_mov_b32_e32 v178, 0x7f800001
	s_xor_b32 exec_lo, exec_lo, s1
	s_cbranch_execnz .LBB11_567
.LBB11_57:
	s_or_b32 exec_lo, exec_lo, s1
	s_and_saveexec_b32 s1, s0
	s_cbranch_execz .LBB11_59
.LBB11_58:
	v_lshrrev_b16 v7, 3, v180
	v_lshrrev_b16 v9, 7, v180
	s_delay_alu instid0(VALU_DEP_2) | instskip(NEXT) | instid1(VALU_DEP_1)
	v_and_b32_e32 v7, 15, v7
	v_cmp_eq_u16_e32 vcc_lo, 0, v7
	v_and_b32_e32 v5, 7, v180
	s_delay_alu instid0(VALU_DEP_1) | instskip(NEXT) | instid1(VALU_DEP_1)
	v_clz_i32_u32_e32 v6, v5
	v_min_u32_e32 v6, 32, v6
	s_delay_alu instid0(VALU_DEP_1) | instskip(SKIP_2) | instid1(VALU_DEP_1)
	v_subrev_nc_u32_e32 v8, 28, v6
	v_sub_nc_u32_e32 v6, 29, v6
	s_wait_alu 0xfffd
	v_cndmask_b32_e32 v6, v7, v6, vcc_lo
	s_delay_alu instid0(VALU_DEP_3) | instskip(SKIP_1) | instid1(VALU_DEP_3)
	v_lshlrev_b32_e32 v8, v8, v5
	v_lshlrev_b32_e32 v7, 31, v9
	v_lshl_add_u32 v6, v6, 23, 0x3b800000
	s_delay_alu instid0(VALU_DEP_3) | instskip(NEXT) | instid1(VALU_DEP_1)
	v_and_b32_e32 v8, 7, v8
	v_cndmask_b32_e32 v5, v5, v8, vcc_lo
	s_delay_alu instid0(VALU_DEP_1) | instskip(NEXT) | instid1(VALU_DEP_1)
	v_lshlrev_b32_e32 v5, 20, v5
	v_or3_b32 v178, v7, v6, v5
.LBB11_59:
	s_or_b32 exec_lo, exec_lo, s1
	s_mov_b32 s1, 0
	s_mov_b32 s0, exec_lo
	v_cmpx_lt_i16_e64 0x7f, v181
	s_xor_b32 s0, exec_lo, s0
	s_cbranch_execnz .LBB11_568
; %bb.60:
	s_or_saveexec_b32 s0, s0
	v_mov_b32_e32 v180, 0x7f800001
	s_xor_b32 exec_lo, exec_lo, s0
	s_cbranch_execnz .LBB11_571
.LBB11_61:
	s_or_b32 exec_lo, exec_lo, s0
	s_and_saveexec_b32 s0, s1
	s_cbranch_execz .LBB11_63
.LBB11_62:
	v_lshrrev_b16 v7, 3, v181
	v_lshrrev_b16 v9, 7, v181
	s_delay_alu instid0(VALU_DEP_2) | instskip(NEXT) | instid1(VALU_DEP_1)
	v_and_b32_e32 v7, 15, v7
	v_cmp_eq_u16_e32 vcc_lo, 0, v7
	v_and_b32_e32 v5, 7, v181
	s_delay_alu instid0(VALU_DEP_1) | instskip(NEXT) | instid1(VALU_DEP_1)
	v_clz_i32_u32_e32 v6, v5
	v_min_u32_e32 v6, 32, v6
	s_delay_alu instid0(VALU_DEP_1) | instskip(SKIP_2) | instid1(VALU_DEP_1)
	v_subrev_nc_u32_e32 v8, 28, v6
	v_sub_nc_u32_e32 v6, 29, v6
	s_wait_alu 0xfffd
	v_cndmask_b32_e32 v6, v7, v6, vcc_lo
	s_delay_alu instid0(VALU_DEP_3) | instskip(SKIP_1) | instid1(VALU_DEP_3)
	v_lshlrev_b32_e32 v8, v8, v5
	v_lshlrev_b32_e32 v7, 31, v9
	v_lshl_add_u32 v6, v6, 23, 0x3b800000
	s_delay_alu instid0(VALU_DEP_3) | instskip(NEXT) | instid1(VALU_DEP_1)
	v_and_b32_e32 v8, 7, v8
	v_cndmask_b32_e32 v5, v5, v8, vcc_lo
	s_delay_alu instid0(VALU_DEP_1) | instskip(NEXT) | instid1(VALU_DEP_1)
	v_lshlrev_b32_e32 v5, 20, v5
	v_or3_b32 v180, v7, v6, v5
.LBB11_63:
	s_or_b32 exec_lo, exec_lo, s0
	v_and_b32_e32 v254, 0xff, v160
	s_mov_b32 s0, 0
	s_mov_b32 s1, exec_lo
	s_delay_alu instid0(VALU_DEP_1)
	v_cmpx_lt_i16_e64 0x7f, v254
	s_xor_b32 s1, exec_lo, s1
	s_cbranch_execnz .LBB11_572
; %bb.64:
	s_or_saveexec_b32 s1, s1
	v_mov_b32_e32 v181, 0x7f800001
	s_xor_b32 exec_lo, exec_lo, s1
	s_cbranch_execnz .LBB11_575
.LBB11_65:
	s_or_b32 exec_lo, exec_lo, s1
	s_and_saveexec_b32 s1, s0
	s_cbranch_execz .LBB11_67
.LBB11_66:
	v_lshrrev_b16 v7, 3, v160
	v_lshrrev_b16 v9, 7, v160
	s_delay_alu instid0(VALU_DEP_2) | instskip(NEXT) | instid1(VALU_DEP_1)
	v_and_b32_e32 v7, 15, v7
	v_cmp_eq_u16_e32 vcc_lo, 0, v7
	v_and_b32_e32 v5, 7, v160
	s_delay_alu instid0(VALU_DEP_1) | instskip(NEXT) | instid1(VALU_DEP_1)
	v_clz_i32_u32_e32 v6, v5
	v_min_u32_e32 v6, 32, v6
	s_delay_alu instid0(VALU_DEP_1) | instskip(SKIP_2) | instid1(VALU_DEP_1)
	v_subrev_nc_u32_e32 v8, 28, v6
	v_sub_nc_u32_e32 v6, 29, v6
	s_wait_alu 0xfffd
	v_cndmask_b32_e32 v6, v7, v6, vcc_lo
	s_delay_alu instid0(VALU_DEP_3) | instskip(SKIP_1) | instid1(VALU_DEP_3)
	v_lshlrev_b32_e32 v8, v8, v5
	v_lshlrev_b32_e32 v7, 31, v9
	v_lshl_add_u32 v6, v6, 23, 0x3b800000
	s_delay_alu instid0(VALU_DEP_3) | instskip(NEXT) | instid1(VALU_DEP_1)
	v_and_b32_e32 v8, 7, v8
	v_cndmask_b32_e32 v5, v5, v8, vcc_lo
	s_delay_alu instid0(VALU_DEP_1) | instskip(NEXT) | instid1(VALU_DEP_1)
	v_lshlrev_b32_e32 v5, 20, v5
	v_or3_b32 v181, v7, v6, v5
.LBB11_67:
	s_or_b32 exec_lo, exec_lo, s1
	v_and_b32_e32 v254, 0xff, v184
	s_mov_b32 s0, 0
	s_mov_b32 s1, exec_lo
	s_delay_alu instid0(VALU_DEP_1)
	v_cmpx_lt_i16_e64 0x7f, v254
	s_xor_b32 s1, exec_lo, s1
	s_cbranch_execnz .LBB11_576
; %bb.68:
	s_or_saveexec_b32 s1, s1
	v_mov_b32_e32 v160, 0x7f800001
	s_xor_b32 exec_lo, exec_lo, s1
	s_cbranch_execnz .LBB11_579
.LBB11_69:
	s_or_b32 exec_lo, exec_lo, s1
	s_and_saveexec_b32 s1, s0
	s_cbranch_execz .LBB11_71
.LBB11_70:
	v_lshrrev_b16 v7, 3, v184
	v_lshrrev_b16 v9, 7, v184
	s_delay_alu instid0(VALU_DEP_2) | instskip(NEXT) | instid1(VALU_DEP_1)
	v_and_b32_e32 v7, 15, v7
	v_cmp_eq_u16_e32 vcc_lo, 0, v7
	v_and_b32_e32 v5, 7, v184
	s_delay_alu instid0(VALU_DEP_1) | instskip(NEXT) | instid1(VALU_DEP_1)
	v_clz_i32_u32_e32 v6, v5
	v_min_u32_e32 v6, 32, v6
	s_delay_alu instid0(VALU_DEP_1) | instskip(SKIP_2) | instid1(VALU_DEP_1)
	v_subrev_nc_u32_e32 v8, 28, v6
	v_sub_nc_u32_e32 v6, 29, v6
	s_wait_alu 0xfffd
	v_cndmask_b32_e32 v6, v7, v6, vcc_lo
	s_delay_alu instid0(VALU_DEP_3) | instskip(SKIP_1) | instid1(VALU_DEP_3)
	v_lshlrev_b32_e32 v8, v8, v5
	v_lshlrev_b32_e32 v7, 31, v9
	v_lshl_add_u32 v6, v6, 23, 0x3b800000
	s_delay_alu instid0(VALU_DEP_3) | instskip(NEXT) | instid1(VALU_DEP_1)
	v_and_b32_e32 v8, 7, v8
	v_cndmask_b32_e32 v5, v5, v8, vcc_lo
	s_delay_alu instid0(VALU_DEP_1) | instskip(NEXT) | instid1(VALU_DEP_1)
	v_lshlrev_b32_e32 v5, 20, v5
	v_or3_b32 v160, v7, v6, v5
.LBB11_71:
	s_or_b32 exec_lo, exec_lo, s1
	v_and_b32_e32 v254, 0xff, v186
	s_mov_b32 s0, 0
	s_mov_b32 s1, exec_lo
	s_delay_alu instid0(VALU_DEP_1)
	v_cmpx_lt_i16_e64 0x7f, v254
	s_xor_b32 s1, exec_lo, s1
	s_cbranch_execnz .LBB11_580
; %bb.72:
	s_or_saveexec_b32 s1, s1
	v_mov_b32_e32 v184, 0x7f800001
	s_xor_b32 exec_lo, exec_lo, s1
	s_cbranch_execnz .LBB11_583
.LBB11_73:
	s_or_b32 exec_lo, exec_lo, s1
	s_and_saveexec_b32 s1, s0
	s_cbranch_execz .LBB11_75
.LBB11_74:
	v_and_b32_e32 v5, 7, v186
	v_lshrrev_b16 v7, 3, v186
	v_lshrrev_b16 v9, 7, v186
	s_delay_alu instid0(VALU_DEP_3) | instskip(NEXT) | instid1(VALU_DEP_3)
	v_clz_i32_u32_e32 v6, v5
	v_and_b32_e32 v7, 15, v7
	s_delay_alu instid0(VALU_DEP_2) | instskip(NEXT) | instid1(VALU_DEP_2)
	v_min_u32_e32 v6, 32, v6
	v_cmp_eq_u16_e32 vcc_lo, 0, v7
	s_delay_alu instid0(VALU_DEP_2) | instskip(SKIP_1) | instid1(VALU_DEP_2)
	v_subrev_nc_u32_e32 v8, 28, v6
	v_sub_nc_u32_e32 v6, 29, v6
	v_lshlrev_b32_e32 v8, v8, v5
	s_wait_alu 0xfffd
	s_delay_alu instid0(VALU_DEP_2) | instskip(NEXT) | instid1(VALU_DEP_2)
	v_dual_cndmask_b32 v6, v7, v6 :: v_dual_lshlrev_b32 v7, 31, v9
	v_and_b32_e32 v8, 7, v8
	s_delay_alu instid0(VALU_DEP_2) | instskip(NEXT) | instid1(VALU_DEP_2)
	v_lshl_add_u32 v6, v6, 23, 0x3b800000
	v_cndmask_b32_e32 v5, v5, v8, vcc_lo
	s_delay_alu instid0(VALU_DEP_1) | instskip(NEXT) | instid1(VALU_DEP_1)
	v_lshlrev_b32_e32 v5, 20, v5
	v_or3_b32 v184, v7, v6, v5
.LBB11_75:
	s_or_b32 exec_lo, exec_lo, s1
	s_mov_b32 s1, 0
	s_mov_b32 s0, exec_lo
	v_cmpx_lt_i16_e64 0x7f, v187
	s_xor_b32 s0, exec_lo, s0
	s_cbranch_execnz .LBB11_584
; %bb.76:
	s_or_saveexec_b32 s0, s0
	v_mov_b32_e32 v186, 0x7f800001
	s_xor_b32 exec_lo, exec_lo, s0
	s_cbranch_execnz .LBB11_587
.LBB11_77:
	s_or_b32 exec_lo, exec_lo, s0
	s_and_saveexec_b32 s0, s1
	s_cbranch_execz .LBB11_79
.LBB11_78:
	v_lshrrev_b16 v7, 3, v187
	v_lshrrev_b16 v9, 7, v187
	s_delay_alu instid0(VALU_DEP_2) | instskip(NEXT) | instid1(VALU_DEP_1)
	v_and_b32_e32 v7, 15, v7
	v_cmp_eq_u16_e32 vcc_lo, 0, v7
	v_and_b32_e32 v5, 7, v187
	s_delay_alu instid0(VALU_DEP_1) | instskip(NEXT) | instid1(VALU_DEP_1)
	v_clz_i32_u32_e32 v6, v5
	v_min_u32_e32 v6, 32, v6
	s_delay_alu instid0(VALU_DEP_1) | instskip(SKIP_2) | instid1(VALU_DEP_1)
	v_subrev_nc_u32_e32 v8, 28, v6
	v_sub_nc_u32_e32 v6, 29, v6
	s_wait_alu 0xfffd
	v_cndmask_b32_e32 v6, v7, v6, vcc_lo
	s_delay_alu instid0(VALU_DEP_3) | instskip(SKIP_1) | instid1(VALU_DEP_3)
	v_lshlrev_b32_e32 v8, v8, v5
	v_lshlrev_b32_e32 v7, 31, v9
	v_lshl_add_u32 v6, v6, 23, 0x3b800000
	s_delay_alu instid0(VALU_DEP_3) | instskip(NEXT) | instid1(VALU_DEP_1)
	v_and_b32_e32 v8, 7, v8
	v_cndmask_b32_e32 v5, v5, v8, vcc_lo
	s_delay_alu instid0(VALU_DEP_1) | instskip(NEXT) | instid1(VALU_DEP_1)
	v_lshlrev_b32_e32 v5, 20, v5
	v_or3_b32 v186, v7, v6, v5
.LBB11_79:
	s_or_b32 exec_lo, exec_lo, s0
	v_and_b32_e32 v254, 0xff, v153
	s_mov_b32 s0, 0
	s_mov_b32 s1, exec_lo
	s_delay_alu instid0(VALU_DEP_1)
	v_cmpx_lt_i16_e64 0x7f, v254
	s_xor_b32 s1, exec_lo, s1
	s_cbranch_execnz .LBB11_588
; %bb.80:
	s_or_saveexec_b32 s1, s1
	v_mov_b32_e32 v187, 0x7f800001
	s_xor_b32 exec_lo, exec_lo, s1
	s_cbranch_execnz .LBB11_591
.LBB11_81:
	s_or_b32 exec_lo, exec_lo, s1
	s_and_saveexec_b32 s1, s0
	s_cbranch_execz .LBB11_83
.LBB11_82:
	v_lshrrev_b16 v7, 3, v153
	v_lshrrev_b16 v9, 7, v153
	s_delay_alu instid0(VALU_DEP_2) | instskip(NEXT) | instid1(VALU_DEP_1)
	v_and_b32_e32 v7, 15, v7
	v_cmp_eq_u16_e32 vcc_lo, 0, v7
	v_and_b32_e32 v5, 7, v153
	s_delay_alu instid0(VALU_DEP_1) | instskip(NEXT) | instid1(VALU_DEP_1)
	v_clz_i32_u32_e32 v6, v5
	v_min_u32_e32 v6, 32, v6
	s_delay_alu instid0(VALU_DEP_1) | instskip(SKIP_2) | instid1(VALU_DEP_1)
	v_subrev_nc_u32_e32 v8, 28, v6
	v_sub_nc_u32_e32 v6, 29, v6
	s_wait_alu 0xfffd
	v_cndmask_b32_e32 v6, v7, v6, vcc_lo
	s_delay_alu instid0(VALU_DEP_3) | instskip(SKIP_1) | instid1(VALU_DEP_3)
	v_lshlrev_b32_e32 v8, v8, v5
	v_lshlrev_b32_e32 v7, 31, v9
	v_lshl_add_u32 v6, v6, 23, 0x3b800000
	s_delay_alu instid0(VALU_DEP_3) | instskip(NEXT) | instid1(VALU_DEP_1)
	v_and_b32_e32 v8, 7, v8
	v_cndmask_b32_e32 v5, v5, v8, vcc_lo
	s_delay_alu instid0(VALU_DEP_1) | instskip(NEXT) | instid1(VALU_DEP_1)
	v_lshlrev_b32_e32 v5, 20, v5
	v_or3_b32 v187, v7, v6, v5
.LBB11_83:
	s_or_b32 exec_lo, exec_lo, s1
	v_and_b32_e32 v254, 0xff, v190
	s_mov_b32 s0, 0
	s_mov_b32 s1, exec_lo
	s_delay_alu instid0(VALU_DEP_1)
	v_cmpx_lt_i16_e64 0x7f, v254
	s_xor_b32 s1, exec_lo, s1
	s_cbranch_execnz .LBB11_592
; %bb.84:
	s_or_saveexec_b32 s1, s1
	v_mov_b32_e32 v153, 0x7f800001
	s_xor_b32 exec_lo, exec_lo, s1
	s_cbranch_execnz .LBB11_595
.LBB11_85:
	s_or_b32 exec_lo, exec_lo, s1
	s_and_saveexec_b32 s1, s0
	s_cbranch_execz .LBB11_87
.LBB11_86:
	v_and_b32_e32 v5, 7, v190
	v_lshrrev_b16 v7, 3, v190
	v_lshrrev_b16 v9, 7, v190
	s_delay_alu instid0(VALU_DEP_3) | instskip(NEXT) | instid1(VALU_DEP_3)
	v_clz_i32_u32_e32 v6, v5
	v_and_b32_e32 v7, 15, v7
	s_delay_alu instid0(VALU_DEP_2) | instskip(NEXT) | instid1(VALU_DEP_2)
	v_min_u32_e32 v6, 32, v6
	v_cmp_eq_u16_e32 vcc_lo, 0, v7
	s_delay_alu instid0(VALU_DEP_2) | instskip(SKIP_1) | instid1(VALU_DEP_2)
	v_subrev_nc_u32_e32 v8, 28, v6
	v_sub_nc_u32_e32 v6, 29, v6
	v_lshlrev_b32_e32 v8, v8, v5
	s_wait_alu 0xfffd
	s_delay_alu instid0(VALU_DEP_2) | instskip(NEXT) | instid1(VALU_DEP_2)
	v_dual_cndmask_b32 v6, v7, v6 :: v_dual_lshlrev_b32 v7, 31, v9
	v_and_b32_e32 v8, 7, v8
	s_delay_alu instid0(VALU_DEP_2) | instskip(NEXT) | instid1(VALU_DEP_2)
	v_lshl_add_u32 v6, v6, 23, 0x3b800000
	v_cndmask_b32_e32 v5, v5, v8, vcc_lo
	s_delay_alu instid0(VALU_DEP_1) | instskip(NEXT) | instid1(VALU_DEP_1)
	v_lshlrev_b32_e32 v5, 20, v5
	v_or3_b32 v153, v7, v6, v5
.LBB11_87:
	s_or_b32 exec_lo, exec_lo, s1
	v_and_b32_e32 v254, 0xff, v192
	s_mov_b32 s0, 0
	s_mov_b32 s1, exec_lo
	s_delay_alu instid0(VALU_DEP_1)
	v_cmpx_lt_i16_e64 0x7f, v254
	s_xor_b32 s1, exec_lo, s1
	s_cbranch_execnz .LBB11_596
; %bb.88:
	s_or_saveexec_b32 s1, s1
	v_mov_b32_e32 v190, 0x7f800001
	s_xor_b32 exec_lo, exec_lo, s1
	s_cbranch_execnz .LBB11_599
.LBB11_89:
	s_or_b32 exec_lo, exec_lo, s1
	s_and_saveexec_b32 s1, s0
	s_cbranch_execz .LBB11_91
.LBB11_90:
	v_lshrrev_b16 v7, 3, v192
	v_lshrrev_b16 v9, 7, v192
	s_delay_alu instid0(VALU_DEP_2) | instskip(NEXT) | instid1(VALU_DEP_1)
	v_and_b32_e32 v7, 15, v7
	v_cmp_eq_u16_e32 vcc_lo, 0, v7
	v_and_b32_e32 v5, 7, v192
	s_delay_alu instid0(VALU_DEP_1) | instskip(NEXT) | instid1(VALU_DEP_1)
	v_clz_i32_u32_e32 v6, v5
	v_min_u32_e32 v6, 32, v6
	s_delay_alu instid0(VALU_DEP_1) | instskip(SKIP_2) | instid1(VALU_DEP_1)
	v_subrev_nc_u32_e32 v8, 28, v6
	v_sub_nc_u32_e32 v6, 29, v6
	s_wait_alu 0xfffd
	v_cndmask_b32_e32 v6, v7, v6, vcc_lo
	s_delay_alu instid0(VALU_DEP_3) | instskip(SKIP_1) | instid1(VALU_DEP_3)
	v_lshlrev_b32_e32 v8, v8, v5
	v_lshlrev_b32_e32 v7, 31, v9
	v_lshl_add_u32 v6, v6, 23, 0x3b800000
	s_delay_alu instid0(VALU_DEP_3) | instskip(NEXT) | instid1(VALU_DEP_1)
	v_and_b32_e32 v8, 7, v8
	v_cndmask_b32_e32 v5, v5, v8, vcc_lo
	s_delay_alu instid0(VALU_DEP_1) | instskip(NEXT) | instid1(VALU_DEP_1)
	v_lshlrev_b32_e32 v5, 20, v5
	v_or3_b32 v190, v7, v6, v5
.LBB11_91:
	s_or_b32 exec_lo, exec_lo, s1
	s_mov_b32 s1, 0
	s_mov_b32 s0, exec_lo
	v_cmpx_lt_i16_e64 0x7f, v193
	s_xor_b32 s0, exec_lo, s0
	s_cbranch_execnz .LBB11_600
; %bb.92:
	s_or_saveexec_b32 s0, s0
	v_mov_b32_e32 v192, 0x7f800001
	s_xor_b32 exec_lo, exec_lo, s0
	s_cbranch_execnz .LBB11_603
.LBB11_93:
	s_or_b32 exec_lo, exec_lo, s0
	s_and_saveexec_b32 s0, s1
	s_cbranch_execz .LBB11_95
.LBB11_94:
	v_lshrrev_b16 v7, 3, v193
	v_lshrrev_b16 v9, 7, v193
	s_delay_alu instid0(VALU_DEP_2) | instskip(NEXT) | instid1(VALU_DEP_1)
	v_and_b32_e32 v7, 15, v7
	v_cmp_eq_u16_e32 vcc_lo, 0, v7
	v_and_b32_e32 v5, 7, v193
	s_delay_alu instid0(VALU_DEP_1) | instskip(NEXT) | instid1(VALU_DEP_1)
	v_clz_i32_u32_e32 v6, v5
	v_min_u32_e32 v6, 32, v6
	s_delay_alu instid0(VALU_DEP_1) | instskip(SKIP_2) | instid1(VALU_DEP_1)
	v_subrev_nc_u32_e32 v8, 28, v6
	v_sub_nc_u32_e32 v6, 29, v6
	s_wait_alu 0xfffd
	v_cndmask_b32_e32 v6, v7, v6, vcc_lo
	s_delay_alu instid0(VALU_DEP_3) | instskip(SKIP_1) | instid1(VALU_DEP_3)
	v_lshlrev_b32_e32 v8, v8, v5
	v_lshlrev_b32_e32 v7, 31, v9
	v_lshl_add_u32 v6, v6, 23, 0x3b800000
	s_delay_alu instid0(VALU_DEP_3) | instskip(NEXT) | instid1(VALU_DEP_1)
	v_and_b32_e32 v8, 7, v8
	v_cndmask_b32_e32 v5, v5, v8, vcc_lo
	s_delay_alu instid0(VALU_DEP_1) | instskip(NEXT) | instid1(VALU_DEP_1)
	v_lshlrev_b32_e32 v5, 20, v5
	v_or3_b32 v192, v7, v6, v5
.LBB11_95:
	s_or_b32 exec_lo, exec_lo, s0
	v_and_b32_e32 v254, 0xff, v154
	s_mov_b32 s0, 0
	s_mov_b32 s1, exec_lo
	s_delay_alu instid0(VALU_DEP_1)
	v_cmpx_lt_i16_e64 0x7f, v254
	s_xor_b32 s1, exec_lo, s1
	s_cbranch_execnz .LBB11_604
; %bb.96:
	s_or_saveexec_b32 s1, s1
	v_mov_b32_e32 v193, 0x7f800001
	s_xor_b32 exec_lo, exec_lo, s1
	s_cbranch_execnz .LBB11_607
.LBB11_97:
	s_or_b32 exec_lo, exec_lo, s1
	s_and_saveexec_b32 s1, s0
	s_cbranch_execz .LBB11_99
.LBB11_98:
	v_and_b32_e32 v5, 7, v154
	v_lshrrev_b16 v7, 3, v154
	v_lshrrev_b16 v9, 7, v154
	s_delay_alu instid0(VALU_DEP_3) | instskip(NEXT) | instid1(VALU_DEP_3)
	v_clz_i32_u32_e32 v6, v5
	v_and_b32_e32 v7, 15, v7
	s_delay_alu instid0(VALU_DEP_2) | instskip(NEXT) | instid1(VALU_DEP_2)
	v_min_u32_e32 v6, 32, v6
	v_cmp_eq_u16_e32 vcc_lo, 0, v7
	s_delay_alu instid0(VALU_DEP_2) | instskip(SKIP_1) | instid1(VALU_DEP_2)
	v_subrev_nc_u32_e32 v8, 28, v6
	v_sub_nc_u32_e32 v6, 29, v6
	v_lshlrev_b32_e32 v8, v8, v5
	s_wait_alu 0xfffd
	s_delay_alu instid0(VALU_DEP_2) | instskip(NEXT) | instid1(VALU_DEP_2)
	v_dual_cndmask_b32 v6, v7, v6 :: v_dual_lshlrev_b32 v7, 31, v9
	v_and_b32_e32 v8, 7, v8
	s_delay_alu instid0(VALU_DEP_2) | instskip(NEXT) | instid1(VALU_DEP_2)
	v_lshl_add_u32 v6, v6, 23, 0x3b800000
	v_cndmask_b32_e32 v5, v5, v8, vcc_lo
	s_delay_alu instid0(VALU_DEP_1) | instskip(NEXT) | instid1(VALU_DEP_1)
	v_lshlrev_b32_e32 v5, 20, v5
	v_or3_b32 v193, v7, v6, v5
.LBB11_99:
	s_or_b32 exec_lo, exec_lo, s1
	v_and_b32_e32 v254, 0xff, v196
	s_mov_b32 s0, 0
	s_mov_b32 s1, exec_lo
	s_delay_alu instid0(VALU_DEP_1)
	v_cmpx_lt_i16_e64 0x7f, v254
	s_xor_b32 s1, exec_lo, s1
	s_cbranch_execnz .LBB11_608
; %bb.100:
	s_or_saveexec_b32 s1, s1
	v_mov_b32_e32 v154, 0x7f800001
	s_xor_b32 exec_lo, exec_lo, s1
	s_cbranch_execnz .LBB11_611
.LBB11_101:
	s_or_b32 exec_lo, exec_lo, s1
	s_and_saveexec_b32 s1, s0
	s_cbranch_execz .LBB11_103
.LBB11_102:
	v_lshrrev_b16 v7, 3, v196
	v_lshrrev_b16 v9, 7, v196
	s_delay_alu instid0(VALU_DEP_2) | instskip(NEXT) | instid1(VALU_DEP_1)
	v_and_b32_e32 v7, 15, v7
	v_cmp_eq_u16_e32 vcc_lo, 0, v7
	v_and_b32_e32 v5, 7, v196
	s_delay_alu instid0(VALU_DEP_1) | instskip(NEXT) | instid1(VALU_DEP_1)
	v_clz_i32_u32_e32 v6, v5
	v_min_u32_e32 v6, 32, v6
	s_delay_alu instid0(VALU_DEP_1) | instskip(SKIP_2) | instid1(VALU_DEP_1)
	v_subrev_nc_u32_e32 v8, 28, v6
	v_sub_nc_u32_e32 v6, 29, v6
	s_wait_alu 0xfffd
	v_cndmask_b32_e32 v6, v7, v6, vcc_lo
	s_delay_alu instid0(VALU_DEP_3) | instskip(SKIP_1) | instid1(VALU_DEP_3)
	v_lshlrev_b32_e32 v8, v8, v5
	v_lshlrev_b32_e32 v7, 31, v9
	v_lshl_add_u32 v6, v6, 23, 0x3b800000
	s_delay_alu instid0(VALU_DEP_3) | instskip(NEXT) | instid1(VALU_DEP_1)
	v_and_b32_e32 v8, 7, v8
	v_cndmask_b32_e32 v5, v5, v8, vcc_lo
	s_delay_alu instid0(VALU_DEP_1) | instskip(NEXT) | instid1(VALU_DEP_1)
	v_lshlrev_b32_e32 v5, 20, v5
	v_or3_b32 v154, v7, v6, v5
.LBB11_103:
	s_or_b32 exec_lo, exec_lo, s1
	v_and_b32_e32 v254, 0xff, v198
	s_mov_b32 s0, 0
	s_mov_b32 s1, exec_lo
	s_delay_alu instid0(VALU_DEP_1)
	v_cmpx_lt_i16_e64 0x7f, v254
	s_xor_b32 s1, exec_lo, s1
	s_cbranch_execnz .LBB11_612
; %bb.104:
	s_or_saveexec_b32 s1, s1
	v_mov_b32_e32 v196, 0x7f800001
	s_xor_b32 exec_lo, exec_lo, s1
	s_cbranch_execnz .LBB11_615
.LBB11_105:
	s_or_b32 exec_lo, exec_lo, s1
	s_and_saveexec_b32 s1, s0
	s_cbranch_execz .LBB11_107
.LBB11_106:
	v_and_b32_e32 v5, 7, v198
	v_lshrrev_b16 v7, 3, v198
	v_lshrrev_b16 v9, 7, v198
	s_delay_alu instid0(VALU_DEP_3) | instskip(NEXT) | instid1(VALU_DEP_3)
	v_clz_i32_u32_e32 v6, v5
	v_and_b32_e32 v7, 15, v7
	s_delay_alu instid0(VALU_DEP_2) | instskip(NEXT) | instid1(VALU_DEP_2)
	v_min_u32_e32 v6, 32, v6
	v_cmp_eq_u16_e32 vcc_lo, 0, v7
	s_delay_alu instid0(VALU_DEP_2) | instskip(SKIP_1) | instid1(VALU_DEP_2)
	v_subrev_nc_u32_e32 v8, 28, v6
	v_sub_nc_u32_e32 v6, 29, v6
	v_lshlrev_b32_e32 v8, v8, v5
	s_wait_alu 0xfffd
	s_delay_alu instid0(VALU_DEP_2) | instskip(NEXT) | instid1(VALU_DEP_2)
	v_dual_cndmask_b32 v6, v7, v6 :: v_dual_lshlrev_b32 v7, 31, v9
	v_and_b32_e32 v8, 7, v8
	s_delay_alu instid0(VALU_DEP_2) | instskip(NEXT) | instid1(VALU_DEP_2)
	v_lshl_add_u32 v6, v6, 23, 0x3b800000
	v_cndmask_b32_e32 v5, v5, v8, vcc_lo
	s_delay_alu instid0(VALU_DEP_1) | instskip(NEXT) | instid1(VALU_DEP_1)
	v_lshlrev_b32_e32 v5, 20, v5
	v_or3_b32 v196, v7, v6, v5
.LBB11_107:
	s_or_b32 exec_lo, exec_lo, s1
	s_mov_b32 s1, 0
	s_mov_b32 s0, exec_lo
	v_cmpx_lt_i16_e64 0x7f, v199
	s_xor_b32 s0, exec_lo, s0
	s_cbranch_execnz .LBB11_616
; %bb.108:
	s_or_saveexec_b32 s0, s0
	v_mov_b32_e32 v198, 0x7f800001
	s_xor_b32 exec_lo, exec_lo, s0
	s_cbranch_execnz .LBB11_619
.LBB11_109:
	s_or_b32 exec_lo, exec_lo, s0
	s_and_saveexec_b32 s0, s1
	s_cbranch_execz .LBB11_111
.LBB11_110:
	v_lshrrev_b16 v7, 3, v199
	v_lshrrev_b16 v9, 7, v199
	s_delay_alu instid0(VALU_DEP_2) | instskip(NEXT) | instid1(VALU_DEP_1)
	v_and_b32_e32 v7, 15, v7
	v_cmp_eq_u16_e32 vcc_lo, 0, v7
	v_and_b32_e32 v5, 7, v199
	s_delay_alu instid0(VALU_DEP_1) | instskip(NEXT) | instid1(VALU_DEP_1)
	v_clz_i32_u32_e32 v6, v5
	v_min_u32_e32 v6, 32, v6
	s_delay_alu instid0(VALU_DEP_1) | instskip(SKIP_2) | instid1(VALU_DEP_1)
	v_subrev_nc_u32_e32 v8, 28, v6
	v_sub_nc_u32_e32 v6, 29, v6
	s_wait_alu 0xfffd
	v_cndmask_b32_e32 v6, v7, v6, vcc_lo
	s_delay_alu instid0(VALU_DEP_3) | instskip(SKIP_1) | instid1(VALU_DEP_3)
	v_lshlrev_b32_e32 v8, v8, v5
	v_lshlrev_b32_e32 v7, 31, v9
	v_lshl_add_u32 v6, v6, 23, 0x3b800000
	s_delay_alu instid0(VALU_DEP_3) | instskip(NEXT) | instid1(VALU_DEP_1)
	v_and_b32_e32 v8, 7, v8
	v_cndmask_b32_e32 v5, v5, v8, vcc_lo
	s_delay_alu instid0(VALU_DEP_1) | instskip(NEXT) | instid1(VALU_DEP_1)
	v_lshlrev_b32_e32 v5, 20, v5
	v_or3_b32 v198, v7, v6, v5
.LBB11_111:
	s_or_b32 exec_lo, exec_lo, s0
	v_and_b32_e32 v254, 0xff, v155
	s_mov_b32 s0, 0
	s_mov_b32 s1, exec_lo
	s_delay_alu instid0(VALU_DEP_1)
	v_cmpx_lt_i16_e64 0x7f, v254
	s_xor_b32 s1, exec_lo, s1
	s_cbranch_execnz .LBB11_620
; %bb.112:
	s_or_saveexec_b32 s1, s1
	v_mov_b32_e32 v199, 0x7f800001
	s_xor_b32 exec_lo, exec_lo, s1
	s_cbranch_execnz .LBB11_623
.LBB11_113:
	s_or_b32 exec_lo, exec_lo, s1
	s_and_saveexec_b32 s1, s0
	s_cbranch_execz .LBB11_115
.LBB11_114:
	v_lshrrev_b16 v7, 3, v155
	v_lshrrev_b16 v9, 7, v155
	s_delay_alu instid0(VALU_DEP_2) | instskip(NEXT) | instid1(VALU_DEP_1)
	v_and_b32_e32 v7, 15, v7
	v_cmp_eq_u16_e32 vcc_lo, 0, v7
	v_and_b32_e32 v5, 7, v155
	s_delay_alu instid0(VALU_DEP_1) | instskip(NEXT) | instid1(VALU_DEP_1)
	v_clz_i32_u32_e32 v6, v5
	v_min_u32_e32 v6, 32, v6
	s_delay_alu instid0(VALU_DEP_1) | instskip(SKIP_2) | instid1(VALU_DEP_1)
	v_subrev_nc_u32_e32 v8, 28, v6
	v_sub_nc_u32_e32 v6, 29, v6
	s_wait_alu 0xfffd
	v_cndmask_b32_e32 v6, v7, v6, vcc_lo
	s_delay_alu instid0(VALU_DEP_3) | instskip(SKIP_1) | instid1(VALU_DEP_3)
	v_lshlrev_b32_e32 v8, v8, v5
	v_lshlrev_b32_e32 v7, 31, v9
	v_lshl_add_u32 v6, v6, 23, 0x3b800000
	s_delay_alu instid0(VALU_DEP_3) | instskip(NEXT) | instid1(VALU_DEP_1)
	v_and_b32_e32 v8, 7, v8
	v_cndmask_b32_e32 v5, v5, v8, vcc_lo
	s_delay_alu instid0(VALU_DEP_1) | instskip(NEXT) | instid1(VALU_DEP_1)
	v_lshlrev_b32_e32 v5, 20, v5
	v_or3_b32 v199, v7, v6, v5
.LBB11_115:
	s_or_b32 exec_lo, exec_lo, s1
	v_and_b32_e32 v254, 0xff, v202
	s_mov_b32 s0, 0
	s_mov_b32 s1, exec_lo
	s_delay_alu instid0(VALU_DEP_1)
	v_cmpx_lt_i16_e64 0x7f, v254
	s_xor_b32 s1, exec_lo, s1
	s_cbranch_execnz .LBB11_624
; %bb.116:
	s_or_saveexec_b32 s1, s1
	v_mov_b32_e32 v155, 0x7f800001
	s_xor_b32 exec_lo, exec_lo, s1
	s_cbranch_execnz .LBB11_627
.LBB11_117:
	s_or_b32 exec_lo, exec_lo, s1
	s_and_saveexec_b32 s1, s0
	s_cbranch_execz .LBB11_119
.LBB11_118:
	v_and_b32_e32 v5, 7, v202
	v_lshrrev_b16 v7, 3, v202
	v_lshrrev_b16 v9, 7, v202
	s_delay_alu instid0(VALU_DEP_3) | instskip(NEXT) | instid1(VALU_DEP_3)
	v_clz_i32_u32_e32 v6, v5
	v_and_b32_e32 v7, 15, v7
	s_delay_alu instid0(VALU_DEP_2) | instskip(NEXT) | instid1(VALU_DEP_2)
	v_min_u32_e32 v6, 32, v6
	v_cmp_eq_u16_e32 vcc_lo, 0, v7
	s_delay_alu instid0(VALU_DEP_2) | instskip(SKIP_1) | instid1(VALU_DEP_2)
	v_subrev_nc_u32_e32 v8, 28, v6
	v_sub_nc_u32_e32 v6, 29, v6
	v_lshlrev_b32_e32 v8, v8, v5
	s_wait_alu 0xfffd
	s_delay_alu instid0(VALU_DEP_2) | instskip(NEXT) | instid1(VALU_DEP_2)
	v_dual_cndmask_b32 v6, v7, v6 :: v_dual_lshlrev_b32 v7, 31, v9
	v_and_b32_e32 v8, 7, v8
	s_delay_alu instid0(VALU_DEP_2) | instskip(NEXT) | instid1(VALU_DEP_2)
	v_lshl_add_u32 v6, v6, 23, 0x3b800000
	v_cndmask_b32_e32 v5, v5, v8, vcc_lo
	s_delay_alu instid0(VALU_DEP_1) | instskip(NEXT) | instid1(VALU_DEP_1)
	v_lshlrev_b32_e32 v5, 20, v5
	v_or3_b32 v155, v7, v6, v5
.LBB11_119:
	s_or_b32 exec_lo, exec_lo, s1
	v_and_b32_e32 v254, 0xff, v204
	s_mov_b32 s0, 0
	s_mov_b32 s1, exec_lo
	s_delay_alu instid0(VALU_DEP_1)
	v_cmpx_lt_i16_e64 0x7f, v254
	s_xor_b32 s1, exec_lo, s1
	s_cbranch_execnz .LBB11_628
; %bb.120:
	s_or_saveexec_b32 s1, s1
	v_mov_b32_e32 v202, 0x7f800001
	s_xor_b32 exec_lo, exec_lo, s1
	s_cbranch_execnz .LBB11_631
.LBB11_121:
	s_or_b32 exec_lo, exec_lo, s1
	s_and_saveexec_b32 s1, s0
	s_cbranch_execz .LBB11_123
.LBB11_122:
	v_lshrrev_b16 v7, 3, v204
	v_lshrrev_b16 v9, 7, v204
	s_delay_alu instid0(VALU_DEP_2) | instskip(NEXT) | instid1(VALU_DEP_1)
	v_and_b32_e32 v7, 15, v7
	v_cmp_eq_u16_e32 vcc_lo, 0, v7
	v_and_b32_e32 v5, 7, v204
	s_delay_alu instid0(VALU_DEP_1) | instskip(NEXT) | instid1(VALU_DEP_1)
	v_clz_i32_u32_e32 v6, v5
	v_min_u32_e32 v6, 32, v6
	s_delay_alu instid0(VALU_DEP_1) | instskip(SKIP_2) | instid1(VALU_DEP_1)
	v_subrev_nc_u32_e32 v8, 28, v6
	v_sub_nc_u32_e32 v6, 29, v6
	s_wait_alu 0xfffd
	v_cndmask_b32_e32 v6, v7, v6, vcc_lo
	s_delay_alu instid0(VALU_DEP_3) | instskip(SKIP_1) | instid1(VALU_DEP_3)
	v_lshlrev_b32_e32 v8, v8, v5
	v_lshlrev_b32_e32 v7, 31, v9
	v_lshl_add_u32 v6, v6, 23, 0x3b800000
	s_delay_alu instid0(VALU_DEP_3) | instskip(NEXT) | instid1(VALU_DEP_1)
	v_and_b32_e32 v8, 7, v8
	v_cndmask_b32_e32 v5, v5, v8, vcc_lo
	s_delay_alu instid0(VALU_DEP_1) | instskip(NEXT) | instid1(VALU_DEP_1)
	v_lshlrev_b32_e32 v5, 20, v5
	v_or3_b32 v202, v7, v6, v5
.LBB11_123:
	s_or_b32 exec_lo, exec_lo, s1
	s_mov_b32 s1, 0
	s_mov_b32 s0, exec_lo
	v_cmpx_lt_i16_e64 0x7f, v205
	s_xor_b32 s0, exec_lo, s0
	s_cbranch_execnz .LBB11_632
; %bb.124:
	s_or_saveexec_b32 s0, s0
	v_mov_b32_e32 v204, 0x7f800001
	s_xor_b32 exec_lo, exec_lo, s0
	s_cbranch_execnz .LBB11_635
.LBB11_125:
	s_or_b32 exec_lo, exec_lo, s0
	s_and_saveexec_b32 s0, s1
	s_cbranch_execz .LBB11_127
.LBB11_126:
	v_lshrrev_b16 v7, 3, v205
	v_lshrrev_b16 v9, 7, v205
	s_delay_alu instid0(VALU_DEP_2) | instskip(NEXT) | instid1(VALU_DEP_1)
	v_and_b32_e32 v7, 15, v7
	v_cmp_eq_u16_e32 vcc_lo, 0, v7
	v_and_b32_e32 v5, 7, v205
	s_delay_alu instid0(VALU_DEP_1) | instskip(NEXT) | instid1(VALU_DEP_1)
	v_clz_i32_u32_e32 v6, v5
	v_min_u32_e32 v6, 32, v6
	s_delay_alu instid0(VALU_DEP_1) | instskip(SKIP_2) | instid1(VALU_DEP_1)
	v_subrev_nc_u32_e32 v8, 28, v6
	v_sub_nc_u32_e32 v6, 29, v6
	s_wait_alu 0xfffd
	v_cndmask_b32_e32 v6, v7, v6, vcc_lo
	s_delay_alu instid0(VALU_DEP_3) | instskip(SKIP_1) | instid1(VALU_DEP_3)
	v_lshlrev_b32_e32 v8, v8, v5
	v_lshlrev_b32_e32 v7, 31, v9
	v_lshl_add_u32 v6, v6, 23, 0x3b800000
	s_delay_alu instid0(VALU_DEP_3) | instskip(NEXT) | instid1(VALU_DEP_1)
	v_and_b32_e32 v8, 7, v8
	v_cndmask_b32_e32 v5, v5, v8, vcc_lo
	s_delay_alu instid0(VALU_DEP_1) | instskip(NEXT) | instid1(VALU_DEP_1)
	v_lshlrev_b32_e32 v5, 20, v5
	v_or3_b32 v204, v7, v6, v5
.LBB11_127:
	s_or_b32 exec_lo, exec_lo, s0
	v_and_b32_e32 v254, 0xff, v156
	s_mov_b32 s0, 0
	s_mov_b32 s1, exec_lo
	s_delay_alu instid0(VALU_DEP_1)
	v_cmpx_lt_i16_e64 0x7f, v254
	s_xor_b32 s1, exec_lo, s1
	s_cbranch_execnz .LBB11_636
; %bb.128:
	s_or_saveexec_b32 s1, s1
	v_mov_b32_e32 v205, 0x7f800001
	s_xor_b32 exec_lo, exec_lo, s1
	s_cbranch_execnz .LBB11_639
.LBB11_129:
	s_or_b32 exec_lo, exec_lo, s1
	s_and_saveexec_b32 s1, s0
	s_cbranch_execz .LBB11_131
.LBB11_130:
	v_lshrrev_b16 v7, 3, v156
	v_lshrrev_b16 v9, 7, v156
	s_delay_alu instid0(VALU_DEP_2) | instskip(NEXT) | instid1(VALU_DEP_1)
	v_and_b32_e32 v7, 15, v7
	v_cmp_eq_u16_e32 vcc_lo, 0, v7
	v_and_b32_e32 v5, 7, v156
	s_delay_alu instid0(VALU_DEP_1) | instskip(NEXT) | instid1(VALU_DEP_1)
	v_clz_i32_u32_e32 v6, v5
	v_min_u32_e32 v6, 32, v6
	s_delay_alu instid0(VALU_DEP_1) | instskip(SKIP_2) | instid1(VALU_DEP_1)
	v_subrev_nc_u32_e32 v8, 28, v6
	v_sub_nc_u32_e32 v6, 29, v6
	s_wait_alu 0xfffd
	v_cndmask_b32_e32 v6, v7, v6, vcc_lo
	s_delay_alu instid0(VALU_DEP_3) | instskip(SKIP_1) | instid1(VALU_DEP_3)
	v_lshlrev_b32_e32 v8, v8, v5
	v_lshlrev_b32_e32 v7, 31, v9
	v_lshl_add_u32 v6, v6, 23, 0x3b800000
	s_delay_alu instid0(VALU_DEP_3) | instskip(NEXT) | instid1(VALU_DEP_1)
	v_and_b32_e32 v8, 7, v8
	v_cndmask_b32_e32 v5, v5, v8, vcc_lo
	s_delay_alu instid0(VALU_DEP_1) | instskip(NEXT) | instid1(VALU_DEP_1)
	v_lshlrev_b32_e32 v5, 20, v5
	v_or3_b32 v205, v7, v6, v5
.LBB11_131:
	s_or_b32 exec_lo, exec_lo, s1
	v_and_b32_e32 v254, 0xff, v208
	s_mov_b32 s0, 0
	s_mov_b32 s1, exec_lo
	s_delay_alu instid0(VALU_DEP_1)
	v_cmpx_lt_i16_e64 0x7f, v254
	s_xor_b32 s1, exec_lo, s1
	s_cbranch_execnz .LBB11_640
; %bb.132:
	s_or_saveexec_b32 s1, s1
	v_mov_b32_e32 v156, 0x7f800001
	s_xor_b32 exec_lo, exec_lo, s1
	s_cbranch_execnz .LBB11_643
.LBB11_133:
	s_or_b32 exec_lo, exec_lo, s1
	s_and_saveexec_b32 s1, s0
	s_cbranch_execz .LBB11_135
.LBB11_134:
	v_lshrrev_b16 v7, 3, v208
	v_lshrrev_b16 v9, 7, v208
	s_delay_alu instid0(VALU_DEP_2) | instskip(NEXT) | instid1(VALU_DEP_1)
	v_and_b32_e32 v7, 15, v7
	v_cmp_eq_u16_e32 vcc_lo, 0, v7
	v_and_b32_e32 v5, 7, v208
	s_delay_alu instid0(VALU_DEP_1) | instskip(NEXT) | instid1(VALU_DEP_1)
	v_clz_i32_u32_e32 v6, v5
	v_min_u32_e32 v6, 32, v6
	s_delay_alu instid0(VALU_DEP_1) | instskip(SKIP_2) | instid1(VALU_DEP_1)
	v_subrev_nc_u32_e32 v8, 28, v6
	v_sub_nc_u32_e32 v6, 29, v6
	s_wait_alu 0xfffd
	v_cndmask_b32_e32 v6, v7, v6, vcc_lo
	s_delay_alu instid0(VALU_DEP_3) | instskip(SKIP_1) | instid1(VALU_DEP_3)
	v_lshlrev_b32_e32 v8, v8, v5
	v_lshlrev_b32_e32 v7, 31, v9
	v_lshl_add_u32 v6, v6, 23, 0x3b800000
	s_delay_alu instid0(VALU_DEP_3) | instskip(NEXT) | instid1(VALU_DEP_1)
	v_and_b32_e32 v8, 7, v8
	v_cndmask_b32_e32 v5, v5, v8, vcc_lo
	s_delay_alu instid0(VALU_DEP_1) | instskip(NEXT) | instid1(VALU_DEP_1)
	v_lshlrev_b32_e32 v5, 20, v5
	v_or3_b32 v156, v7, v6, v5
.LBB11_135:
	s_or_b32 exec_lo, exec_lo, s1
	v_and_b32_e32 v254, 0xff, v210
	s_mov_b32 s0, 0
	s_mov_b32 s1, exec_lo
	s_delay_alu instid0(VALU_DEP_1)
	v_cmpx_lt_i16_e64 0x7f, v254
	s_xor_b32 s1, exec_lo, s1
	s_cbranch_execnz .LBB11_644
; %bb.136:
	s_or_saveexec_b32 s1, s1
	v_mov_b32_e32 v208, 0x7f800001
	s_xor_b32 exec_lo, exec_lo, s1
	s_cbranch_execnz .LBB11_647
.LBB11_137:
	s_or_b32 exec_lo, exec_lo, s1
	s_and_saveexec_b32 s1, s0
	s_cbranch_execz .LBB11_139
.LBB11_138:
	v_and_b32_e32 v5, 7, v210
	v_lshrrev_b16 v7, 3, v210
	v_lshrrev_b16 v9, 7, v210
	s_delay_alu instid0(VALU_DEP_3) | instskip(NEXT) | instid1(VALU_DEP_3)
	v_clz_i32_u32_e32 v6, v5
	v_and_b32_e32 v7, 15, v7
	s_delay_alu instid0(VALU_DEP_2) | instskip(NEXT) | instid1(VALU_DEP_2)
	v_min_u32_e32 v6, 32, v6
	v_cmp_eq_u16_e32 vcc_lo, 0, v7
	s_delay_alu instid0(VALU_DEP_2) | instskip(SKIP_1) | instid1(VALU_DEP_2)
	v_subrev_nc_u32_e32 v8, 28, v6
	v_sub_nc_u32_e32 v6, 29, v6
	v_lshlrev_b32_e32 v8, v8, v5
	s_wait_alu 0xfffd
	s_delay_alu instid0(VALU_DEP_2) | instskip(NEXT) | instid1(VALU_DEP_2)
	v_dual_cndmask_b32 v6, v7, v6 :: v_dual_lshlrev_b32 v7, 31, v9
	v_and_b32_e32 v8, 7, v8
	s_delay_alu instid0(VALU_DEP_2) | instskip(NEXT) | instid1(VALU_DEP_2)
	v_lshl_add_u32 v6, v6, 23, 0x3b800000
	v_cndmask_b32_e32 v5, v5, v8, vcc_lo
	s_delay_alu instid0(VALU_DEP_1) | instskip(NEXT) | instid1(VALU_DEP_1)
	v_lshlrev_b32_e32 v5, 20, v5
	v_or3_b32 v208, v7, v6, v5
.LBB11_139:
	s_or_b32 exec_lo, exec_lo, s1
	s_mov_b32 s1, 0
	s_mov_b32 s0, exec_lo
	v_cmpx_lt_i16_e64 0x7f, v211
	s_xor_b32 s0, exec_lo, s0
	s_cbranch_execnz .LBB11_648
; %bb.140:
	s_or_saveexec_b32 s0, s0
	v_mov_b32_e32 v210, 0x7f800001
	s_xor_b32 exec_lo, exec_lo, s0
	s_cbranch_execnz .LBB11_651
.LBB11_141:
	s_or_b32 exec_lo, exec_lo, s0
	s_and_saveexec_b32 s0, s1
	s_cbranch_execz .LBB11_143
.LBB11_142:
	v_lshrrev_b16 v7, 3, v211
	v_lshrrev_b16 v9, 7, v211
	s_delay_alu instid0(VALU_DEP_2) | instskip(NEXT) | instid1(VALU_DEP_1)
	v_and_b32_e32 v7, 15, v7
	v_cmp_eq_u16_e32 vcc_lo, 0, v7
	v_and_b32_e32 v5, 7, v211
	s_delay_alu instid0(VALU_DEP_1) | instskip(NEXT) | instid1(VALU_DEP_1)
	v_clz_i32_u32_e32 v6, v5
	v_min_u32_e32 v6, 32, v6
	s_delay_alu instid0(VALU_DEP_1) | instskip(SKIP_2) | instid1(VALU_DEP_1)
	v_subrev_nc_u32_e32 v8, 28, v6
	v_sub_nc_u32_e32 v6, 29, v6
	s_wait_alu 0xfffd
	v_cndmask_b32_e32 v6, v7, v6, vcc_lo
	s_delay_alu instid0(VALU_DEP_3) | instskip(SKIP_1) | instid1(VALU_DEP_3)
	v_lshlrev_b32_e32 v8, v8, v5
	v_lshlrev_b32_e32 v7, 31, v9
	v_lshl_add_u32 v6, v6, 23, 0x3b800000
	s_delay_alu instid0(VALU_DEP_3) | instskip(NEXT) | instid1(VALU_DEP_1)
	v_and_b32_e32 v8, 7, v8
	v_cndmask_b32_e32 v5, v5, v8, vcc_lo
	s_delay_alu instid0(VALU_DEP_1) | instskip(NEXT) | instid1(VALU_DEP_1)
	v_lshlrev_b32_e32 v5, 20, v5
	v_or3_b32 v210, v7, v6, v5
.LBB11_143:
	s_or_b32 exec_lo, exec_lo, s0
	v_and_b32_e32 v254, 0xff, v149
	s_mov_b32 s0, 0
	s_mov_b32 s1, exec_lo
	s_delay_alu instid0(VALU_DEP_1)
	v_cmpx_lt_i16_e64 0x7f, v254
	s_xor_b32 s1, exec_lo, s1
	s_cbranch_execnz .LBB11_652
; %bb.144:
	s_or_saveexec_b32 s1, s1
	v_mov_b32_e32 v211, 0x7f800001
	s_xor_b32 exec_lo, exec_lo, s1
	s_cbranch_execnz .LBB11_655
.LBB11_145:
	s_or_b32 exec_lo, exec_lo, s1
	s_and_saveexec_b32 s1, s0
	s_cbranch_execz .LBB11_147
.LBB11_146:
	v_lshrrev_b16 v7, 3, v149
	v_lshrrev_b16 v9, 7, v149
	s_delay_alu instid0(VALU_DEP_2) | instskip(NEXT) | instid1(VALU_DEP_1)
	v_and_b32_e32 v7, 15, v7
	v_cmp_eq_u16_e32 vcc_lo, 0, v7
	v_and_b32_e32 v5, 7, v149
	s_delay_alu instid0(VALU_DEP_1) | instskip(NEXT) | instid1(VALU_DEP_1)
	v_clz_i32_u32_e32 v6, v5
	v_min_u32_e32 v6, 32, v6
	s_delay_alu instid0(VALU_DEP_1) | instskip(SKIP_2) | instid1(VALU_DEP_1)
	v_subrev_nc_u32_e32 v8, 28, v6
	v_sub_nc_u32_e32 v6, 29, v6
	s_wait_alu 0xfffd
	v_cndmask_b32_e32 v6, v7, v6, vcc_lo
	s_delay_alu instid0(VALU_DEP_3) | instskip(SKIP_1) | instid1(VALU_DEP_3)
	v_lshlrev_b32_e32 v8, v8, v5
	v_lshlrev_b32_e32 v7, 31, v9
	v_lshl_add_u32 v6, v6, 23, 0x3b800000
	s_delay_alu instid0(VALU_DEP_3) | instskip(NEXT) | instid1(VALU_DEP_1)
	v_and_b32_e32 v8, 7, v8
	v_cndmask_b32_e32 v5, v5, v8, vcc_lo
	s_delay_alu instid0(VALU_DEP_1) | instskip(NEXT) | instid1(VALU_DEP_1)
	v_lshlrev_b32_e32 v5, 20, v5
	v_or3_b32 v211, v7, v6, v5
.LBB11_147:
	s_or_b32 exec_lo, exec_lo, s1
	v_and_b32_e32 v254, 0xff, v214
	s_mov_b32 s0, 0
	s_mov_b32 s1, exec_lo
	s_delay_alu instid0(VALU_DEP_1)
	v_cmpx_lt_i16_e64 0x7f, v254
	s_xor_b32 s1, exec_lo, s1
	s_cbranch_execnz .LBB11_656
; %bb.148:
	s_or_saveexec_b32 s1, s1
	v_mov_b32_e32 v149, 0x7f800001
	s_xor_b32 exec_lo, exec_lo, s1
	s_cbranch_execnz .LBB11_659
.LBB11_149:
	s_or_b32 exec_lo, exec_lo, s1
	s_and_saveexec_b32 s1, s0
	s_cbranch_execz .LBB11_151
.LBB11_150:
	v_and_b32_e32 v5, 7, v214
	v_lshrrev_b16 v7, 3, v214
	v_lshrrev_b16 v9, 7, v214
	s_delay_alu instid0(VALU_DEP_3) | instskip(NEXT) | instid1(VALU_DEP_3)
	v_clz_i32_u32_e32 v6, v5
	v_and_b32_e32 v7, 15, v7
	s_delay_alu instid0(VALU_DEP_2) | instskip(NEXT) | instid1(VALU_DEP_2)
	v_min_u32_e32 v6, 32, v6
	v_cmp_eq_u16_e32 vcc_lo, 0, v7
	s_delay_alu instid0(VALU_DEP_2) | instskip(SKIP_1) | instid1(VALU_DEP_2)
	v_subrev_nc_u32_e32 v8, 28, v6
	v_sub_nc_u32_e32 v6, 29, v6
	v_lshlrev_b32_e32 v8, v8, v5
	s_wait_alu 0xfffd
	s_delay_alu instid0(VALU_DEP_2) | instskip(NEXT) | instid1(VALU_DEP_2)
	v_dual_cndmask_b32 v6, v7, v6 :: v_dual_lshlrev_b32 v7, 31, v9
	v_and_b32_e32 v8, 7, v8
	s_delay_alu instid0(VALU_DEP_2) | instskip(NEXT) | instid1(VALU_DEP_2)
	v_lshl_add_u32 v6, v6, 23, 0x3b800000
	v_cndmask_b32_e32 v5, v5, v8, vcc_lo
	s_delay_alu instid0(VALU_DEP_1) | instskip(NEXT) | instid1(VALU_DEP_1)
	v_lshlrev_b32_e32 v5, 20, v5
	v_or3_b32 v149, v7, v6, v5
.LBB11_151:
	s_or_b32 exec_lo, exec_lo, s1
	v_and_b32_e32 v254, 0xff, v216
	s_mov_b32 s0, 0
	s_mov_b32 s1, exec_lo
	s_delay_alu instid0(VALU_DEP_1)
	v_cmpx_lt_i16_e64 0x7f, v254
	s_xor_b32 s1, exec_lo, s1
	s_cbranch_execnz .LBB11_660
; %bb.152:
	s_or_saveexec_b32 s1, s1
	v_mov_b32_e32 v214, 0x7f800001
	s_xor_b32 exec_lo, exec_lo, s1
	s_cbranch_execnz .LBB11_663
.LBB11_153:
	s_or_b32 exec_lo, exec_lo, s1
	s_and_saveexec_b32 s1, s0
	s_cbranch_execz .LBB11_155
.LBB11_154:
	v_lshrrev_b16 v7, 3, v216
	v_lshrrev_b16 v9, 7, v216
	s_delay_alu instid0(VALU_DEP_2) | instskip(NEXT) | instid1(VALU_DEP_1)
	v_and_b32_e32 v7, 15, v7
	v_cmp_eq_u16_e32 vcc_lo, 0, v7
	v_and_b32_e32 v5, 7, v216
	s_delay_alu instid0(VALU_DEP_1) | instskip(NEXT) | instid1(VALU_DEP_1)
	v_clz_i32_u32_e32 v6, v5
	v_min_u32_e32 v6, 32, v6
	s_delay_alu instid0(VALU_DEP_1) | instskip(SKIP_2) | instid1(VALU_DEP_1)
	v_subrev_nc_u32_e32 v8, 28, v6
	v_sub_nc_u32_e32 v6, 29, v6
	s_wait_alu 0xfffd
	v_cndmask_b32_e32 v6, v7, v6, vcc_lo
	s_delay_alu instid0(VALU_DEP_3) | instskip(SKIP_1) | instid1(VALU_DEP_3)
	v_lshlrev_b32_e32 v8, v8, v5
	v_lshlrev_b32_e32 v7, 31, v9
	v_lshl_add_u32 v6, v6, 23, 0x3b800000
	s_delay_alu instid0(VALU_DEP_3) | instskip(NEXT) | instid1(VALU_DEP_1)
	v_and_b32_e32 v8, 7, v8
	v_cndmask_b32_e32 v5, v5, v8, vcc_lo
	s_delay_alu instid0(VALU_DEP_1) | instskip(NEXT) | instid1(VALU_DEP_1)
	v_lshlrev_b32_e32 v5, 20, v5
	v_or3_b32 v214, v7, v6, v5
.LBB11_155:
	s_or_b32 exec_lo, exec_lo, s1
	s_mov_b32 s1, 0
	s_mov_b32 s0, exec_lo
	v_cmpx_lt_i16_e64 0x7f, v217
	s_xor_b32 s0, exec_lo, s0
	s_cbranch_execnz .LBB11_664
; %bb.156:
	s_or_saveexec_b32 s0, s0
	v_mov_b32_e32 v216, 0x7f800001
	s_xor_b32 exec_lo, exec_lo, s0
	s_cbranch_execnz .LBB11_667
.LBB11_157:
	s_or_b32 exec_lo, exec_lo, s0
	s_and_saveexec_b32 s0, s1
	s_cbranch_execz .LBB11_159
.LBB11_158:
	v_lshrrev_b16 v7, 3, v217
	v_lshrrev_b16 v9, 7, v217
	s_delay_alu instid0(VALU_DEP_2) | instskip(NEXT) | instid1(VALU_DEP_1)
	v_and_b32_e32 v7, 15, v7
	v_cmp_eq_u16_e32 vcc_lo, 0, v7
	v_and_b32_e32 v5, 7, v217
	s_delay_alu instid0(VALU_DEP_1) | instskip(NEXT) | instid1(VALU_DEP_1)
	v_clz_i32_u32_e32 v6, v5
	v_min_u32_e32 v6, 32, v6
	s_delay_alu instid0(VALU_DEP_1) | instskip(SKIP_2) | instid1(VALU_DEP_1)
	v_subrev_nc_u32_e32 v8, 28, v6
	v_sub_nc_u32_e32 v6, 29, v6
	s_wait_alu 0xfffd
	v_cndmask_b32_e32 v6, v7, v6, vcc_lo
	s_delay_alu instid0(VALU_DEP_3) | instskip(SKIP_1) | instid1(VALU_DEP_3)
	v_lshlrev_b32_e32 v8, v8, v5
	v_lshlrev_b32_e32 v7, 31, v9
	v_lshl_add_u32 v6, v6, 23, 0x3b800000
	s_delay_alu instid0(VALU_DEP_3) | instskip(NEXT) | instid1(VALU_DEP_1)
	v_and_b32_e32 v8, 7, v8
	v_cndmask_b32_e32 v5, v5, v8, vcc_lo
	s_delay_alu instid0(VALU_DEP_1) | instskip(NEXT) | instid1(VALU_DEP_1)
	v_lshlrev_b32_e32 v5, 20, v5
	v_or3_b32 v216, v7, v6, v5
.LBB11_159:
	s_or_b32 exec_lo, exec_lo, s0
	v_and_b32_e32 v254, 0xff, v150
	s_mov_b32 s0, 0
	s_mov_b32 s1, exec_lo
	s_delay_alu instid0(VALU_DEP_1)
	v_cmpx_lt_i16_e64 0x7f, v254
	s_xor_b32 s1, exec_lo, s1
	s_cbranch_execnz .LBB11_668
; %bb.160:
	s_or_saveexec_b32 s1, s1
	v_mov_b32_e32 v217, 0x7f800001
	s_xor_b32 exec_lo, exec_lo, s1
	s_cbranch_execnz .LBB11_671
.LBB11_161:
	s_or_b32 exec_lo, exec_lo, s1
	s_and_saveexec_b32 s1, s0
	s_cbranch_execz .LBB11_163
.LBB11_162:
	v_and_b32_e32 v5, 7, v150
	v_lshrrev_b16 v7, 3, v150
	v_lshrrev_b16 v9, 7, v150
	s_delay_alu instid0(VALU_DEP_3) | instskip(NEXT) | instid1(VALU_DEP_3)
	v_clz_i32_u32_e32 v6, v5
	v_and_b32_e32 v7, 15, v7
	s_delay_alu instid0(VALU_DEP_2) | instskip(NEXT) | instid1(VALU_DEP_2)
	v_min_u32_e32 v6, 32, v6
	v_cmp_eq_u16_e32 vcc_lo, 0, v7
	s_delay_alu instid0(VALU_DEP_2) | instskip(SKIP_1) | instid1(VALU_DEP_2)
	v_subrev_nc_u32_e32 v8, 28, v6
	v_sub_nc_u32_e32 v6, 29, v6
	v_lshlrev_b32_e32 v8, v8, v5
	s_wait_alu 0xfffd
	s_delay_alu instid0(VALU_DEP_2) | instskip(NEXT) | instid1(VALU_DEP_2)
	v_dual_cndmask_b32 v6, v7, v6 :: v_dual_lshlrev_b32 v7, 31, v9
	v_and_b32_e32 v8, 7, v8
	s_delay_alu instid0(VALU_DEP_2) | instskip(NEXT) | instid1(VALU_DEP_2)
	v_lshl_add_u32 v6, v6, 23, 0x3b800000
	v_cndmask_b32_e32 v5, v5, v8, vcc_lo
	s_delay_alu instid0(VALU_DEP_1) | instskip(NEXT) | instid1(VALU_DEP_1)
	v_lshlrev_b32_e32 v5, 20, v5
	v_or3_b32 v217, v7, v6, v5
.LBB11_163:
	s_or_b32 exec_lo, exec_lo, s1
	v_and_b32_e32 v254, 0xff, v220
	s_mov_b32 s0, 0
	s_mov_b32 s1, exec_lo
	s_delay_alu instid0(VALU_DEP_1)
	v_cmpx_lt_i16_e64 0x7f, v254
	s_xor_b32 s1, exec_lo, s1
	s_cbranch_execnz .LBB11_672
; %bb.164:
	s_or_saveexec_b32 s1, s1
	v_mov_b32_e32 v150, 0x7f800001
	s_xor_b32 exec_lo, exec_lo, s1
	s_cbranch_execnz .LBB11_675
.LBB11_165:
	s_or_b32 exec_lo, exec_lo, s1
	s_and_saveexec_b32 s1, s0
	s_cbranch_execz .LBB11_167
.LBB11_166:
	v_lshrrev_b16 v7, 3, v220
	v_lshrrev_b16 v9, 7, v220
	s_delay_alu instid0(VALU_DEP_2) | instskip(NEXT) | instid1(VALU_DEP_1)
	v_and_b32_e32 v7, 15, v7
	v_cmp_eq_u16_e32 vcc_lo, 0, v7
	v_and_b32_e32 v5, 7, v220
	s_delay_alu instid0(VALU_DEP_1) | instskip(NEXT) | instid1(VALU_DEP_1)
	v_clz_i32_u32_e32 v6, v5
	v_min_u32_e32 v6, 32, v6
	s_delay_alu instid0(VALU_DEP_1) | instskip(SKIP_2) | instid1(VALU_DEP_1)
	v_subrev_nc_u32_e32 v8, 28, v6
	v_sub_nc_u32_e32 v6, 29, v6
	s_wait_alu 0xfffd
	v_cndmask_b32_e32 v6, v7, v6, vcc_lo
	s_delay_alu instid0(VALU_DEP_3) | instskip(SKIP_1) | instid1(VALU_DEP_3)
	v_lshlrev_b32_e32 v8, v8, v5
	v_lshlrev_b32_e32 v7, 31, v9
	v_lshl_add_u32 v6, v6, 23, 0x3b800000
	s_delay_alu instid0(VALU_DEP_3) | instskip(NEXT) | instid1(VALU_DEP_1)
	v_and_b32_e32 v8, 7, v8
	v_cndmask_b32_e32 v5, v5, v8, vcc_lo
	s_delay_alu instid0(VALU_DEP_1) | instskip(NEXT) | instid1(VALU_DEP_1)
	v_lshlrev_b32_e32 v5, 20, v5
	v_or3_b32 v150, v7, v6, v5
.LBB11_167:
	s_or_b32 exec_lo, exec_lo, s1
	v_and_b32_e32 v254, 0xff, v222
	s_mov_b32 s0, 0
	s_mov_b32 s1, exec_lo
	s_delay_alu instid0(VALU_DEP_1)
	v_cmpx_lt_i16_e64 0x7f, v254
	s_xor_b32 s1, exec_lo, s1
	s_cbranch_execnz .LBB11_676
; %bb.168:
	s_or_saveexec_b32 s1, s1
	v_mov_b32_e32 v220, 0x7f800001
	s_xor_b32 exec_lo, exec_lo, s1
	s_cbranch_execnz .LBB11_679
.LBB11_169:
	s_or_b32 exec_lo, exec_lo, s1
	s_and_saveexec_b32 s1, s0
	s_cbranch_execz .LBB11_171
.LBB11_170:
	v_and_b32_e32 v5, 7, v222
	v_lshrrev_b16 v7, 3, v222
	v_lshrrev_b16 v9, 7, v222
	s_delay_alu instid0(VALU_DEP_3) | instskip(NEXT) | instid1(VALU_DEP_3)
	v_clz_i32_u32_e32 v6, v5
	v_and_b32_e32 v7, 15, v7
	s_delay_alu instid0(VALU_DEP_2) | instskip(NEXT) | instid1(VALU_DEP_2)
	v_min_u32_e32 v6, 32, v6
	v_cmp_eq_u16_e32 vcc_lo, 0, v7
	s_delay_alu instid0(VALU_DEP_2) | instskip(SKIP_1) | instid1(VALU_DEP_2)
	v_subrev_nc_u32_e32 v8, 28, v6
	v_sub_nc_u32_e32 v6, 29, v6
	v_lshlrev_b32_e32 v8, v8, v5
	s_wait_alu 0xfffd
	s_delay_alu instid0(VALU_DEP_2) | instskip(NEXT) | instid1(VALU_DEP_2)
	v_dual_cndmask_b32 v6, v7, v6 :: v_dual_lshlrev_b32 v7, 31, v9
	v_and_b32_e32 v8, 7, v8
	s_delay_alu instid0(VALU_DEP_2) | instskip(NEXT) | instid1(VALU_DEP_2)
	v_lshl_add_u32 v6, v6, 23, 0x3b800000
	v_cndmask_b32_e32 v5, v5, v8, vcc_lo
	s_delay_alu instid0(VALU_DEP_1) | instskip(NEXT) | instid1(VALU_DEP_1)
	v_lshlrev_b32_e32 v5, 20, v5
	v_or3_b32 v220, v7, v6, v5
.LBB11_171:
	s_or_b32 exec_lo, exec_lo, s1
	s_mov_b32 s1, 0
	s_mov_b32 s0, exec_lo
	v_cmpx_lt_i16_e64 0x7f, v223
	s_xor_b32 s0, exec_lo, s0
	s_cbranch_execnz .LBB11_680
; %bb.172:
	s_or_saveexec_b32 s0, s0
	v_mov_b32_e32 v222, 0x7f800001
	s_xor_b32 exec_lo, exec_lo, s0
	s_cbranch_execnz .LBB11_683
.LBB11_173:
	s_or_b32 exec_lo, exec_lo, s0
	s_and_saveexec_b32 s0, s1
	s_cbranch_execz .LBB11_175
.LBB11_174:
	v_lshrrev_b16 v7, 3, v223
	v_lshrrev_b16 v9, 7, v223
	s_delay_alu instid0(VALU_DEP_2) | instskip(NEXT) | instid1(VALU_DEP_1)
	v_and_b32_e32 v7, 15, v7
	v_cmp_eq_u16_e32 vcc_lo, 0, v7
	v_and_b32_e32 v5, 7, v223
	s_delay_alu instid0(VALU_DEP_1) | instskip(NEXT) | instid1(VALU_DEP_1)
	v_clz_i32_u32_e32 v6, v5
	v_min_u32_e32 v6, 32, v6
	s_delay_alu instid0(VALU_DEP_1) | instskip(SKIP_2) | instid1(VALU_DEP_1)
	v_subrev_nc_u32_e32 v8, 28, v6
	v_sub_nc_u32_e32 v6, 29, v6
	s_wait_alu 0xfffd
	v_cndmask_b32_e32 v6, v7, v6, vcc_lo
	s_delay_alu instid0(VALU_DEP_3) | instskip(SKIP_1) | instid1(VALU_DEP_3)
	v_lshlrev_b32_e32 v8, v8, v5
	v_lshlrev_b32_e32 v7, 31, v9
	v_lshl_add_u32 v6, v6, 23, 0x3b800000
	s_delay_alu instid0(VALU_DEP_3) | instskip(NEXT) | instid1(VALU_DEP_1)
	v_and_b32_e32 v8, 7, v8
	v_cndmask_b32_e32 v5, v5, v8, vcc_lo
	s_delay_alu instid0(VALU_DEP_1) | instskip(NEXT) | instid1(VALU_DEP_1)
	v_lshlrev_b32_e32 v5, 20, v5
	v_or3_b32 v222, v7, v6, v5
.LBB11_175:
	s_or_b32 exec_lo, exec_lo, s0
	v_and_b32_e32 v254, 0xff, v151
	s_mov_b32 s0, 0
	s_mov_b32 s1, exec_lo
	s_delay_alu instid0(VALU_DEP_1)
	v_cmpx_lt_i16_e64 0x7f, v254
	s_xor_b32 s1, exec_lo, s1
	s_cbranch_execnz .LBB11_684
; %bb.176:
	s_or_saveexec_b32 s1, s1
	v_mov_b32_e32 v223, 0x7f800001
	s_xor_b32 exec_lo, exec_lo, s1
	s_cbranch_execnz .LBB11_687
.LBB11_177:
	s_or_b32 exec_lo, exec_lo, s1
	s_and_saveexec_b32 s1, s0
	s_cbranch_execz .LBB11_179
.LBB11_178:
	v_lshrrev_b16 v7, 3, v151
	v_lshrrev_b16 v9, 7, v151
	s_delay_alu instid0(VALU_DEP_2) | instskip(NEXT) | instid1(VALU_DEP_1)
	v_and_b32_e32 v7, 15, v7
	v_cmp_eq_u16_e32 vcc_lo, 0, v7
	v_and_b32_e32 v5, 7, v151
	s_delay_alu instid0(VALU_DEP_1) | instskip(NEXT) | instid1(VALU_DEP_1)
	v_clz_i32_u32_e32 v6, v5
	v_min_u32_e32 v6, 32, v6
	s_delay_alu instid0(VALU_DEP_1) | instskip(SKIP_2) | instid1(VALU_DEP_1)
	v_subrev_nc_u32_e32 v8, 28, v6
	v_sub_nc_u32_e32 v6, 29, v6
	s_wait_alu 0xfffd
	v_cndmask_b32_e32 v6, v7, v6, vcc_lo
	s_delay_alu instid0(VALU_DEP_3) | instskip(SKIP_1) | instid1(VALU_DEP_3)
	v_lshlrev_b32_e32 v8, v8, v5
	v_lshlrev_b32_e32 v7, 31, v9
	v_lshl_add_u32 v6, v6, 23, 0x3b800000
	s_delay_alu instid0(VALU_DEP_3) | instskip(NEXT) | instid1(VALU_DEP_1)
	v_and_b32_e32 v8, 7, v8
	v_cndmask_b32_e32 v5, v5, v8, vcc_lo
	s_delay_alu instid0(VALU_DEP_1) | instskip(NEXT) | instid1(VALU_DEP_1)
	v_lshlrev_b32_e32 v5, 20, v5
	v_or3_b32 v223, v7, v6, v5
.LBB11_179:
	s_or_b32 exec_lo, exec_lo, s1
	v_and_b32_e32 v254, 0xff, v226
	s_mov_b32 s0, 0
	s_mov_b32 s1, exec_lo
	s_delay_alu instid0(VALU_DEP_1)
	v_cmpx_lt_i16_e64 0x7f, v254
	s_xor_b32 s1, exec_lo, s1
	s_cbranch_execnz .LBB11_688
; %bb.180:
	s_or_saveexec_b32 s1, s1
	v_mov_b32_e32 v151, 0x7f800001
	s_xor_b32 exec_lo, exec_lo, s1
	s_cbranch_execnz .LBB11_691
.LBB11_181:
	s_or_b32 exec_lo, exec_lo, s1
	s_and_saveexec_b32 s1, s0
	s_cbranch_execz .LBB11_183
.LBB11_182:
	v_and_b32_e32 v5, 7, v226
	v_lshrrev_b16 v7, 3, v226
	v_lshrrev_b16 v9, 7, v226
	s_delay_alu instid0(VALU_DEP_3) | instskip(NEXT) | instid1(VALU_DEP_3)
	v_clz_i32_u32_e32 v6, v5
	v_and_b32_e32 v7, 15, v7
	s_delay_alu instid0(VALU_DEP_2) | instskip(NEXT) | instid1(VALU_DEP_2)
	v_min_u32_e32 v6, 32, v6
	v_cmp_eq_u16_e32 vcc_lo, 0, v7
	s_delay_alu instid0(VALU_DEP_2) | instskip(SKIP_1) | instid1(VALU_DEP_2)
	v_subrev_nc_u32_e32 v8, 28, v6
	v_sub_nc_u32_e32 v6, 29, v6
	v_lshlrev_b32_e32 v8, v8, v5
	s_wait_alu 0xfffd
	s_delay_alu instid0(VALU_DEP_2) | instskip(NEXT) | instid1(VALU_DEP_2)
	v_dual_cndmask_b32 v6, v7, v6 :: v_dual_lshlrev_b32 v7, 31, v9
	v_and_b32_e32 v8, 7, v8
	s_delay_alu instid0(VALU_DEP_2) | instskip(NEXT) | instid1(VALU_DEP_2)
	v_lshl_add_u32 v6, v6, 23, 0x3b800000
	v_cndmask_b32_e32 v5, v5, v8, vcc_lo
	s_delay_alu instid0(VALU_DEP_1) | instskip(NEXT) | instid1(VALU_DEP_1)
	v_lshlrev_b32_e32 v5, 20, v5
	v_or3_b32 v151, v7, v6, v5
.LBB11_183:
	s_or_b32 exec_lo, exec_lo, s1
	v_and_b32_e32 v254, 0xff, v228
	s_mov_b32 s0, 0
	s_mov_b32 s1, exec_lo
	s_delay_alu instid0(VALU_DEP_1)
	v_cmpx_lt_i16_e64 0x7f, v254
	s_xor_b32 s1, exec_lo, s1
	s_cbranch_execnz .LBB11_692
; %bb.184:
	s_or_saveexec_b32 s1, s1
	v_mov_b32_e32 v226, 0x7f800001
	s_xor_b32 exec_lo, exec_lo, s1
	s_cbranch_execnz .LBB11_695
.LBB11_185:
	s_or_b32 exec_lo, exec_lo, s1
	s_and_saveexec_b32 s1, s0
	s_cbranch_execz .LBB11_187
.LBB11_186:
	v_lshrrev_b16 v7, 3, v228
	v_lshrrev_b16 v9, 7, v228
	s_delay_alu instid0(VALU_DEP_2) | instskip(NEXT) | instid1(VALU_DEP_1)
	v_and_b32_e32 v7, 15, v7
	v_cmp_eq_u16_e32 vcc_lo, 0, v7
	v_and_b32_e32 v5, 7, v228
	s_delay_alu instid0(VALU_DEP_1) | instskip(NEXT) | instid1(VALU_DEP_1)
	v_clz_i32_u32_e32 v6, v5
	v_min_u32_e32 v6, 32, v6
	s_delay_alu instid0(VALU_DEP_1) | instskip(SKIP_2) | instid1(VALU_DEP_1)
	v_subrev_nc_u32_e32 v8, 28, v6
	v_sub_nc_u32_e32 v6, 29, v6
	s_wait_alu 0xfffd
	v_cndmask_b32_e32 v6, v7, v6, vcc_lo
	s_delay_alu instid0(VALU_DEP_3) | instskip(SKIP_1) | instid1(VALU_DEP_3)
	v_lshlrev_b32_e32 v8, v8, v5
	v_lshlrev_b32_e32 v7, 31, v9
	v_lshl_add_u32 v6, v6, 23, 0x3b800000
	s_delay_alu instid0(VALU_DEP_3) | instskip(NEXT) | instid1(VALU_DEP_1)
	v_and_b32_e32 v8, 7, v8
	v_cndmask_b32_e32 v5, v5, v8, vcc_lo
	s_delay_alu instid0(VALU_DEP_1) | instskip(NEXT) | instid1(VALU_DEP_1)
	v_lshlrev_b32_e32 v5, 20, v5
	v_or3_b32 v226, v7, v6, v5
.LBB11_187:
	s_or_b32 exec_lo, exec_lo, s1
	s_mov_b32 s1, 0
	s_mov_b32 s0, exec_lo
	v_cmpx_lt_i16_e64 0x7f, v229
	s_xor_b32 s0, exec_lo, s0
	s_cbranch_execnz .LBB11_696
; %bb.188:
	s_or_saveexec_b32 s0, s0
	v_mov_b32_e32 v228, 0x7f800001
	s_xor_b32 exec_lo, exec_lo, s0
	s_cbranch_execnz .LBB11_699
.LBB11_189:
	s_or_b32 exec_lo, exec_lo, s0
	s_and_saveexec_b32 s0, s1
	s_cbranch_execz .LBB11_191
.LBB11_190:
	v_lshrrev_b16 v7, 3, v229
	v_lshrrev_b16 v9, 7, v229
	s_delay_alu instid0(VALU_DEP_2) | instskip(NEXT) | instid1(VALU_DEP_1)
	v_and_b32_e32 v7, 15, v7
	v_cmp_eq_u16_e32 vcc_lo, 0, v7
	v_and_b32_e32 v5, 7, v229
	s_delay_alu instid0(VALU_DEP_1) | instskip(NEXT) | instid1(VALU_DEP_1)
	v_clz_i32_u32_e32 v6, v5
	v_min_u32_e32 v6, 32, v6
	s_delay_alu instid0(VALU_DEP_1) | instskip(SKIP_2) | instid1(VALU_DEP_1)
	v_subrev_nc_u32_e32 v8, 28, v6
	v_sub_nc_u32_e32 v6, 29, v6
	s_wait_alu 0xfffd
	v_cndmask_b32_e32 v6, v7, v6, vcc_lo
	s_delay_alu instid0(VALU_DEP_3) | instskip(SKIP_1) | instid1(VALU_DEP_3)
	v_lshlrev_b32_e32 v8, v8, v5
	v_lshlrev_b32_e32 v7, 31, v9
	v_lshl_add_u32 v6, v6, 23, 0x3b800000
	s_delay_alu instid0(VALU_DEP_3) | instskip(NEXT) | instid1(VALU_DEP_1)
	v_and_b32_e32 v8, 7, v8
	v_cndmask_b32_e32 v5, v5, v8, vcc_lo
	s_delay_alu instid0(VALU_DEP_1) | instskip(NEXT) | instid1(VALU_DEP_1)
	v_lshlrev_b32_e32 v5, 20, v5
	v_or3_b32 v228, v7, v6, v5
.LBB11_191:
	s_or_b32 exec_lo, exec_lo, s0
	v_and_b32_e32 v254, 0xff, v152
	s_mov_b32 s0, 0
	s_mov_b32 s1, exec_lo
	s_delay_alu instid0(VALU_DEP_1)
	v_cmpx_lt_i16_e64 0x7f, v254
	s_xor_b32 s1, exec_lo, s1
	s_cbranch_execnz .LBB11_700
; %bb.192:
	s_or_saveexec_b32 s1, s1
	v_mov_b32_e32 v229, 0x7f800001
	s_xor_b32 exec_lo, exec_lo, s1
	s_cbranch_execnz .LBB11_703
.LBB11_193:
	s_or_b32 exec_lo, exec_lo, s1
	s_and_saveexec_b32 s1, s0
	s_cbranch_execz .LBB11_195
.LBB11_194:
	v_lshrrev_b16 v7, 3, v152
	v_lshrrev_b16 v9, 7, v152
	s_delay_alu instid0(VALU_DEP_2) | instskip(NEXT) | instid1(VALU_DEP_1)
	v_and_b32_e32 v7, 15, v7
	v_cmp_eq_u16_e32 vcc_lo, 0, v7
	v_and_b32_e32 v5, 7, v152
	s_delay_alu instid0(VALU_DEP_1) | instskip(NEXT) | instid1(VALU_DEP_1)
	v_clz_i32_u32_e32 v6, v5
	v_min_u32_e32 v6, 32, v6
	s_delay_alu instid0(VALU_DEP_1) | instskip(SKIP_2) | instid1(VALU_DEP_1)
	v_subrev_nc_u32_e32 v8, 28, v6
	v_sub_nc_u32_e32 v6, 29, v6
	s_wait_alu 0xfffd
	v_cndmask_b32_e32 v6, v7, v6, vcc_lo
	s_delay_alu instid0(VALU_DEP_3) | instskip(SKIP_1) | instid1(VALU_DEP_3)
	v_lshlrev_b32_e32 v8, v8, v5
	v_lshlrev_b32_e32 v7, 31, v9
	v_lshl_add_u32 v6, v6, 23, 0x3b800000
	s_delay_alu instid0(VALU_DEP_3) | instskip(NEXT) | instid1(VALU_DEP_1)
	v_and_b32_e32 v8, 7, v8
	v_cndmask_b32_e32 v5, v5, v8, vcc_lo
	s_delay_alu instid0(VALU_DEP_1) | instskip(NEXT) | instid1(VALU_DEP_1)
	v_lshlrev_b32_e32 v5, 20, v5
	v_or3_b32 v229, v7, v6, v5
.LBB11_195:
	s_or_b32 exec_lo, exec_lo, s1
	v_and_b32_e32 v254, 0xff, v232
	s_mov_b32 s0, 0
	s_mov_b32 s1, exec_lo
	s_delay_alu instid0(VALU_DEP_1)
	v_cmpx_lt_i16_e64 0x7f, v254
	s_xor_b32 s1, exec_lo, s1
	s_cbranch_execnz .LBB11_704
; %bb.196:
	s_or_saveexec_b32 s1, s1
	v_mov_b32_e32 v152, 0x7f800001
	s_xor_b32 exec_lo, exec_lo, s1
	s_cbranch_execnz .LBB11_707
.LBB11_197:
	s_or_b32 exec_lo, exec_lo, s1
	s_and_saveexec_b32 s1, s0
	s_cbranch_execz .LBB11_199
.LBB11_198:
	v_lshrrev_b16 v7, 3, v232
	v_lshrrev_b16 v9, 7, v232
	s_delay_alu instid0(VALU_DEP_2) | instskip(NEXT) | instid1(VALU_DEP_1)
	v_and_b32_e32 v7, 15, v7
	v_cmp_eq_u16_e32 vcc_lo, 0, v7
	v_and_b32_e32 v5, 7, v232
	s_delay_alu instid0(VALU_DEP_1) | instskip(NEXT) | instid1(VALU_DEP_1)
	v_clz_i32_u32_e32 v6, v5
	v_min_u32_e32 v6, 32, v6
	s_delay_alu instid0(VALU_DEP_1) | instskip(SKIP_2) | instid1(VALU_DEP_1)
	v_subrev_nc_u32_e32 v8, 28, v6
	v_sub_nc_u32_e32 v6, 29, v6
	s_wait_alu 0xfffd
	v_cndmask_b32_e32 v6, v7, v6, vcc_lo
	s_delay_alu instid0(VALU_DEP_3) | instskip(SKIP_1) | instid1(VALU_DEP_3)
	v_lshlrev_b32_e32 v8, v8, v5
	v_lshlrev_b32_e32 v7, 31, v9
	v_lshl_add_u32 v6, v6, 23, 0x3b800000
	s_delay_alu instid0(VALU_DEP_3) | instskip(NEXT) | instid1(VALU_DEP_1)
	v_and_b32_e32 v8, 7, v8
	v_cndmask_b32_e32 v5, v5, v8, vcc_lo
	s_delay_alu instid0(VALU_DEP_1) | instskip(NEXT) | instid1(VALU_DEP_1)
	v_lshlrev_b32_e32 v5, 20, v5
	v_or3_b32 v152, v7, v6, v5
.LBB11_199:
	s_or_b32 exec_lo, exec_lo, s1
	v_and_b32_e32 v254, 0xff, v234
	s_mov_b32 s0, 0
	s_mov_b32 s1, exec_lo
	s_delay_alu instid0(VALU_DEP_1)
	v_cmpx_lt_i16_e64 0x7f, v254
	s_xor_b32 s1, exec_lo, s1
	s_cbranch_execnz .LBB11_708
; %bb.200:
	s_or_saveexec_b32 s1, s1
	v_mov_b32_e32 v232, 0x7f800001
	s_xor_b32 exec_lo, exec_lo, s1
	s_cbranch_execnz .LBB11_711
.LBB11_201:
	s_or_b32 exec_lo, exec_lo, s1
	s_and_saveexec_b32 s1, s0
	s_cbranch_execz .LBB11_203
.LBB11_202:
	v_and_b32_e32 v5, 7, v234
	v_lshrrev_b16 v7, 3, v234
	v_lshrrev_b16 v9, 7, v234
	s_delay_alu instid0(VALU_DEP_3) | instskip(NEXT) | instid1(VALU_DEP_3)
	v_clz_i32_u32_e32 v6, v5
	v_and_b32_e32 v7, 15, v7
	s_delay_alu instid0(VALU_DEP_2) | instskip(NEXT) | instid1(VALU_DEP_2)
	v_min_u32_e32 v6, 32, v6
	v_cmp_eq_u16_e32 vcc_lo, 0, v7
	s_delay_alu instid0(VALU_DEP_2) | instskip(SKIP_1) | instid1(VALU_DEP_2)
	v_subrev_nc_u32_e32 v8, 28, v6
	v_sub_nc_u32_e32 v6, 29, v6
	v_lshlrev_b32_e32 v8, v8, v5
	s_wait_alu 0xfffd
	s_delay_alu instid0(VALU_DEP_2) | instskip(NEXT) | instid1(VALU_DEP_2)
	v_dual_cndmask_b32 v6, v7, v6 :: v_dual_lshlrev_b32 v7, 31, v9
	v_and_b32_e32 v8, 7, v8
	s_delay_alu instid0(VALU_DEP_2) | instskip(NEXT) | instid1(VALU_DEP_2)
	v_lshl_add_u32 v6, v6, 23, 0x3b800000
	v_cndmask_b32_e32 v5, v5, v8, vcc_lo
	s_delay_alu instid0(VALU_DEP_1) | instskip(NEXT) | instid1(VALU_DEP_1)
	v_lshlrev_b32_e32 v5, 20, v5
	v_or3_b32 v232, v7, v6, v5
.LBB11_203:
	s_or_b32 exec_lo, exec_lo, s1
	s_mov_b32 s1, 0
	s_mov_b32 s0, exec_lo
	v_cmpx_lt_i16_e64 0x7f, v236
	s_xor_b32 s0, exec_lo, s0
	s_cbranch_execnz .LBB11_712
; %bb.204:
	s_or_saveexec_b32 s0, s0
	v_mov_b32_e32 v234, 0x7f800001
	s_xor_b32 exec_lo, exec_lo, s0
	s_cbranch_execnz .LBB11_715
.LBB11_205:
	s_or_b32 exec_lo, exec_lo, s0
	s_and_saveexec_b32 s0, s1
	s_cbranch_execz .LBB11_207
.LBB11_206:
	v_lshrrev_b16 v7, 3, v236
	v_lshrrev_b16 v9, 7, v236
	s_delay_alu instid0(VALU_DEP_2) | instskip(NEXT) | instid1(VALU_DEP_1)
	v_and_b32_e32 v7, 15, v7
	v_cmp_eq_u16_e32 vcc_lo, 0, v7
	v_and_b32_e32 v5, 7, v236
	s_delay_alu instid0(VALU_DEP_1) | instskip(NEXT) | instid1(VALU_DEP_1)
	v_clz_i32_u32_e32 v6, v5
	v_min_u32_e32 v6, 32, v6
	s_delay_alu instid0(VALU_DEP_1) | instskip(SKIP_2) | instid1(VALU_DEP_1)
	v_subrev_nc_u32_e32 v8, 28, v6
	v_sub_nc_u32_e32 v6, 29, v6
	s_wait_alu 0xfffd
	v_cndmask_b32_e32 v6, v7, v6, vcc_lo
	s_delay_alu instid0(VALU_DEP_3) | instskip(SKIP_1) | instid1(VALU_DEP_3)
	v_lshlrev_b32_e32 v8, v8, v5
	v_lshlrev_b32_e32 v7, 31, v9
	v_lshl_add_u32 v6, v6, 23, 0x3b800000
	s_delay_alu instid0(VALU_DEP_3) | instskip(NEXT) | instid1(VALU_DEP_1)
	v_and_b32_e32 v8, 7, v8
	v_cndmask_b32_e32 v5, v5, v8, vcc_lo
	s_delay_alu instid0(VALU_DEP_1) | instskip(NEXT) | instid1(VALU_DEP_1)
	v_lshlrev_b32_e32 v5, 20, v5
	v_or3_b32 v234, v7, v6, v5
.LBB11_207:
	s_or_b32 exec_lo, exec_lo, s0
	v_and_b32_e32 v254, 0xff, v145
	s_mov_b32 s0, 0
	s_mov_b32 s1, exec_lo
	s_delay_alu instid0(VALU_DEP_1)
	v_cmpx_lt_i16_e64 0x7f, v254
	s_xor_b32 s1, exec_lo, s1
	s_cbranch_execnz .LBB11_716
; %bb.208:
	s_or_saveexec_b32 s1, s1
	v_mov_b32_e32 v236, 0x7f800001
	s_xor_b32 exec_lo, exec_lo, s1
	s_cbranch_execnz .LBB11_719
.LBB11_209:
	s_or_b32 exec_lo, exec_lo, s1
	s_and_saveexec_b32 s1, s0
	s_cbranch_execz .LBB11_211
.LBB11_210:
	v_lshrrev_b16 v7, 3, v145
	v_lshrrev_b16 v9, 7, v145
	s_delay_alu instid0(VALU_DEP_2) | instskip(NEXT) | instid1(VALU_DEP_1)
	v_and_b32_e32 v7, 15, v7
	v_cmp_eq_u16_e32 vcc_lo, 0, v7
	v_and_b32_e32 v5, 7, v145
	s_delay_alu instid0(VALU_DEP_1) | instskip(NEXT) | instid1(VALU_DEP_1)
	v_clz_i32_u32_e32 v6, v5
	v_min_u32_e32 v6, 32, v6
	s_delay_alu instid0(VALU_DEP_1) | instskip(SKIP_2) | instid1(VALU_DEP_1)
	v_subrev_nc_u32_e32 v8, 28, v6
	v_sub_nc_u32_e32 v6, 29, v6
	s_wait_alu 0xfffd
	v_cndmask_b32_e32 v6, v7, v6, vcc_lo
	s_delay_alu instid0(VALU_DEP_3) | instskip(SKIP_1) | instid1(VALU_DEP_3)
	v_lshlrev_b32_e32 v8, v8, v5
	v_lshlrev_b32_e32 v7, 31, v9
	v_lshl_add_u32 v6, v6, 23, 0x3b800000
	s_delay_alu instid0(VALU_DEP_3) | instskip(NEXT) | instid1(VALU_DEP_1)
	v_and_b32_e32 v8, 7, v8
	v_cndmask_b32_e32 v5, v5, v8, vcc_lo
	s_delay_alu instid0(VALU_DEP_1) | instskip(NEXT) | instid1(VALU_DEP_1)
	v_lshlrev_b32_e32 v5, 20, v5
	v_or3_b32 v236, v7, v6, v5
.LBB11_211:
	s_or_b32 exec_lo, exec_lo, s1
	v_and_b32_e32 v254, 0xff, v239
	s_mov_b32 s0, 0
	s_mov_b32 s1, exec_lo
	s_delay_alu instid0(VALU_DEP_1)
	v_cmpx_lt_i16_e64 0x7f, v254
	s_xor_b32 s1, exec_lo, s1
	s_cbranch_execnz .LBB11_720
; %bb.212:
	s_or_saveexec_b32 s1, s1
	v_mov_b32_e32 v145, 0x7f800001
	s_xor_b32 exec_lo, exec_lo, s1
	s_cbranch_execnz .LBB11_723
.LBB11_213:
	s_or_b32 exec_lo, exec_lo, s1
	s_and_saveexec_b32 s1, s0
	s_cbranch_execz .LBB11_215
.LBB11_214:
	v_lshrrev_b16 v7, 3, v239
	v_lshrrev_b16 v9, 7, v239
	s_delay_alu instid0(VALU_DEP_2) | instskip(NEXT) | instid1(VALU_DEP_1)
	v_and_b32_e32 v7, 15, v7
	v_cmp_eq_u16_e32 vcc_lo, 0, v7
	v_and_b32_e32 v5, 7, v239
	s_delay_alu instid0(VALU_DEP_1) | instskip(NEXT) | instid1(VALU_DEP_1)
	v_clz_i32_u32_e32 v6, v5
	v_min_u32_e32 v6, 32, v6
	s_delay_alu instid0(VALU_DEP_1) | instskip(SKIP_2) | instid1(VALU_DEP_1)
	v_subrev_nc_u32_e32 v8, 28, v6
	v_sub_nc_u32_e32 v6, 29, v6
	s_wait_alu 0xfffd
	v_cndmask_b32_e32 v6, v7, v6, vcc_lo
	s_delay_alu instid0(VALU_DEP_3) | instskip(SKIP_1) | instid1(VALU_DEP_3)
	v_lshlrev_b32_e32 v8, v8, v5
	v_lshlrev_b32_e32 v7, 31, v9
	v_lshl_add_u32 v6, v6, 23, 0x3b800000
	s_delay_alu instid0(VALU_DEP_3) | instskip(NEXT) | instid1(VALU_DEP_1)
	v_and_b32_e32 v8, 7, v8
	v_cndmask_b32_e32 v5, v5, v8, vcc_lo
	s_delay_alu instid0(VALU_DEP_1) | instskip(NEXT) | instid1(VALU_DEP_1)
	v_lshlrev_b32_e32 v5, 20, v5
	v_or3_b32 v145, v7, v6, v5
.LBB11_215:
	s_or_b32 exec_lo, exec_lo, s1
	v_and_b32_e32 v254, 0xff, v240
	s_mov_b32 s0, 0
	s_mov_b32 s1, exec_lo
	s_delay_alu instid0(VALU_DEP_1)
	v_cmpx_lt_i16_e64 0x7f, v254
	s_xor_b32 s1, exec_lo, s1
	s_cbranch_execnz .LBB11_724
; %bb.216:
	s_or_saveexec_b32 s1, s1
	v_mov_b32_e32 v239, 0x7f800001
	s_xor_b32 exec_lo, exec_lo, s1
	s_cbranch_execnz .LBB11_727
.LBB11_217:
	s_or_b32 exec_lo, exec_lo, s1
	s_and_saveexec_b32 s1, s0
	s_cbranch_execz .LBB11_219
.LBB11_218:
	v_lshrrev_b16 v7, 3, v240
	v_lshrrev_b16 v9, 7, v240
	s_delay_alu instid0(VALU_DEP_2) | instskip(NEXT) | instid1(VALU_DEP_1)
	v_and_b32_e32 v7, 15, v7
	v_cmp_eq_u16_e32 vcc_lo, 0, v7
	v_and_b32_e32 v5, 7, v240
	s_delay_alu instid0(VALU_DEP_1) | instskip(NEXT) | instid1(VALU_DEP_1)
	v_clz_i32_u32_e32 v6, v5
	v_min_u32_e32 v6, 32, v6
	s_delay_alu instid0(VALU_DEP_1) | instskip(SKIP_2) | instid1(VALU_DEP_1)
	v_subrev_nc_u32_e32 v8, 28, v6
	v_sub_nc_u32_e32 v6, 29, v6
	s_wait_alu 0xfffd
	v_cndmask_b32_e32 v6, v7, v6, vcc_lo
	s_delay_alu instid0(VALU_DEP_3) | instskip(SKIP_1) | instid1(VALU_DEP_3)
	v_lshlrev_b32_e32 v8, v8, v5
	v_lshlrev_b32_e32 v7, 31, v9
	v_lshl_add_u32 v6, v6, 23, 0x3b800000
	s_delay_alu instid0(VALU_DEP_3) | instskip(NEXT) | instid1(VALU_DEP_1)
	v_and_b32_e32 v8, 7, v8
	v_cndmask_b32_e32 v5, v5, v8, vcc_lo
	s_delay_alu instid0(VALU_DEP_1) | instskip(NEXT) | instid1(VALU_DEP_1)
	v_lshlrev_b32_e32 v5, 20, v5
	v_or3_b32 v239, v7, v6, v5
.LBB11_219:
	s_or_b32 exec_lo, exec_lo, s1
	s_mov_b32 s1, 0
	s_mov_b32 s0, exec_lo
	v_cmpx_lt_i16_e64 0x7f, v242
	s_xor_b32 s0, exec_lo, s0
	s_cbranch_execnz .LBB11_728
; %bb.220:
	s_or_saveexec_b32 s0, s0
	v_mov_b32_e32 v240, 0x7f800001
	s_xor_b32 exec_lo, exec_lo, s0
	s_cbranch_execnz .LBB11_731
.LBB11_221:
	s_or_b32 exec_lo, exec_lo, s0
	s_and_saveexec_b32 s0, s1
	s_cbranch_execz .LBB11_223
.LBB11_222:
	v_and_b32_e32 v5, 7, v242
	v_lshrrev_b16 v7, 3, v242
	v_lshrrev_b16 v9, 7, v242
	s_delay_alu instid0(VALU_DEP_3) | instskip(NEXT) | instid1(VALU_DEP_3)
	v_clz_i32_u32_e32 v6, v5
	v_and_b32_e32 v7, 15, v7
	s_delay_alu instid0(VALU_DEP_2) | instskip(NEXT) | instid1(VALU_DEP_2)
	v_min_u32_e32 v6, 32, v6
	v_cmp_eq_u16_e32 vcc_lo, 0, v7
	s_delay_alu instid0(VALU_DEP_2) | instskip(SKIP_1) | instid1(VALU_DEP_2)
	v_subrev_nc_u32_e32 v8, 28, v6
	v_sub_nc_u32_e32 v6, 29, v6
	v_lshlrev_b32_e32 v8, v8, v5
	s_wait_alu 0xfffd
	s_delay_alu instid0(VALU_DEP_2) | instskip(NEXT) | instid1(VALU_DEP_2)
	v_dual_cndmask_b32 v6, v7, v6 :: v_dual_lshlrev_b32 v7, 31, v9
	v_and_b32_e32 v8, 7, v8
	s_delay_alu instid0(VALU_DEP_2) | instskip(NEXT) | instid1(VALU_DEP_2)
	v_lshl_add_u32 v6, v6, 23, 0x3b800000
	v_cndmask_b32_e32 v5, v5, v8, vcc_lo
	s_delay_alu instid0(VALU_DEP_1) | instskip(NEXT) | instid1(VALU_DEP_1)
	v_lshlrev_b32_e32 v5, 20, v5
	v_or3_b32 v240, v7, v6, v5
.LBB11_223:
	s_or_b32 exec_lo, exec_lo, s0
	v_and_b32_e32 v254, 0xff, v146
	s_mov_b32 s0, 0
	s_mov_b32 s1, exec_lo
	s_delay_alu instid0(VALU_DEP_1)
	v_cmpx_lt_i16_e64 0x7f, v254
	s_xor_b32 s1, exec_lo, s1
	s_cbranch_execnz .LBB11_732
; %bb.224:
	s_or_saveexec_b32 s1, s1
	v_mov_b32_e32 v242, 0x7f800001
	s_xor_b32 exec_lo, exec_lo, s1
	s_cbranch_execnz .LBB11_735
.LBB11_225:
	s_or_b32 exec_lo, exec_lo, s1
	s_and_saveexec_b32 s1, s0
	s_cbranch_execz .LBB11_227
.LBB11_226:
	v_and_b32_e32 v5, 7, v146
	v_lshrrev_b16 v7, 3, v146
	v_lshrrev_b16 v9, 7, v146
	s_delay_alu instid0(VALU_DEP_3) | instskip(NEXT) | instid1(VALU_DEP_3)
	v_clz_i32_u32_e32 v6, v5
	v_and_b32_e32 v7, 15, v7
	s_delay_alu instid0(VALU_DEP_2) | instskip(NEXT) | instid1(VALU_DEP_2)
	v_min_u32_e32 v6, 32, v6
	v_cmp_eq_u16_e32 vcc_lo, 0, v7
	s_delay_alu instid0(VALU_DEP_2) | instskip(SKIP_1) | instid1(VALU_DEP_2)
	v_subrev_nc_u32_e32 v8, 28, v6
	v_sub_nc_u32_e32 v6, 29, v6
	v_lshlrev_b32_e32 v8, v8, v5
	s_wait_alu 0xfffd
	s_delay_alu instid0(VALU_DEP_2) | instskip(NEXT) | instid1(VALU_DEP_2)
	v_dual_cndmask_b32 v6, v7, v6 :: v_dual_lshlrev_b32 v7, 31, v9
	v_and_b32_e32 v8, 7, v8
	s_delay_alu instid0(VALU_DEP_2) | instskip(NEXT) | instid1(VALU_DEP_2)
	v_lshl_add_u32 v6, v6, 23, 0x3b800000
	v_cndmask_b32_e32 v5, v5, v8, vcc_lo
	s_delay_alu instid0(VALU_DEP_1) | instskip(NEXT) | instid1(VALU_DEP_1)
	v_lshlrev_b32_e32 v5, 20, v5
	v_or3_b32 v242, v7, v6, v5
.LBB11_227:
	s_or_b32 exec_lo, exec_lo, s1
	v_and_b32_e32 v254, 0xff, v245
	s_mov_b32 s0, 0
	s_mov_b32 s1, exec_lo
	s_delay_alu instid0(VALU_DEP_1)
	v_cmpx_lt_i16_e64 0x7f, v254
	s_xor_b32 s1, exec_lo, s1
	s_cbranch_execnz .LBB11_736
; %bb.228:
	s_or_saveexec_b32 s1, s1
	v_mov_b32_e32 v146, 0x7f800001
	s_xor_b32 exec_lo, exec_lo, s1
	s_cbranch_execnz .LBB11_739
.LBB11_229:
	s_or_b32 exec_lo, exec_lo, s1
	s_and_saveexec_b32 s1, s0
	s_cbranch_execz .LBB11_231
.LBB11_230:
	v_lshrrev_b16 v7, 3, v245
	v_lshrrev_b16 v9, 7, v245
	s_delay_alu instid0(VALU_DEP_2) | instskip(NEXT) | instid1(VALU_DEP_1)
	v_and_b32_e32 v7, 15, v7
	v_cmp_eq_u16_e32 vcc_lo, 0, v7
	v_and_b32_e32 v5, 7, v245
	s_delay_alu instid0(VALU_DEP_1) | instskip(NEXT) | instid1(VALU_DEP_1)
	v_clz_i32_u32_e32 v6, v5
	v_min_u32_e32 v6, 32, v6
	s_delay_alu instid0(VALU_DEP_1) | instskip(SKIP_2) | instid1(VALU_DEP_1)
	v_subrev_nc_u32_e32 v8, 28, v6
	v_sub_nc_u32_e32 v6, 29, v6
	s_wait_alu 0xfffd
	v_cndmask_b32_e32 v6, v7, v6, vcc_lo
	s_delay_alu instid0(VALU_DEP_3) | instskip(SKIP_1) | instid1(VALU_DEP_3)
	v_lshlrev_b32_e32 v8, v8, v5
	v_lshlrev_b32_e32 v7, 31, v9
	v_lshl_add_u32 v6, v6, 23, 0x3b800000
	s_delay_alu instid0(VALU_DEP_3) | instskip(NEXT) | instid1(VALU_DEP_1)
	v_and_b32_e32 v8, 7, v8
	v_cndmask_b32_e32 v5, v5, v8, vcc_lo
	s_delay_alu instid0(VALU_DEP_1) | instskip(NEXT) | instid1(VALU_DEP_1)
	v_lshlrev_b32_e32 v5, 20, v5
	v_or3_b32 v146, v7, v6, v5
.LBB11_231:
	s_or_b32 exec_lo, exec_lo, s1
	v_and_b32_e32 v254, 0xff, v246
	s_mov_b32 s0, 0
	s_mov_b32 s1, exec_lo
	s_delay_alu instid0(VALU_DEP_1)
	v_cmpx_lt_i16_e64 0x7f, v254
	s_xor_b32 s1, exec_lo, s1
	s_cbranch_execnz .LBB11_740
; %bb.232:
	s_or_saveexec_b32 s1, s1
	v_mov_b32_e32 v245, 0x7f800001
	s_xor_b32 exec_lo, exec_lo, s1
	s_cbranch_execnz .LBB11_743
.LBB11_233:
	s_or_b32 exec_lo, exec_lo, s1
	s_and_saveexec_b32 s1, s0
	s_cbranch_execz .LBB11_235
.LBB11_234:
	v_and_b32_e32 v5, 7, v246
	v_lshrrev_b16 v7, 3, v246
	v_lshrrev_b16 v9, 7, v246
	s_delay_alu instid0(VALU_DEP_3) | instskip(NEXT) | instid1(VALU_DEP_3)
	v_clz_i32_u32_e32 v6, v5
	v_and_b32_e32 v7, 15, v7
	s_delay_alu instid0(VALU_DEP_2) | instskip(NEXT) | instid1(VALU_DEP_2)
	v_min_u32_e32 v6, 32, v6
	v_cmp_eq_u16_e32 vcc_lo, 0, v7
	s_delay_alu instid0(VALU_DEP_2) | instskip(SKIP_1) | instid1(VALU_DEP_2)
	v_subrev_nc_u32_e32 v8, 28, v6
	v_sub_nc_u32_e32 v6, 29, v6
	v_lshlrev_b32_e32 v8, v8, v5
	s_wait_alu 0xfffd
	s_delay_alu instid0(VALU_DEP_2) | instskip(NEXT) | instid1(VALU_DEP_2)
	v_dual_cndmask_b32 v6, v7, v6 :: v_dual_lshlrev_b32 v7, 31, v9
	v_and_b32_e32 v8, 7, v8
	s_delay_alu instid0(VALU_DEP_2) | instskip(NEXT) | instid1(VALU_DEP_2)
	v_lshl_add_u32 v6, v6, 23, 0x3b800000
	v_cndmask_b32_e32 v5, v5, v8, vcc_lo
	s_delay_alu instid0(VALU_DEP_1) | instskip(NEXT) | instid1(VALU_DEP_1)
	v_lshlrev_b32_e32 v5, 20, v5
	v_or3_b32 v245, v7, v6, v5
.LBB11_235:
	s_or_b32 exec_lo, exec_lo, s1
	s_mov_b32 s1, 0
	s_mov_b32 s0, exec_lo
	v_cmpx_lt_i16_e64 0x7f, v248
	s_xor_b32 s0, exec_lo, s0
	s_cbranch_execnz .LBB11_744
; %bb.236:
	s_or_saveexec_b32 s0, s0
	v_mov_b32_e32 v246, 0x7f800001
	s_xor_b32 exec_lo, exec_lo, s0
	s_cbranch_execnz .LBB11_747
.LBB11_237:
	s_or_b32 exec_lo, exec_lo, s0
	s_and_saveexec_b32 s0, s1
	s_cbranch_execz .LBB11_239
.LBB11_238:
	v_lshrrev_b16 v7, 3, v248
	v_lshrrev_b16 v9, 7, v248
	s_delay_alu instid0(VALU_DEP_2) | instskip(NEXT) | instid1(VALU_DEP_1)
	v_and_b32_e32 v7, 15, v7
	v_cmp_eq_u16_e32 vcc_lo, 0, v7
	v_and_b32_e32 v5, 7, v248
	s_delay_alu instid0(VALU_DEP_1) | instskip(NEXT) | instid1(VALU_DEP_1)
	v_clz_i32_u32_e32 v6, v5
	v_min_u32_e32 v6, 32, v6
	s_delay_alu instid0(VALU_DEP_1) | instskip(SKIP_2) | instid1(VALU_DEP_1)
	v_subrev_nc_u32_e32 v8, 28, v6
	v_sub_nc_u32_e32 v6, 29, v6
	s_wait_alu 0xfffd
	v_cndmask_b32_e32 v6, v7, v6, vcc_lo
	s_delay_alu instid0(VALU_DEP_3) | instskip(SKIP_1) | instid1(VALU_DEP_3)
	v_lshlrev_b32_e32 v8, v8, v5
	v_lshlrev_b32_e32 v7, 31, v9
	v_lshl_add_u32 v6, v6, 23, 0x3b800000
	s_delay_alu instid0(VALU_DEP_3) | instskip(NEXT) | instid1(VALU_DEP_1)
	v_and_b32_e32 v8, 7, v8
	v_cndmask_b32_e32 v5, v5, v8, vcc_lo
	s_delay_alu instid0(VALU_DEP_1) | instskip(NEXT) | instid1(VALU_DEP_1)
	v_lshlrev_b32_e32 v5, 20, v5
	v_or3_b32 v246, v7, v6, v5
.LBB11_239:
	s_or_b32 exec_lo, exec_lo, s0
	v_and_b32_e32 v254, 0xff, v147
	s_mov_b32 s0, 0
	s_mov_b32 s1, exec_lo
	s_delay_alu instid0(VALU_DEP_1)
	v_cmpx_lt_i16_e64 0x7f, v254
	s_xor_b32 s1, exec_lo, s1
	s_cbranch_execnz .LBB11_748
; %bb.240:
	s_or_saveexec_b32 s1, s1
	v_mov_b32_e32 v248, 0x7f800001
	s_xor_b32 exec_lo, exec_lo, s1
	s_cbranch_execnz .LBB11_751
.LBB11_241:
	s_or_b32 exec_lo, exec_lo, s1
	s_and_saveexec_b32 s1, s0
	s_cbranch_execz .LBB11_243
.LBB11_242:
	v_lshrrev_b16 v7, 3, v147
	v_lshrrev_b16 v9, 7, v147
	s_delay_alu instid0(VALU_DEP_2) | instskip(NEXT) | instid1(VALU_DEP_1)
	v_and_b32_e32 v7, 15, v7
	v_cmp_eq_u16_e32 vcc_lo, 0, v7
	v_and_b32_e32 v5, 7, v147
	s_delay_alu instid0(VALU_DEP_1) | instskip(NEXT) | instid1(VALU_DEP_1)
	v_clz_i32_u32_e32 v6, v5
	v_min_u32_e32 v6, 32, v6
	s_delay_alu instid0(VALU_DEP_1) | instskip(SKIP_2) | instid1(VALU_DEP_1)
	v_subrev_nc_u32_e32 v8, 28, v6
	v_sub_nc_u32_e32 v6, 29, v6
	s_wait_alu 0xfffd
	v_cndmask_b32_e32 v6, v7, v6, vcc_lo
	s_delay_alu instid0(VALU_DEP_3) | instskip(SKIP_1) | instid1(VALU_DEP_3)
	v_lshlrev_b32_e32 v8, v8, v5
	v_lshlrev_b32_e32 v7, 31, v9
	v_lshl_add_u32 v6, v6, 23, 0x3b800000
	s_delay_alu instid0(VALU_DEP_3) | instskip(NEXT) | instid1(VALU_DEP_1)
	v_and_b32_e32 v8, 7, v8
	v_cndmask_b32_e32 v5, v5, v8, vcc_lo
	s_delay_alu instid0(VALU_DEP_1) | instskip(NEXT) | instid1(VALU_DEP_1)
	v_lshlrev_b32_e32 v5, 20, v5
	v_or3_b32 v248, v7, v6, v5
.LBB11_243:
	s_or_b32 exec_lo, exec_lo, s1
	v_and_b32_e32 v254, 0xff, v251
	s_mov_b32 s0, 0
	s_mov_b32 s1, exec_lo
	s_delay_alu instid0(VALU_DEP_1)
	v_cmpx_lt_i16_e64 0x7f, v254
	s_xor_b32 s1, exec_lo, s1
	s_cbranch_execnz .LBB11_752
; %bb.244:
	s_or_saveexec_b32 s1, s1
	v_mov_b32_e32 v147, 0x7f800001
	s_xor_b32 exec_lo, exec_lo, s1
	s_cbranch_execnz .LBB11_755
.LBB11_245:
	s_or_b32 exec_lo, exec_lo, s1
	s_and_saveexec_b32 s1, s0
	s_cbranch_execz .LBB11_247
.LBB11_246:
	v_lshrrev_b16 v7, 3, v251
	v_lshrrev_b16 v9, 7, v251
	s_delay_alu instid0(VALU_DEP_2) | instskip(NEXT) | instid1(VALU_DEP_1)
	v_and_b32_e32 v7, 15, v7
	v_cmp_eq_u16_e32 vcc_lo, 0, v7
	v_and_b32_e32 v5, 7, v251
	s_delay_alu instid0(VALU_DEP_1) | instskip(NEXT) | instid1(VALU_DEP_1)
	v_clz_i32_u32_e32 v6, v5
	v_min_u32_e32 v6, 32, v6
	s_delay_alu instid0(VALU_DEP_1) | instskip(SKIP_2) | instid1(VALU_DEP_1)
	v_subrev_nc_u32_e32 v8, 28, v6
	v_sub_nc_u32_e32 v6, 29, v6
	s_wait_alu 0xfffd
	v_cndmask_b32_e32 v6, v7, v6, vcc_lo
	s_delay_alu instid0(VALU_DEP_3) | instskip(SKIP_1) | instid1(VALU_DEP_3)
	v_lshlrev_b32_e32 v8, v8, v5
	v_lshlrev_b32_e32 v7, 31, v9
	v_lshl_add_u32 v6, v6, 23, 0x3b800000
	s_delay_alu instid0(VALU_DEP_3) | instskip(NEXT) | instid1(VALU_DEP_1)
	v_and_b32_e32 v8, 7, v8
	v_cndmask_b32_e32 v5, v5, v8, vcc_lo
	s_delay_alu instid0(VALU_DEP_1) | instskip(NEXT) | instid1(VALU_DEP_1)
	v_lshlrev_b32_e32 v5, 20, v5
	v_or3_b32 v147, v7, v6, v5
.LBB11_247:
	s_or_b32 exec_lo, exec_lo, s1
	v_and_b32_e32 v254, 0xff, v252
	s_mov_b32 s0, 0
	s_mov_b32 s1, exec_lo
	s_delay_alu instid0(VALU_DEP_1)
	v_cmpx_lt_i16_e64 0x7f, v254
	s_xor_b32 s1, exec_lo, s1
	s_cbranch_execnz .LBB11_756
; %bb.248:
	s_or_saveexec_b32 s1, s1
	v_mov_b32_e32 v251, 0x7f800001
	s_xor_b32 exec_lo, exec_lo, s1
	s_cbranch_execnz .LBB11_759
.LBB11_249:
	s_or_b32 exec_lo, exec_lo, s1
	s_and_saveexec_b32 s1, s0
	s_cbranch_execz .LBB11_251
.LBB11_250:
	v_lshrrev_b16 v7, 3, v252
	v_lshrrev_b16 v9, 7, v252
	s_delay_alu instid0(VALU_DEP_2) | instskip(NEXT) | instid1(VALU_DEP_1)
	v_and_b32_e32 v7, 15, v7
	v_cmp_eq_u16_e32 vcc_lo, 0, v7
	v_and_b32_e32 v5, 7, v252
	s_delay_alu instid0(VALU_DEP_1) | instskip(NEXT) | instid1(VALU_DEP_1)
	v_clz_i32_u32_e32 v6, v5
	v_min_u32_e32 v6, 32, v6
	s_delay_alu instid0(VALU_DEP_1) | instskip(SKIP_2) | instid1(VALU_DEP_1)
	v_subrev_nc_u32_e32 v8, 28, v6
	v_sub_nc_u32_e32 v6, 29, v6
	s_wait_alu 0xfffd
	v_cndmask_b32_e32 v6, v7, v6, vcc_lo
	s_delay_alu instid0(VALU_DEP_3) | instskip(SKIP_1) | instid1(VALU_DEP_3)
	v_lshlrev_b32_e32 v8, v8, v5
	v_lshlrev_b32_e32 v7, 31, v9
	v_lshl_add_u32 v6, v6, 23, 0x3b800000
	s_delay_alu instid0(VALU_DEP_3) | instskip(NEXT) | instid1(VALU_DEP_1)
	v_and_b32_e32 v8, 7, v8
	v_cndmask_b32_e32 v5, v5, v8, vcc_lo
	s_delay_alu instid0(VALU_DEP_1) | instskip(NEXT) | instid1(VALU_DEP_1)
	v_lshlrev_b32_e32 v5, 20, v5
	v_or3_b32 v251, v7, v6, v5
.LBB11_251:
	s_or_b32 exec_lo, exec_lo, s1
	s_mov_b32 s1, 0
	s_mov_b32 s0, exec_lo
	v_cmpx_lt_i16_e32 0x7f, v4
	s_xor_b32 s0, exec_lo, s0
	s_cbranch_execnz .LBB11_760
; %bb.252:
	s_or_saveexec_b32 s0, s0
	v_mov_b32_e32 v252, 0x7f800001
	s_xor_b32 exec_lo, exec_lo, s0
	s_cbranch_execnz .LBB11_763
.LBB11_253:
	s_or_b32 exec_lo, exec_lo, s0
	s_and_saveexec_b32 s0, s1
	s_cbranch_execz .LBB11_255
.LBB11_254:
	v_lshrrev_b16 v7, 3, v4
	s_delay_alu instid0(VALU_DEP_1) | instskip(NEXT) | instid1(VALU_DEP_1)
	v_and_b32_e32 v7, 15, v7
	v_cmp_eq_u16_e32 vcc_lo, 0, v7
	v_and_b32_e32 v5, 7, v4
	v_lshrrev_b16 v4, 7, v4
	s_delay_alu instid0(VALU_DEP_2) | instskip(NEXT) | instid1(VALU_DEP_2)
	v_clz_i32_u32_e32 v6, v5
	v_lshlrev_b32_e32 v4, 31, v4
	s_delay_alu instid0(VALU_DEP_2) | instskip(NEXT) | instid1(VALU_DEP_1)
	v_min_u32_e32 v6, 32, v6
	v_subrev_nc_u32_e32 v8, 28, v6
	v_sub_nc_u32_e32 v6, 29, v6
	s_wait_alu 0xfffd
	s_delay_alu instid0(VALU_DEP_1) | instskip(NEXT) | instid1(VALU_DEP_3)
	v_cndmask_b32_e32 v6, v7, v6, vcc_lo
	v_lshlrev_b32_e32 v8, v8, v5
	s_delay_alu instid0(VALU_DEP_2) | instskip(NEXT) | instid1(VALU_DEP_2)
	v_lshl_add_u32 v6, v6, 23, 0x3b800000
	v_and_b32_e32 v8, 7, v8
	s_delay_alu instid0(VALU_DEP_1) | instskip(NEXT) | instid1(VALU_DEP_1)
	v_cndmask_b32_e32 v5, v5, v8, vcc_lo
	v_lshlrev_b32_e32 v5, 20, v5
	s_delay_alu instid0(VALU_DEP_1)
	v_or3_b32 v252, v4, v6, v5
.LBB11_255:
	s_or_b32 exec_lo, exec_lo, s0
	v_and_b32_e32 v4, 0xff, v148
	s_mov_b32 s0, 0
	s_mov_b32 s1, exec_lo
	s_delay_alu instid0(VALU_DEP_1)
	v_cmpx_lt_i16_e32 0x7f, v4
	s_xor_b32 s1, exec_lo, s1
	s_cbranch_execnz .LBB11_764
; %bb.256:
	s_or_saveexec_b32 s1, s1
	v_mov_b32_e32 v254, 0x7f800001
	s_xor_b32 exec_lo, exec_lo, s1
	s_cbranch_execnz .LBB11_767
.LBB11_257:
	s_or_b32 exec_lo, exec_lo, s1
	s_and_saveexec_b32 s1, s0
	s_cbranch_execz .LBB11_259
.LBB11_258:
	v_lshrrev_b16 v6, 3, v148
	v_lshrrev_b16 v8, 7, v148
	s_delay_alu instid0(VALU_DEP_2) | instskip(NEXT) | instid1(VALU_DEP_1)
	v_and_b32_e32 v6, 15, v6
	v_cmp_eq_u16_e32 vcc_lo, 0, v6
	v_and_b32_e32 v4, 7, v148
	s_delay_alu instid0(VALU_DEP_1) | instskip(NEXT) | instid1(VALU_DEP_1)
	v_clz_i32_u32_e32 v5, v4
	v_min_u32_e32 v5, 32, v5
	s_delay_alu instid0(VALU_DEP_1) | instskip(SKIP_2) | instid1(VALU_DEP_1)
	v_subrev_nc_u32_e32 v7, 28, v5
	v_sub_nc_u32_e32 v5, 29, v5
	s_wait_alu 0xfffd
	v_cndmask_b32_e32 v5, v6, v5, vcc_lo
	s_delay_alu instid0(VALU_DEP_3) | instskip(SKIP_1) | instid1(VALU_DEP_3)
	v_lshlrev_b32_e32 v7, v7, v4
	v_lshlrev_b32_e32 v6, 31, v8
	v_lshl_add_u32 v5, v5, 23, 0x3b800000
	s_delay_alu instid0(VALU_DEP_3) | instskip(NEXT) | instid1(VALU_DEP_1)
	v_and_b32_e32 v7, 7, v7
	v_cndmask_b32_e32 v4, v4, v7, vcc_lo
	s_delay_alu instid0(VALU_DEP_1) | instskip(NEXT) | instid1(VALU_DEP_1)
	v_lshlrev_b32_e32 v4, 20, v4
	v_or3_b32 v254, v6, v5, v4
.LBB11_259:
	s_or_b32 exec_lo, exec_lo, s1
	v_and_b32_e32 v4, 0xff, v1
	s_mov_b32 s0, 0
	s_mov_b32 s1, exec_lo
	s_delay_alu instid0(VALU_DEP_1)
	v_cmpx_lt_i16_e32 0x7f, v4
	s_xor_b32 s1, exec_lo, s1
	s_cbranch_execnz .LBB11_768
; %bb.260:
	s_or_saveexec_b32 s1, s1
	v_mov_b32_e32 v148, 0x7f800001
	s_xor_b32 exec_lo, exec_lo, s1
	s_cbranch_execnz .LBB11_771
.LBB11_261:
	s_or_b32 exec_lo, exec_lo, s1
	s_and_saveexec_b32 s1, s0
	s_cbranch_execz .LBB11_263
.LBB11_262:
	v_and_b32_e32 v4, 7, v1
	v_lshrrev_b16 v6, 3, v1
	v_lshrrev_b16 v1, 7, v1
	s_delay_alu instid0(VALU_DEP_3) | instskip(NEXT) | instid1(VALU_DEP_3)
	v_clz_i32_u32_e32 v5, v4
	v_and_b32_e32 v6, 15, v6
	s_delay_alu instid0(VALU_DEP_3) | instskip(NEXT) | instid1(VALU_DEP_3)
	v_lshlrev_b32_e32 v1, 31, v1
	v_min_u32_e32 v5, 32, v5
	s_delay_alu instid0(VALU_DEP_3) | instskip(NEXT) | instid1(VALU_DEP_2)
	v_cmp_eq_u16_e32 vcc_lo, 0, v6
	v_subrev_nc_u32_e32 v7, 28, v5
	v_sub_nc_u32_e32 v5, 29, v5
	s_delay_alu instid0(VALU_DEP_2) | instskip(SKIP_1) | instid1(VALU_DEP_2)
	v_lshlrev_b32_e32 v7, v7, v4
	s_wait_alu 0xfffd
	v_cndmask_b32_e32 v5, v6, v5, vcc_lo
	s_delay_alu instid0(VALU_DEP_2) | instskip(NEXT) | instid1(VALU_DEP_2)
	v_and_b32_e32 v7, 7, v7
	v_lshl_add_u32 v5, v5, 23, 0x3b800000
	s_delay_alu instid0(VALU_DEP_2) | instskip(NEXT) | instid1(VALU_DEP_1)
	v_cndmask_b32_e32 v4, v4, v7, vcc_lo
	v_lshlrev_b32_e32 v4, 20, v4
	s_delay_alu instid0(VALU_DEP_1)
	v_or3_b32 v148, v1, v5, v4
.LBB11_263:
	s_or_b32 exec_lo, exec_lo, s1
	v_and_b32_e32 v4, 0xff, v2
	s_mov_b32 s0, 0
	s_mov_b32 s1, exec_lo
	s_delay_alu instid0(VALU_DEP_1)
	v_cmpx_lt_i16_e32 0x7f, v4
	s_xor_b32 s1, exec_lo, s1
	s_cbranch_execnz .LBB11_772
; %bb.264:
	s_or_saveexec_b32 s1, s1
	v_mov_b32_e32 v1, 0x7f800001
	s_xor_b32 exec_lo, exec_lo, s1
	s_cbranch_execnz .LBB11_775
.LBB11_265:
	s_or_b32 exec_lo, exec_lo, s1
	s_and_saveexec_b32 s1, s0
	s_cbranch_execz .LBB11_267
.LBB11_266:
	v_lshrrev_b16 v5, 3, v2
	s_delay_alu instid0(VALU_DEP_1) | instskip(NEXT) | instid1(VALU_DEP_1)
	v_and_b32_e32 v5, 15, v5
	v_cmp_eq_u16_e32 vcc_lo, 0, v5
	v_and_b32_e32 v1, 7, v2
	v_lshrrev_b16 v2, 7, v2
	s_delay_alu instid0(VALU_DEP_2) | instskip(NEXT) | instid1(VALU_DEP_2)
	v_clz_i32_u32_e32 v4, v1
	v_lshlrev_b32_e32 v2, 31, v2
	s_delay_alu instid0(VALU_DEP_2) | instskip(NEXT) | instid1(VALU_DEP_1)
	v_min_u32_e32 v4, 32, v4
	v_subrev_nc_u32_e32 v6, 28, v4
	v_sub_nc_u32_e32 v4, 29, v4
	s_wait_alu 0xfffd
	s_delay_alu instid0(VALU_DEP_1) | instskip(NEXT) | instid1(VALU_DEP_3)
	v_cndmask_b32_e32 v4, v5, v4, vcc_lo
	v_lshlrev_b32_e32 v6, v6, v1
	s_delay_alu instid0(VALU_DEP_2) | instskip(NEXT) | instid1(VALU_DEP_2)
	v_lshl_add_u32 v4, v4, 23, 0x3b800000
	v_and_b32_e32 v6, 7, v6
	s_delay_alu instid0(VALU_DEP_1) | instskip(NEXT) | instid1(VALU_DEP_1)
	v_cndmask_b32_e32 v1, v1, v6, vcc_lo
	v_lshlrev_b32_e32 v1, 20, v1
	s_delay_alu instid0(VALU_DEP_1)
	v_or3_b32 v1, v2, v4, v1
.LBB11_267:
	s_or_b32 exec_lo, exec_lo, s1
	s_mov_b32 s1, 0
	s_mov_b32 s0, exec_lo
	v_cmpx_lt_i16_e32 0x7f, v3
	s_xor_b32 s0, exec_lo, s0
	s_cbranch_execnz .LBB11_776
; %bb.268:
	s_or_saveexec_b32 s0, s0
	v_mov_b32_e32 v2, 0x7f800001
	s_xor_b32 exec_lo, exec_lo, s0
	s_cbranch_execnz .LBB11_779
.LBB11_269:
	s_or_b32 exec_lo, exec_lo, s0
	s_and_saveexec_b32 s0, s1
	s_cbranch_execz .LBB11_271
.LBB11_270:
	v_and_b32_e32 v2, 7, v3
	v_lshrrev_b16 v5, 3, v3
	v_lshrrev_b16 v3, 7, v3
	s_delay_alu instid0(VALU_DEP_3) | instskip(NEXT) | instid1(VALU_DEP_2)
	v_clz_i32_u32_e32 v4, v2
	v_lshlrev_b32_e32 v3, 31, v3
	s_delay_alu instid0(VALU_DEP_2) | instskip(NEXT) | instid1(VALU_DEP_1)
	v_min_u32_e32 v4, 32, v4
	v_subrev_nc_u32_e32 v6, 28, v4
	v_sub_nc_u32_e32 v4, 29, v4
	s_delay_alu instid0(VALU_DEP_2) | instskip(NEXT) | instid1(VALU_DEP_1)
	v_lshlrev_b32_e32 v6, v6, v2
	v_and_b32_e32 v6, 7, v6
	v_and_b32_e32 v5, 15, v5
	s_delay_alu instid0(VALU_DEP_1) | instskip(SKIP_1) | instid1(VALU_DEP_3)
	v_cmp_eq_u16_e32 vcc_lo, 0, v5
	s_wait_alu 0xfffd
	v_cndmask_b32_e32 v2, v2, v6, vcc_lo
	v_cndmask_b32_e32 v4, v5, v4, vcc_lo
	s_delay_alu instid0(VALU_DEP_2) | instskip(NEXT) | instid1(VALU_DEP_2)
	v_lshlrev_b32_e32 v2, 20, v2
	v_lshl_add_u32 v4, v4, 23, 0x3b800000
	s_delay_alu instid0(VALU_DEP_1)
	v_or3_b32 v2, v3, v4, v2
.LBB11_271:
	s_or_b32 exec_lo, exec_lo, s0
	v_and_b32_e32 v4, 0xff, v141
	s_mov_b32 s0, 0
	s_mov_b32 s1, exec_lo
	s_delay_alu instid0(VALU_DEP_1)
	v_cmpx_lt_i16_e32 0x7f, v4
	s_xor_b32 s1, exec_lo, s1
	s_cbranch_execnz .LBB11_780
; %bb.272:
	s_or_saveexec_b32 s1, s1
	v_mov_b32_e32 v3, 0x7f800001
	s_xor_b32 exec_lo, exec_lo, s1
	s_cbranch_execnz .LBB11_783
.LBB11_273:
	s_or_b32 exec_lo, exec_lo, s1
	s_and_saveexec_b32 s1, s0
	s_cbranch_execz .LBB11_275
.LBB11_274:
	v_lshrrev_b16 v5, 3, v141
	v_lshrrev_b16 v7, 7, v141
	s_delay_alu instid0(VALU_DEP_2) | instskip(NEXT) | instid1(VALU_DEP_1)
	v_and_b32_e32 v5, 15, v5
	v_cmp_eq_u16_e32 vcc_lo, 0, v5
	v_and_b32_e32 v3, 7, v141
	s_delay_alu instid0(VALU_DEP_1) | instskip(NEXT) | instid1(VALU_DEP_1)
	v_clz_i32_u32_e32 v4, v3
	v_min_u32_e32 v4, 32, v4
	s_delay_alu instid0(VALU_DEP_1) | instskip(SKIP_2) | instid1(VALU_DEP_1)
	v_subrev_nc_u32_e32 v6, 28, v4
	v_sub_nc_u32_e32 v4, 29, v4
	s_wait_alu 0xfffd
	v_cndmask_b32_e32 v4, v5, v4, vcc_lo
	s_delay_alu instid0(VALU_DEP_3) | instskip(SKIP_1) | instid1(VALU_DEP_3)
	v_lshlrev_b32_e32 v6, v6, v3
	v_lshlrev_b32_e32 v5, 31, v7
	v_lshl_add_u32 v4, v4, 23, 0x3b800000
	s_delay_alu instid0(VALU_DEP_3) | instskip(NEXT) | instid1(VALU_DEP_1)
	v_and_b32_e32 v6, 7, v6
	v_cndmask_b32_e32 v3, v3, v6, vcc_lo
	s_delay_alu instid0(VALU_DEP_1) | instskip(NEXT) | instid1(VALU_DEP_1)
	v_lshlrev_b32_e32 v3, 20, v3
	v_or3_b32 v3, v5, v4, v3
.LBB11_275:
	s_or_b32 exec_lo, exec_lo, s1
	v_and_b32_e32 v141, 0xff, v162
	s_mov_b32 s0, 0
	s_mov_b32 s1, exec_lo
	s_delay_alu instid0(VALU_DEP_1)
	v_cmpx_lt_i16_e64 0x7f, v141
	s_xor_b32 s1, exec_lo, s1
	s_cbranch_execnz .LBB11_784
; %bb.276:
	s_or_saveexec_b32 s1, s1
	v_mov_b32_e32 v4, 0x7f800001
	s_xor_b32 exec_lo, exec_lo, s1
	s_cbranch_execnz .LBB11_787
.LBB11_277:
	s_or_b32 exec_lo, exec_lo, s1
	s_and_saveexec_b32 s1, s0
	s_cbranch_execz .LBB11_279
.LBB11_278:
	v_lshrrev_b16 v6, 3, v162
	v_lshrrev_b16 v8, 7, v162
	s_delay_alu instid0(VALU_DEP_2) | instskip(NEXT) | instid1(VALU_DEP_1)
	v_and_b32_e32 v6, 15, v6
	v_cmp_eq_u16_e32 vcc_lo, 0, v6
	v_and_b32_e32 v4, 7, v162
	s_delay_alu instid0(VALU_DEP_1) | instskip(NEXT) | instid1(VALU_DEP_1)
	v_clz_i32_u32_e32 v5, v4
	v_min_u32_e32 v5, 32, v5
	s_delay_alu instid0(VALU_DEP_1) | instskip(SKIP_2) | instid1(VALU_DEP_1)
	v_subrev_nc_u32_e32 v7, 28, v5
	v_sub_nc_u32_e32 v5, 29, v5
	s_wait_alu 0xfffd
	v_cndmask_b32_e32 v5, v6, v5, vcc_lo
	s_delay_alu instid0(VALU_DEP_3) | instskip(SKIP_1) | instid1(VALU_DEP_3)
	v_lshlrev_b32_e32 v7, v7, v4
	v_lshlrev_b32_e32 v6, 31, v8
	v_lshl_add_u32 v5, v5, 23, 0x3b800000
	s_delay_alu instid0(VALU_DEP_3) | instskip(NEXT) | instid1(VALU_DEP_1)
	v_and_b32_e32 v7, 7, v7
	v_cndmask_b32_e32 v4, v4, v7, vcc_lo
	s_delay_alu instid0(VALU_DEP_1) | instskip(NEXT) | instid1(VALU_DEP_1)
	v_lshlrev_b32_e32 v4, 20, v4
	v_or3_b32 v4, v6, v5, v4
.LBB11_279:
	s_or_b32 exec_lo, exec_lo, s1
	v_and_b32_e32 v162, 0xff, v255
	s_mov_b32 s0, 0
	s_mov_b32 s1, exec_lo
	s_delay_alu instid0(VALU_DEP_1)
	v_cmpx_lt_i16_e64 0x7f, v162
	s_xor_b32 s1, exec_lo, s1
	s_cbranch_execnz .LBB11_788
; %bb.280:
	s_or_saveexec_b32 s1, s1
	v_mov_b32_e32 v141, 0x7f800001
	s_xor_b32 exec_lo, exec_lo, s1
	s_cbranch_execnz .LBB11_791
.LBB11_281:
	s_or_b32 exec_lo, exec_lo, s1
	s_and_saveexec_b32 s1, s0
	s_cbranch_execz .LBB11_283
.LBB11_282:
	v_lshrrev_b16 v7, 3, v255
	v_lshrrev_b16 v9, 7, v255
	s_delay_alu instid0(VALU_DEP_2) | instskip(NEXT) | instid1(VALU_DEP_1)
	v_and_b32_e32 v7, 15, v7
	v_cmp_eq_u16_e32 vcc_lo, 0, v7
	v_and_b32_e32 v5, 7, v255
	s_delay_alu instid0(VALU_DEP_1) | instskip(NEXT) | instid1(VALU_DEP_1)
	v_clz_i32_u32_e32 v6, v5
	v_min_u32_e32 v6, 32, v6
	s_delay_alu instid0(VALU_DEP_1) | instskip(SKIP_2) | instid1(VALU_DEP_1)
	v_subrev_nc_u32_e32 v8, 28, v6
	v_sub_nc_u32_e32 v6, 29, v6
	s_wait_alu 0xfffd
	v_cndmask_b32_e32 v6, v7, v6, vcc_lo
	s_delay_alu instid0(VALU_DEP_3) | instskip(SKIP_1) | instid1(VALU_DEP_3)
	v_lshlrev_b32_e32 v8, v8, v5
	v_lshlrev_b32_e32 v7, 31, v9
	v_lshl_add_u32 v6, v6, 23, 0x3b800000
	s_delay_alu instid0(VALU_DEP_3) | instskip(NEXT) | instid1(VALU_DEP_1)
	v_and_b32_e32 v8, 7, v8
	v_cndmask_b32_e32 v5, v5, v8, vcc_lo
	s_delay_alu instid0(VALU_DEP_1) | instskip(NEXT) | instid1(VALU_DEP_1)
	v_lshlrev_b32_e32 v5, 20, v5
	v_or3_b32 v141, v7, v6, v5
.LBB11_283:
	s_or_b32 exec_lo, exec_lo, s1
	s_mov_b32 s1, 0
	s_mov_b32 s0, exec_lo
	v_cmpx_lt_i16_e64 0x7f, v253
	s_xor_b32 s0, exec_lo, s0
	s_cbranch_execnz .LBB11_792
; %bb.284:
	s_or_saveexec_b32 s0, s0
	v_mov_b32_e32 v162, 0x7f800001
	s_xor_b32 exec_lo, exec_lo, s0
	s_cbranch_execnz .LBB11_795
.LBB11_285:
	s_or_b32 exec_lo, exec_lo, s0
	s_and_saveexec_b32 s0, s1
	s_cbranch_execz .LBB11_287
.LBB11_286:
	v_lshrrev_b16 v7, 3, v253
	v_lshrrev_b16 v9, 7, v253
	s_delay_alu instid0(VALU_DEP_2) | instskip(NEXT) | instid1(VALU_DEP_1)
	v_and_b32_e32 v7, 15, v7
	v_cmp_eq_u16_e32 vcc_lo, 0, v7
	v_and_b32_e32 v5, 7, v253
	s_delay_alu instid0(VALU_DEP_1) | instskip(NEXT) | instid1(VALU_DEP_1)
	v_clz_i32_u32_e32 v6, v5
	v_min_u32_e32 v6, 32, v6
	s_delay_alu instid0(VALU_DEP_1) | instskip(SKIP_2) | instid1(VALU_DEP_1)
	v_subrev_nc_u32_e32 v8, 28, v6
	v_sub_nc_u32_e32 v6, 29, v6
	s_wait_alu 0xfffd
	v_cndmask_b32_e32 v6, v7, v6, vcc_lo
	s_delay_alu instid0(VALU_DEP_3) | instskip(SKIP_1) | instid1(VALU_DEP_3)
	v_lshlrev_b32_e32 v8, v8, v5
	v_lshlrev_b32_e32 v7, 31, v9
	v_lshl_add_u32 v6, v6, 23, 0x3b800000
	s_delay_alu instid0(VALU_DEP_3) | instskip(NEXT) | instid1(VALU_DEP_1)
	v_and_b32_e32 v8, 7, v8
	v_cndmask_b32_e32 v5, v5, v8, vcc_lo
	s_delay_alu instid0(VALU_DEP_1) | instskip(NEXT) | instid1(VALU_DEP_1)
	v_lshlrev_b32_e32 v5, 20, v5
	v_or3_b32 v162, v7, v6, v5
.LBB11_287:
	s_or_b32 exec_lo, exec_lo, s0
	v_and_b32_e32 v255, 0xff, v142
	s_mov_b32 s0, 0
	s_mov_b32 s1, exec_lo
	s_delay_alu instid0(VALU_DEP_1)
	v_cmpx_lt_i16_e64 0x7f, v255
	s_xor_b32 s1, exec_lo, s1
	s_cbranch_execnz .LBB11_796
; %bb.288:
	s_or_saveexec_b32 s1, s1
	v_mov_b32_e32 v253, 0x7f800001
	s_xor_b32 exec_lo, exec_lo, s1
	s_cbranch_execnz .LBB11_799
.LBB11_289:
	s_or_b32 exec_lo, exec_lo, s1
	s_and_saveexec_b32 s1, s0
	s_cbranch_execz .LBB11_291
.LBB11_290:
	v_and_b32_e32 v5, 7, v142
	v_lshrrev_b16 v7, 3, v142
	v_lshrrev_b16 v9, 7, v142
	s_delay_alu instid0(VALU_DEP_3) | instskip(NEXT) | instid1(VALU_DEP_3)
	v_clz_i32_u32_e32 v6, v5
	v_and_b32_e32 v7, 15, v7
	s_delay_alu instid0(VALU_DEP_2) | instskip(NEXT) | instid1(VALU_DEP_2)
	v_min_u32_e32 v6, 32, v6
	v_cmp_eq_u16_e32 vcc_lo, 0, v7
	s_delay_alu instid0(VALU_DEP_2) | instskip(SKIP_1) | instid1(VALU_DEP_2)
	v_subrev_nc_u32_e32 v8, 28, v6
	v_sub_nc_u32_e32 v6, 29, v6
	v_lshlrev_b32_e32 v8, v8, v5
	s_wait_alu 0xfffd
	s_delay_alu instid0(VALU_DEP_2) | instskip(NEXT) | instid1(VALU_DEP_2)
	v_dual_cndmask_b32 v6, v7, v6 :: v_dual_lshlrev_b32 v7, 31, v9
	v_and_b32_e32 v8, 7, v8
	s_delay_alu instid0(VALU_DEP_2) | instskip(NEXT) | instid1(VALU_DEP_2)
	v_lshl_add_u32 v6, v6, 23, 0x3b800000
	v_cndmask_b32_e32 v5, v5, v8, vcc_lo
	s_delay_alu instid0(VALU_DEP_1) | instskip(NEXT) | instid1(VALU_DEP_1)
	v_lshlrev_b32_e32 v5, 20, v5
	v_or3_b32 v253, v7, v6, v5
.LBB11_291:
	s_or_b32 exec_lo, exec_lo, s1
	v_and_b32_e32 v255, 0xff, v250
	s_mov_b32 s0, 0
	s_mov_b32 s1, exec_lo
	s_delay_alu instid0(VALU_DEP_1)
	v_cmpx_lt_i16_e64 0x7f, v255
	s_xor_b32 s1, exec_lo, s1
	s_cbranch_execnz .LBB11_800
; %bb.292:
	s_or_saveexec_b32 s1, s1
	v_mov_b32_e32 v142, 0x7f800001
	s_xor_b32 exec_lo, exec_lo, s1
	s_cbranch_execnz .LBB11_803
.LBB11_293:
	s_or_b32 exec_lo, exec_lo, s1
	s_and_saveexec_b32 s1, s0
	s_cbranch_execz .LBB11_295
.LBB11_294:
	v_and_b32_e32 v5, 7, v250
	v_lshrrev_b16 v7, 3, v250
	v_lshrrev_b16 v9, 7, v250
	s_delay_alu instid0(VALU_DEP_3) | instskip(NEXT) | instid1(VALU_DEP_3)
	v_clz_i32_u32_e32 v6, v5
	v_and_b32_e32 v7, 15, v7
	s_delay_alu instid0(VALU_DEP_2) | instskip(NEXT) | instid1(VALU_DEP_2)
	v_min_u32_e32 v6, 32, v6
	v_cmp_eq_u16_e32 vcc_lo, 0, v7
	s_delay_alu instid0(VALU_DEP_2) | instskip(SKIP_1) | instid1(VALU_DEP_2)
	v_subrev_nc_u32_e32 v8, 28, v6
	v_sub_nc_u32_e32 v6, 29, v6
	v_lshlrev_b32_e32 v8, v8, v5
	s_wait_alu 0xfffd
	s_delay_alu instid0(VALU_DEP_2) | instskip(NEXT) | instid1(VALU_DEP_2)
	v_dual_cndmask_b32 v6, v7, v6 :: v_dual_lshlrev_b32 v7, 31, v9
	v_and_b32_e32 v8, 7, v8
	s_delay_alu instid0(VALU_DEP_2) | instskip(NEXT) | instid1(VALU_DEP_2)
	v_lshl_add_u32 v6, v6, 23, 0x3b800000
	v_cndmask_b32_e32 v5, v5, v8, vcc_lo
	s_delay_alu instid0(VALU_DEP_1) | instskip(NEXT) | instid1(VALU_DEP_1)
	v_lshlrev_b32_e32 v5, 20, v5
	v_or3_b32 v142, v7, v6, v5
.LBB11_295:
	s_or_b32 exec_lo, exec_lo, s1
	v_and_b32_e32 v255, 0xff, v249
	s_mov_b32 s0, 0
	s_mov_b32 s1, exec_lo
	s_delay_alu instid0(VALU_DEP_1)
	v_cmpx_lt_i16_e64 0x7f, v255
	s_xor_b32 s1, exec_lo, s1
	s_cbranch_execnz .LBB11_804
; %bb.296:
	s_or_saveexec_b32 s1, s1
	v_mov_b32_e32 v250, 0x7f800001
	s_xor_b32 exec_lo, exec_lo, s1
	s_cbranch_execnz .LBB11_807
.LBB11_297:
	s_or_b32 exec_lo, exec_lo, s1
	s_and_saveexec_b32 s1, s0
	s_cbranch_execz .LBB11_299
.LBB11_298:
	v_lshrrev_b16 v7, 3, v249
	v_lshrrev_b16 v9, 7, v249
	s_delay_alu instid0(VALU_DEP_2) | instskip(NEXT) | instid1(VALU_DEP_1)
	v_and_b32_e32 v7, 15, v7
	v_cmp_eq_u16_e32 vcc_lo, 0, v7
	v_and_b32_e32 v5, 7, v249
	s_delay_alu instid0(VALU_DEP_1) | instskip(NEXT) | instid1(VALU_DEP_1)
	v_clz_i32_u32_e32 v6, v5
	v_min_u32_e32 v6, 32, v6
	s_delay_alu instid0(VALU_DEP_1) | instskip(SKIP_2) | instid1(VALU_DEP_1)
	v_subrev_nc_u32_e32 v8, 28, v6
	v_sub_nc_u32_e32 v6, 29, v6
	s_wait_alu 0xfffd
	v_cndmask_b32_e32 v6, v7, v6, vcc_lo
	s_delay_alu instid0(VALU_DEP_3) | instskip(SKIP_1) | instid1(VALU_DEP_3)
	v_lshlrev_b32_e32 v8, v8, v5
	v_lshlrev_b32_e32 v7, 31, v9
	v_lshl_add_u32 v6, v6, 23, 0x3b800000
	s_delay_alu instid0(VALU_DEP_3) | instskip(NEXT) | instid1(VALU_DEP_1)
	v_and_b32_e32 v8, 7, v8
	v_cndmask_b32_e32 v5, v5, v8, vcc_lo
	s_delay_alu instid0(VALU_DEP_1) | instskip(NEXT) | instid1(VALU_DEP_1)
	v_lshlrev_b32_e32 v5, 20, v5
	v_or3_b32 v250, v7, v6, v5
.LBB11_299:
	s_or_b32 exec_lo, exec_lo, s1
	s_mov_b32 s1, 0
	s_mov_b32 s0, exec_lo
	v_cmpx_lt_i16_e64 0x7f, v247
	s_xor_b32 s0, exec_lo, s0
	s_cbranch_execnz .LBB11_808
; %bb.300:
	s_or_saveexec_b32 s0, s0
	v_mov_b32_e32 v249, 0x7f800001
	s_xor_b32 exec_lo, exec_lo, s0
	s_cbranch_execnz .LBB11_811
.LBB11_301:
	s_or_b32 exec_lo, exec_lo, s0
	s_and_saveexec_b32 s0, s1
	s_cbranch_execz .LBB11_303
.LBB11_302:
	v_lshrrev_b16 v7, 3, v247
	v_lshrrev_b16 v9, 7, v247
	s_delay_alu instid0(VALU_DEP_2) | instskip(NEXT) | instid1(VALU_DEP_1)
	v_and_b32_e32 v7, 15, v7
	v_cmp_eq_u16_e32 vcc_lo, 0, v7
	v_and_b32_e32 v5, 7, v247
	s_delay_alu instid0(VALU_DEP_1) | instskip(NEXT) | instid1(VALU_DEP_1)
	v_clz_i32_u32_e32 v6, v5
	v_min_u32_e32 v6, 32, v6
	s_delay_alu instid0(VALU_DEP_1) | instskip(SKIP_2) | instid1(VALU_DEP_1)
	v_subrev_nc_u32_e32 v8, 28, v6
	v_sub_nc_u32_e32 v6, 29, v6
	s_wait_alu 0xfffd
	v_cndmask_b32_e32 v6, v7, v6, vcc_lo
	s_delay_alu instid0(VALU_DEP_3) | instskip(SKIP_1) | instid1(VALU_DEP_3)
	v_lshlrev_b32_e32 v8, v8, v5
	v_lshlrev_b32_e32 v7, 31, v9
	v_lshl_add_u32 v6, v6, 23, 0x3b800000
	s_delay_alu instid0(VALU_DEP_3) | instskip(NEXT) | instid1(VALU_DEP_1)
	v_and_b32_e32 v8, 7, v8
	v_cndmask_b32_e32 v5, v5, v8, vcc_lo
	s_delay_alu instid0(VALU_DEP_1) | instskip(NEXT) | instid1(VALU_DEP_1)
	v_lshlrev_b32_e32 v5, 20, v5
	v_or3_b32 v249, v7, v6, v5
.LBB11_303:
	s_or_b32 exec_lo, exec_lo, s0
	v_and_b32_e32 v255, 0xff, v143
	s_mov_b32 s0, 0
	s_mov_b32 s1, exec_lo
	s_delay_alu instid0(VALU_DEP_1)
	v_cmpx_lt_i16_e64 0x7f, v255
	s_xor_b32 s1, exec_lo, s1
	s_cbranch_execnz .LBB11_812
; %bb.304:
	s_or_saveexec_b32 s1, s1
	v_mov_b32_e32 v247, 0x7f800001
	s_xor_b32 exec_lo, exec_lo, s1
	s_cbranch_execnz .LBB11_815
.LBB11_305:
	s_or_b32 exec_lo, exec_lo, s1
	s_and_saveexec_b32 s1, s0
	s_cbranch_execz .LBB11_307
.LBB11_306:
	v_lshrrev_b16 v7, 3, v143
	v_lshrrev_b16 v9, 7, v143
	s_delay_alu instid0(VALU_DEP_2) | instskip(NEXT) | instid1(VALU_DEP_1)
	v_and_b32_e32 v7, 15, v7
	v_cmp_eq_u16_e32 vcc_lo, 0, v7
	v_and_b32_e32 v5, 7, v143
	s_delay_alu instid0(VALU_DEP_1) | instskip(NEXT) | instid1(VALU_DEP_1)
	v_clz_i32_u32_e32 v6, v5
	v_min_u32_e32 v6, 32, v6
	s_delay_alu instid0(VALU_DEP_1) | instskip(SKIP_2) | instid1(VALU_DEP_1)
	v_subrev_nc_u32_e32 v8, 28, v6
	v_sub_nc_u32_e32 v6, 29, v6
	s_wait_alu 0xfffd
	v_cndmask_b32_e32 v6, v7, v6, vcc_lo
	s_delay_alu instid0(VALU_DEP_3) | instskip(SKIP_1) | instid1(VALU_DEP_3)
	v_lshlrev_b32_e32 v8, v8, v5
	v_lshlrev_b32_e32 v7, 31, v9
	v_lshl_add_u32 v6, v6, 23, 0x3b800000
	s_delay_alu instid0(VALU_DEP_3) | instskip(NEXT) | instid1(VALU_DEP_1)
	v_and_b32_e32 v8, 7, v8
	v_cndmask_b32_e32 v5, v5, v8, vcc_lo
	s_delay_alu instid0(VALU_DEP_1) | instskip(NEXT) | instid1(VALU_DEP_1)
	v_lshlrev_b32_e32 v5, 20, v5
	v_or3_b32 v247, v7, v6, v5
.LBB11_307:
	s_or_b32 exec_lo, exec_lo, s1
	v_and_b32_e32 v255, 0xff, v244
	s_mov_b32 s0, 0
	s_mov_b32 s1, exec_lo
	s_delay_alu instid0(VALU_DEP_1)
	v_cmpx_lt_i16_e64 0x7f, v255
	s_xor_b32 s1, exec_lo, s1
	s_cbranch_execnz .LBB11_816
; %bb.308:
	s_or_saveexec_b32 s1, s1
	v_mov_b32_e32 v143, 0x7f800001
	s_xor_b32 exec_lo, exec_lo, s1
	s_cbranch_execnz .LBB11_819
.LBB11_309:
	s_or_b32 exec_lo, exec_lo, s1
	s_and_saveexec_b32 s1, s0
	s_cbranch_execz .LBB11_311
.LBB11_310:
	v_lshrrev_b16 v7, 3, v244
	v_lshrrev_b16 v9, 7, v244
	s_delay_alu instid0(VALU_DEP_2) | instskip(NEXT) | instid1(VALU_DEP_1)
	v_and_b32_e32 v7, 15, v7
	v_cmp_eq_u16_e32 vcc_lo, 0, v7
	v_and_b32_e32 v5, 7, v244
	s_delay_alu instid0(VALU_DEP_1) | instskip(NEXT) | instid1(VALU_DEP_1)
	v_clz_i32_u32_e32 v6, v5
	v_min_u32_e32 v6, 32, v6
	s_delay_alu instid0(VALU_DEP_1) | instskip(SKIP_2) | instid1(VALU_DEP_1)
	v_subrev_nc_u32_e32 v8, 28, v6
	v_sub_nc_u32_e32 v6, 29, v6
	s_wait_alu 0xfffd
	v_cndmask_b32_e32 v6, v7, v6, vcc_lo
	s_delay_alu instid0(VALU_DEP_3) | instskip(SKIP_1) | instid1(VALU_DEP_3)
	v_lshlrev_b32_e32 v8, v8, v5
	v_lshlrev_b32_e32 v7, 31, v9
	v_lshl_add_u32 v6, v6, 23, 0x3b800000
	s_delay_alu instid0(VALU_DEP_3) | instskip(NEXT) | instid1(VALU_DEP_1)
	v_and_b32_e32 v8, 7, v8
	v_cndmask_b32_e32 v5, v5, v8, vcc_lo
	s_delay_alu instid0(VALU_DEP_1) | instskip(NEXT) | instid1(VALU_DEP_1)
	v_lshlrev_b32_e32 v5, 20, v5
	v_or3_b32 v143, v7, v6, v5
.LBB11_311:
	s_or_b32 exec_lo, exec_lo, s1
	v_and_b32_e32 v255, 0xff, v243
	s_mov_b32 s0, 0
	s_mov_b32 s1, exec_lo
	s_delay_alu instid0(VALU_DEP_1)
	v_cmpx_lt_i16_e64 0x7f, v255
	s_xor_b32 s1, exec_lo, s1
	s_cbranch_execnz .LBB11_820
; %bb.312:
	s_or_saveexec_b32 s1, s1
	v_mov_b32_e32 v244, 0x7f800001
	s_xor_b32 exec_lo, exec_lo, s1
	s_cbranch_execnz .LBB11_823
.LBB11_313:
	s_or_b32 exec_lo, exec_lo, s1
	s_and_saveexec_b32 s1, s0
	s_cbranch_execz .LBB11_315
.LBB11_314:
	v_lshrrev_b16 v7, 3, v243
	v_lshrrev_b16 v9, 7, v243
	s_delay_alu instid0(VALU_DEP_2) | instskip(NEXT) | instid1(VALU_DEP_1)
	v_and_b32_e32 v7, 15, v7
	v_cmp_eq_u16_e32 vcc_lo, 0, v7
	v_and_b32_e32 v5, 7, v243
	s_delay_alu instid0(VALU_DEP_1) | instskip(NEXT) | instid1(VALU_DEP_1)
	v_clz_i32_u32_e32 v6, v5
	v_min_u32_e32 v6, 32, v6
	s_delay_alu instid0(VALU_DEP_1) | instskip(SKIP_2) | instid1(VALU_DEP_1)
	v_subrev_nc_u32_e32 v8, 28, v6
	v_sub_nc_u32_e32 v6, 29, v6
	s_wait_alu 0xfffd
	v_cndmask_b32_e32 v6, v7, v6, vcc_lo
	s_delay_alu instid0(VALU_DEP_3) | instskip(SKIP_1) | instid1(VALU_DEP_3)
	v_lshlrev_b32_e32 v8, v8, v5
	v_lshlrev_b32_e32 v7, 31, v9
	v_lshl_add_u32 v6, v6, 23, 0x3b800000
	s_delay_alu instid0(VALU_DEP_3) | instskip(NEXT) | instid1(VALU_DEP_1)
	v_and_b32_e32 v8, 7, v8
	v_cndmask_b32_e32 v5, v5, v8, vcc_lo
	s_delay_alu instid0(VALU_DEP_1) | instskip(NEXT) | instid1(VALU_DEP_1)
	v_lshlrev_b32_e32 v5, 20, v5
	v_or3_b32 v244, v7, v6, v5
.LBB11_315:
	s_or_b32 exec_lo, exec_lo, s1
	s_mov_b32 s1, 0
	s_mov_b32 s0, exec_lo
	v_cmpx_lt_i16_e64 0x7f, v241
	s_xor_b32 s0, exec_lo, s0
	s_cbranch_execnz .LBB11_824
; %bb.316:
	s_or_saveexec_b32 s0, s0
	v_mov_b32_e32 v243, 0x7f800001
	s_xor_b32 exec_lo, exec_lo, s0
	s_cbranch_execnz .LBB11_827
.LBB11_317:
	s_or_b32 exec_lo, exec_lo, s0
	s_and_saveexec_b32 s0, s1
	s_cbranch_execz .LBB11_319
.LBB11_318:
	v_lshrrev_b16 v7, 3, v241
	v_lshrrev_b16 v9, 7, v241
	s_delay_alu instid0(VALU_DEP_2) | instskip(NEXT) | instid1(VALU_DEP_1)
	v_and_b32_e32 v7, 15, v7
	v_cmp_eq_u16_e32 vcc_lo, 0, v7
	v_and_b32_e32 v5, 7, v241
	s_delay_alu instid0(VALU_DEP_1) | instskip(NEXT) | instid1(VALU_DEP_1)
	v_clz_i32_u32_e32 v6, v5
	v_min_u32_e32 v6, 32, v6
	s_delay_alu instid0(VALU_DEP_1) | instskip(SKIP_2) | instid1(VALU_DEP_1)
	v_subrev_nc_u32_e32 v8, 28, v6
	v_sub_nc_u32_e32 v6, 29, v6
	s_wait_alu 0xfffd
	v_cndmask_b32_e32 v6, v7, v6, vcc_lo
	s_delay_alu instid0(VALU_DEP_3) | instskip(SKIP_1) | instid1(VALU_DEP_3)
	v_lshlrev_b32_e32 v8, v8, v5
	v_lshlrev_b32_e32 v7, 31, v9
	v_lshl_add_u32 v6, v6, 23, 0x3b800000
	s_delay_alu instid0(VALU_DEP_3) | instskip(NEXT) | instid1(VALU_DEP_1)
	v_and_b32_e32 v8, 7, v8
	v_cndmask_b32_e32 v5, v5, v8, vcc_lo
	s_delay_alu instid0(VALU_DEP_1) | instskip(NEXT) | instid1(VALU_DEP_1)
	v_lshlrev_b32_e32 v5, 20, v5
	v_or3_b32 v243, v7, v6, v5
.LBB11_319:
	s_or_b32 exec_lo, exec_lo, s0
	v_and_b32_e32 v255, 0xff, v144
	s_mov_b32 s0, 0
	s_mov_b32 s1, exec_lo
	s_delay_alu instid0(VALU_DEP_1)
	v_cmpx_lt_i16_e64 0x7f, v255
	s_xor_b32 s1, exec_lo, s1
	s_cbranch_execnz .LBB11_828
; %bb.320:
	s_or_saveexec_b32 s1, s1
	v_mov_b32_e32 v241, 0x7f800001
	s_xor_b32 exec_lo, exec_lo, s1
	s_cbranch_execnz .LBB11_831
.LBB11_321:
	s_or_b32 exec_lo, exec_lo, s1
	s_and_saveexec_b32 s1, s0
	s_cbranch_execz .LBB11_323
.LBB11_322:
	v_lshrrev_b16 v7, 3, v144
	v_lshrrev_b16 v9, 7, v144
	s_delay_alu instid0(VALU_DEP_2) | instskip(NEXT) | instid1(VALU_DEP_1)
	v_and_b32_e32 v7, 15, v7
	v_cmp_eq_u16_e32 vcc_lo, 0, v7
	v_and_b32_e32 v5, 7, v144
	s_delay_alu instid0(VALU_DEP_1) | instskip(NEXT) | instid1(VALU_DEP_1)
	v_clz_i32_u32_e32 v6, v5
	v_min_u32_e32 v6, 32, v6
	s_delay_alu instid0(VALU_DEP_1) | instskip(SKIP_2) | instid1(VALU_DEP_1)
	v_subrev_nc_u32_e32 v8, 28, v6
	v_sub_nc_u32_e32 v6, 29, v6
	s_wait_alu 0xfffd
	v_cndmask_b32_e32 v6, v7, v6, vcc_lo
	s_delay_alu instid0(VALU_DEP_3) | instskip(SKIP_1) | instid1(VALU_DEP_3)
	v_lshlrev_b32_e32 v8, v8, v5
	v_lshlrev_b32_e32 v7, 31, v9
	v_lshl_add_u32 v6, v6, 23, 0x3b800000
	s_delay_alu instid0(VALU_DEP_3) | instskip(NEXT) | instid1(VALU_DEP_1)
	v_and_b32_e32 v8, 7, v8
	v_cndmask_b32_e32 v5, v5, v8, vcc_lo
	s_delay_alu instid0(VALU_DEP_1) | instskip(NEXT) | instid1(VALU_DEP_1)
	v_lshlrev_b32_e32 v5, 20, v5
	v_or3_b32 v241, v7, v6, v5
.LBB11_323:
	s_or_b32 exec_lo, exec_lo, s1
	v_and_b32_e32 v255, 0xff, v238
	s_mov_b32 s0, 0
	s_mov_b32 s1, exec_lo
	s_delay_alu instid0(VALU_DEP_1)
	v_cmpx_lt_i16_e64 0x7f, v255
	s_xor_b32 s1, exec_lo, s1
	s_cbranch_execnz .LBB11_832
; %bb.324:
	s_or_saveexec_b32 s1, s1
	v_mov_b32_e32 v144, 0x7f800001
	s_xor_b32 exec_lo, exec_lo, s1
	s_cbranch_execnz .LBB11_835
.LBB11_325:
	s_or_b32 exec_lo, exec_lo, s1
	s_and_saveexec_b32 s1, s0
	s_cbranch_execz .LBB11_327
.LBB11_326:
	v_and_b32_e32 v5, 7, v238
	v_lshrrev_b16 v7, 3, v238
	v_lshrrev_b16 v9, 7, v238
	s_delay_alu instid0(VALU_DEP_3) | instskip(NEXT) | instid1(VALU_DEP_3)
	v_clz_i32_u32_e32 v6, v5
	v_and_b32_e32 v7, 15, v7
	s_delay_alu instid0(VALU_DEP_2) | instskip(NEXT) | instid1(VALU_DEP_2)
	v_min_u32_e32 v6, 32, v6
	v_cmp_eq_u16_e32 vcc_lo, 0, v7
	s_delay_alu instid0(VALU_DEP_2) | instskip(SKIP_1) | instid1(VALU_DEP_2)
	v_subrev_nc_u32_e32 v8, 28, v6
	v_sub_nc_u32_e32 v6, 29, v6
	v_lshlrev_b32_e32 v8, v8, v5
	s_wait_alu 0xfffd
	s_delay_alu instid0(VALU_DEP_2) | instskip(NEXT) | instid1(VALU_DEP_2)
	v_dual_cndmask_b32 v6, v7, v6 :: v_dual_lshlrev_b32 v7, 31, v9
	v_and_b32_e32 v8, 7, v8
	s_delay_alu instid0(VALU_DEP_2) | instskip(NEXT) | instid1(VALU_DEP_2)
	v_lshl_add_u32 v6, v6, 23, 0x3b800000
	v_cndmask_b32_e32 v5, v5, v8, vcc_lo
	s_delay_alu instid0(VALU_DEP_1) | instskip(NEXT) | instid1(VALU_DEP_1)
	v_lshlrev_b32_e32 v5, 20, v5
	v_or3_b32 v144, v7, v6, v5
.LBB11_327:
	s_or_b32 exec_lo, exec_lo, s1
	v_and_b32_e32 v255, 0xff, v237
	s_mov_b32 s0, 0
	s_mov_b32 s1, exec_lo
	s_delay_alu instid0(VALU_DEP_1)
	v_cmpx_lt_i16_e64 0x7f, v255
	s_xor_b32 s1, exec_lo, s1
	s_cbranch_execnz .LBB11_836
; %bb.328:
	s_or_saveexec_b32 s1, s1
	v_mov_b32_e32 v238, 0x7f800001
	s_xor_b32 exec_lo, exec_lo, s1
	s_cbranch_execnz .LBB11_839
.LBB11_329:
	s_or_b32 exec_lo, exec_lo, s1
	s_and_saveexec_b32 s1, s0
	s_cbranch_execz .LBB11_331
.LBB11_330:
	v_lshrrev_b16 v7, 3, v237
	v_lshrrev_b16 v9, 7, v237
	s_delay_alu instid0(VALU_DEP_2) | instskip(NEXT) | instid1(VALU_DEP_1)
	v_and_b32_e32 v7, 15, v7
	v_cmp_eq_u16_e32 vcc_lo, 0, v7
	v_and_b32_e32 v5, 7, v237
	s_delay_alu instid0(VALU_DEP_1) | instskip(NEXT) | instid1(VALU_DEP_1)
	v_clz_i32_u32_e32 v6, v5
	v_min_u32_e32 v6, 32, v6
	s_delay_alu instid0(VALU_DEP_1) | instskip(SKIP_2) | instid1(VALU_DEP_1)
	v_subrev_nc_u32_e32 v8, 28, v6
	v_sub_nc_u32_e32 v6, 29, v6
	s_wait_alu 0xfffd
	v_cndmask_b32_e32 v6, v7, v6, vcc_lo
	s_delay_alu instid0(VALU_DEP_3) | instskip(SKIP_1) | instid1(VALU_DEP_3)
	v_lshlrev_b32_e32 v8, v8, v5
	v_lshlrev_b32_e32 v7, 31, v9
	v_lshl_add_u32 v6, v6, 23, 0x3b800000
	s_delay_alu instid0(VALU_DEP_3) | instskip(NEXT) | instid1(VALU_DEP_1)
	v_and_b32_e32 v8, 7, v8
	v_cndmask_b32_e32 v5, v5, v8, vcc_lo
	s_delay_alu instid0(VALU_DEP_1) | instskip(NEXT) | instid1(VALU_DEP_1)
	v_lshlrev_b32_e32 v5, 20, v5
	v_or3_b32 v238, v7, v6, v5
.LBB11_331:
	s_or_b32 exec_lo, exec_lo, s1
	s_mov_b32 s1, 0
	s_mov_b32 s0, exec_lo
	v_cmpx_lt_i16_e64 0x7f, v235
	s_xor_b32 s0, exec_lo, s0
	s_cbranch_execnz .LBB11_840
; %bb.332:
	s_or_saveexec_b32 s0, s0
	v_mov_b32_e32 v237, 0x7f800001
	s_xor_b32 exec_lo, exec_lo, s0
	s_cbranch_execnz .LBB11_843
.LBB11_333:
	s_or_b32 exec_lo, exec_lo, s0
	s_and_saveexec_b32 s0, s1
	s_cbranch_execz .LBB11_335
.LBB11_334:
	v_lshrrev_b16 v7, 3, v235
	v_lshrrev_b16 v9, 7, v235
	s_delay_alu instid0(VALU_DEP_2) | instskip(NEXT) | instid1(VALU_DEP_1)
	v_and_b32_e32 v7, 15, v7
	v_cmp_eq_u16_e32 vcc_lo, 0, v7
	v_and_b32_e32 v5, 7, v235
	s_delay_alu instid0(VALU_DEP_1) | instskip(NEXT) | instid1(VALU_DEP_1)
	v_clz_i32_u32_e32 v6, v5
	v_min_u32_e32 v6, 32, v6
	s_delay_alu instid0(VALU_DEP_1) | instskip(SKIP_2) | instid1(VALU_DEP_1)
	v_subrev_nc_u32_e32 v8, 28, v6
	v_sub_nc_u32_e32 v6, 29, v6
	s_wait_alu 0xfffd
	v_cndmask_b32_e32 v6, v7, v6, vcc_lo
	s_delay_alu instid0(VALU_DEP_3) | instskip(SKIP_1) | instid1(VALU_DEP_3)
	v_lshlrev_b32_e32 v8, v8, v5
	v_lshlrev_b32_e32 v7, 31, v9
	v_lshl_add_u32 v6, v6, 23, 0x3b800000
	s_delay_alu instid0(VALU_DEP_3) | instskip(NEXT) | instid1(VALU_DEP_1)
	v_and_b32_e32 v8, 7, v8
	v_cndmask_b32_e32 v5, v5, v8, vcc_lo
	s_delay_alu instid0(VALU_DEP_1) | instskip(NEXT) | instid1(VALU_DEP_1)
	v_lshlrev_b32_e32 v5, 20, v5
	v_or3_b32 v237, v7, v6, v5
.LBB11_335:
	s_or_b32 exec_lo, exec_lo, s0
	v_and_b32_e32 v255, 0xff, v137
	s_mov_b32 s0, 0
	s_mov_b32 s1, exec_lo
	s_delay_alu instid0(VALU_DEP_1)
	v_cmpx_lt_i16_e64 0x7f, v255
	s_xor_b32 s1, exec_lo, s1
	s_cbranch_execnz .LBB11_844
; %bb.336:
	s_or_saveexec_b32 s1, s1
	v_mov_b32_e32 v235, 0x7f800001
	s_xor_b32 exec_lo, exec_lo, s1
	s_cbranch_execnz .LBB11_847
.LBB11_337:
	s_or_b32 exec_lo, exec_lo, s1
	s_and_saveexec_b32 s1, s0
	s_cbranch_execz .LBB11_339
.LBB11_338:
	v_lshrrev_b16 v7, 3, v137
	v_lshrrev_b16 v9, 7, v137
	s_delay_alu instid0(VALU_DEP_2) | instskip(NEXT) | instid1(VALU_DEP_1)
	v_and_b32_e32 v7, 15, v7
	v_cmp_eq_u16_e32 vcc_lo, 0, v7
	v_and_b32_e32 v5, 7, v137
	s_delay_alu instid0(VALU_DEP_1) | instskip(NEXT) | instid1(VALU_DEP_1)
	v_clz_i32_u32_e32 v6, v5
	v_min_u32_e32 v6, 32, v6
	s_delay_alu instid0(VALU_DEP_1) | instskip(SKIP_2) | instid1(VALU_DEP_1)
	v_subrev_nc_u32_e32 v8, 28, v6
	v_sub_nc_u32_e32 v6, 29, v6
	s_wait_alu 0xfffd
	v_cndmask_b32_e32 v6, v7, v6, vcc_lo
	s_delay_alu instid0(VALU_DEP_3) | instskip(SKIP_1) | instid1(VALU_DEP_3)
	v_lshlrev_b32_e32 v8, v8, v5
	v_lshlrev_b32_e32 v7, 31, v9
	v_lshl_add_u32 v6, v6, 23, 0x3b800000
	s_delay_alu instid0(VALU_DEP_3) | instskip(NEXT) | instid1(VALU_DEP_1)
	v_and_b32_e32 v8, 7, v8
	v_cndmask_b32_e32 v5, v5, v8, vcc_lo
	s_delay_alu instid0(VALU_DEP_1) | instskip(NEXT) | instid1(VALU_DEP_1)
	v_lshlrev_b32_e32 v5, 20, v5
	v_or3_b32 v235, v7, v6, v5
.LBB11_339:
	s_or_b32 exec_lo, exec_lo, s1
	v_and_b32_e32 v255, 0xff, v233
	s_mov_b32 s0, 0
	s_mov_b32 s1, exec_lo
	s_delay_alu instid0(VALU_DEP_1)
	v_cmpx_lt_i16_e64 0x7f, v255
	s_xor_b32 s1, exec_lo, s1
	s_cbranch_execnz .LBB11_848
; %bb.340:
	s_or_saveexec_b32 s1, s1
	v_mov_b32_e32 v137, 0x7f800001
	s_xor_b32 exec_lo, exec_lo, s1
	s_cbranch_execnz .LBB11_851
.LBB11_341:
	s_or_b32 exec_lo, exec_lo, s1
	s_and_saveexec_b32 s1, s0
	s_cbranch_execz .LBB11_343
.LBB11_342:
	v_lshrrev_b16 v7, 3, v233
	v_lshrrev_b16 v9, 7, v233
	s_delay_alu instid0(VALU_DEP_2) | instskip(NEXT) | instid1(VALU_DEP_1)
	v_and_b32_e32 v7, 15, v7
	v_cmp_eq_u16_e32 vcc_lo, 0, v7
	v_and_b32_e32 v5, 7, v233
	s_delay_alu instid0(VALU_DEP_1) | instskip(NEXT) | instid1(VALU_DEP_1)
	v_clz_i32_u32_e32 v6, v5
	v_min_u32_e32 v6, 32, v6
	s_delay_alu instid0(VALU_DEP_1) | instskip(SKIP_2) | instid1(VALU_DEP_1)
	v_subrev_nc_u32_e32 v8, 28, v6
	v_sub_nc_u32_e32 v6, 29, v6
	s_wait_alu 0xfffd
	v_cndmask_b32_e32 v6, v7, v6, vcc_lo
	s_delay_alu instid0(VALU_DEP_3) | instskip(SKIP_1) | instid1(VALU_DEP_3)
	v_lshlrev_b32_e32 v8, v8, v5
	v_lshlrev_b32_e32 v7, 31, v9
	v_lshl_add_u32 v6, v6, 23, 0x3b800000
	s_delay_alu instid0(VALU_DEP_3) | instskip(NEXT) | instid1(VALU_DEP_1)
	v_and_b32_e32 v8, 7, v8
	v_cndmask_b32_e32 v5, v5, v8, vcc_lo
	s_delay_alu instid0(VALU_DEP_1) | instskip(NEXT) | instid1(VALU_DEP_1)
	v_lshlrev_b32_e32 v5, 20, v5
	v_or3_b32 v137, v7, v6, v5
.LBB11_343:
	s_or_b32 exec_lo, exec_lo, s1
	v_and_b32_e32 v255, 0xff, v231
	s_mov_b32 s0, 0
	s_mov_b32 s1, exec_lo
	s_delay_alu instid0(VALU_DEP_1)
	v_cmpx_lt_i16_e64 0x7f, v255
	s_xor_b32 s1, exec_lo, s1
	s_cbranch_execnz .LBB11_852
; %bb.344:
	s_or_saveexec_b32 s1, s1
	v_mov_b32_e32 v233, 0x7f800001
	s_xor_b32 exec_lo, exec_lo, s1
	s_cbranch_execnz .LBB11_855
.LBB11_345:
	s_or_b32 exec_lo, exec_lo, s1
	s_and_saveexec_b32 s1, s0
	s_cbranch_execz .LBB11_347
.LBB11_346:
	v_lshrrev_b16 v7, 3, v231
	v_lshrrev_b16 v9, 7, v231
	s_delay_alu instid0(VALU_DEP_2) | instskip(NEXT) | instid1(VALU_DEP_1)
	v_and_b32_e32 v7, 15, v7
	v_cmp_eq_u16_e32 vcc_lo, 0, v7
	v_and_b32_e32 v5, 7, v231
	s_delay_alu instid0(VALU_DEP_1) | instskip(NEXT) | instid1(VALU_DEP_1)
	v_clz_i32_u32_e32 v6, v5
	v_min_u32_e32 v6, 32, v6
	s_delay_alu instid0(VALU_DEP_1) | instskip(SKIP_2) | instid1(VALU_DEP_1)
	v_subrev_nc_u32_e32 v8, 28, v6
	v_sub_nc_u32_e32 v6, 29, v6
	s_wait_alu 0xfffd
	v_cndmask_b32_e32 v6, v7, v6, vcc_lo
	s_delay_alu instid0(VALU_DEP_3) | instskip(SKIP_1) | instid1(VALU_DEP_3)
	v_lshlrev_b32_e32 v8, v8, v5
	v_lshlrev_b32_e32 v7, 31, v9
	v_lshl_add_u32 v6, v6, 23, 0x3b800000
	s_delay_alu instid0(VALU_DEP_3) | instskip(NEXT) | instid1(VALU_DEP_1)
	v_and_b32_e32 v8, 7, v8
	v_cndmask_b32_e32 v5, v5, v8, vcc_lo
	s_delay_alu instid0(VALU_DEP_1) | instskip(NEXT) | instid1(VALU_DEP_1)
	v_lshlrev_b32_e32 v5, 20, v5
	v_or3_b32 v233, v7, v6, v5
.LBB11_347:
	s_or_b32 exec_lo, exec_lo, s1
	s_mov_b32 s1, 0
	s_mov_b32 s0, exec_lo
	v_cmpx_lt_i16_e64 0x7f, v230
	s_xor_b32 s0, exec_lo, s0
	s_cbranch_execnz .LBB11_856
; %bb.348:
	s_or_saveexec_b32 s0, s0
	v_mov_b32_e32 v231, 0x7f800001
	s_xor_b32 exec_lo, exec_lo, s0
	s_cbranch_execnz .LBB11_859
.LBB11_349:
	s_or_b32 exec_lo, exec_lo, s0
	s_and_saveexec_b32 s0, s1
	s_cbranch_execz .LBB11_351
.LBB11_350:
	v_and_b32_e32 v5, 7, v230
	v_lshrrev_b16 v7, 3, v230
	v_lshrrev_b16 v9, 7, v230
	s_delay_alu instid0(VALU_DEP_3) | instskip(NEXT) | instid1(VALU_DEP_3)
	v_clz_i32_u32_e32 v6, v5
	v_and_b32_e32 v7, 15, v7
	s_delay_alu instid0(VALU_DEP_2) | instskip(NEXT) | instid1(VALU_DEP_2)
	v_min_u32_e32 v6, 32, v6
	v_cmp_eq_u16_e32 vcc_lo, 0, v7
	s_delay_alu instid0(VALU_DEP_2) | instskip(SKIP_1) | instid1(VALU_DEP_2)
	v_subrev_nc_u32_e32 v8, 28, v6
	v_sub_nc_u32_e32 v6, 29, v6
	v_lshlrev_b32_e32 v8, v8, v5
	s_wait_alu 0xfffd
	s_delay_alu instid0(VALU_DEP_2) | instskip(NEXT) | instid1(VALU_DEP_2)
	v_dual_cndmask_b32 v6, v7, v6 :: v_dual_lshlrev_b32 v7, 31, v9
	v_and_b32_e32 v8, 7, v8
	s_delay_alu instid0(VALU_DEP_2) | instskip(NEXT) | instid1(VALU_DEP_2)
	v_lshl_add_u32 v6, v6, 23, 0x3b800000
	v_cndmask_b32_e32 v5, v5, v8, vcc_lo
	s_delay_alu instid0(VALU_DEP_1) | instskip(NEXT) | instid1(VALU_DEP_1)
	v_lshlrev_b32_e32 v5, 20, v5
	v_or3_b32 v231, v7, v6, v5
.LBB11_351:
	s_or_b32 exec_lo, exec_lo, s0
	v_and_b32_e32 v255, 0xff, v138
	s_mov_b32 s0, 0
	s_mov_b32 s1, exec_lo
	s_delay_alu instid0(VALU_DEP_1)
	v_cmpx_lt_i16_e64 0x7f, v255
	s_xor_b32 s1, exec_lo, s1
	s_cbranch_execnz .LBB11_860
; %bb.352:
	s_or_saveexec_b32 s1, s1
	v_mov_b32_e32 v230, 0x7f800001
	s_xor_b32 exec_lo, exec_lo, s1
	s_cbranch_execnz .LBB11_863
.LBB11_353:
	s_or_b32 exec_lo, exec_lo, s1
	s_and_saveexec_b32 s1, s0
	s_cbranch_execz .LBB11_355
.LBB11_354:
	v_and_b32_e32 v5, 7, v138
	v_lshrrev_b16 v7, 3, v138
	v_lshrrev_b16 v9, 7, v138
	s_delay_alu instid0(VALU_DEP_3) | instskip(NEXT) | instid1(VALU_DEP_3)
	v_clz_i32_u32_e32 v6, v5
	v_and_b32_e32 v7, 15, v7
	s_delay_alu instid0(VALU_DEP_2) | instskip(NEXT) | instid1(VALU_DEP_2)
	v_min_u32_e32 v6, 32, v6
	v_cmp_eq_u16_e32 vcc_lo, 0, v7
	s_delay_alu instid0(VALU_DEP_2) | instskip(SKIP_1) | instid1(VALU_DEP_2)
	v_subrev_nc_u32_e32 v8, 28, v6
	v_sub_nc_u32_e32 v6, 29, v6
	v_lshlrev_b32_e32 v8, v8, v5
	s_wait_alu 0xfffd
	s_delay_alu instid0(VALU_DEP_2) | instskip(NEXT) | instid1(VALU_DEP_2)
	v_dual_cndmask_b32 v6, v7, v6 :: v_dual_lshlrev_b32 v7, 31, v9
	v_and_b32_e32 v8, 7, v8
	s_delay_alu instid0(VALU_DEP_2) | instskip(NEXT) | instid1(VALU_DEP_2)
	v_lshl_add_u32 v6, v6, 23, 0x3b800000
	v_cndmask_b32_e32 v5, v5, v8, vcc_lo
	s_delay_alu instid0(VALU_DEP_1) | instskip(NEXT) | instid1(VALU_DEP_1)
	v_lshlrev_b32_e32 v5, 20, v5
	v_or3_b32 v230, v7, v6, v5
.LBB11_355:
	s_or_b32 exec_lo, exec_lo, s1
	v_and_b32_e32 v255, 0xff, v227
	s_mov_b32 s0, 0
	s_mov_b32 s1, exec_lo
	s_delay_alu instid0(VALU_DEP_1)
	v_cmpx_lt_i16_e64 0x7f, v255
	s_xor_b32 s1, exec_lo, s1
	s_cbranch_execnz .LBB11_864
; %bb.356:
	s_or_saveexec_b32 s1, s1
	v_mov_b32_e32 v138, 0x7f800001
	s_xor_b32 exec_lo, exec_lo, s1
	s_cbranch_execnz .LBB11_867
.LBB11_357:
	s_or_b32 exec_lo, exec_lo, s1
	s_and_saveexec_b32 s1, s0
	s_cbranch_execz .LBB11_359
.LBB11_358:
	v_lshrrev_b16 v7, 3, v227
	v_lshrrev_b16 v9, 7, v227
	s_delay_alu instid0(VALU_DEP_2) | instskip(NEXT) | instid1(VALU_DEP_1)
	v_and_b32_e32 v7, 15, v7
	v_cmp_eq_u16_e32 vcc_lo, 0, v7
	v_and_b32_e32 v5, 7, v227
	s_delay_alu instid0(VALU_DEP_1) | instskip(NEXT) | instid1(VALU_DEP_1)
	v_clz_i32_u32_e32 v6, v5
	v_min_u32_e32 v6, 32, v6
	s_delay_alu instid0(VALU_DEP_1) | instskip(SKIP_2) | instid1(VALU_DEP_1)
	v_subrev_nc_u32_e32 v8, 28, v6
	v_sub_nc_u32_e32 v6, 29, v6
	s_wait_alu 0xfffd
	v_cndmask_b32_e32 v6, v7, v6, vcc_lo
	s_delay_alu instid0(VALU_DEP_3) | instskip(SKIP_1) | instid1(VALU_DEP_3)
	v_lshlrev_b32_e32 v8, v8, v5
	v_lshlrev_b32_e32 v7, 31, v9
	v_lshl_add_u32 v6, v6, 23, 0x3b800000
	s_delay_alu instid0(VALU_DEP_3) | instskip(NEXT) | instid1(VALU_DEP_1)
	v_and_b32_e32 v8, 7, v8
	v_cndmask_b32_e32 v5, v5, v8, vcc_lo
	s_delay_alu instid0(VALU_DEP_1) | instskip(NEXT) | instid1(VALU_DEP_1)
	v_lshlrev_b32_e32 v5, 20, v5
	v_or3_b32 v138, v7, v6, v5
.LBB11_359:
	s_or_b32 exec_lo, exec_lo, s1
	v_and_b32_e32 v255, 0xff, v225
	s_mov_b32 s0, 0
	s_mov_b32 s1, exec_lo
	s_delay_alu instid0(VALU_DEP_1)
	v_cmpx_lt_i16_e64 0x7f, v255
	s_xor_b32 s1, exec_lo, s1
	s_cbranch_execnz .LBB11_868
; %bb.360:
	s_or_saveexec_b32 s1, s1
	v_mov_b32_e32 v227, 0x7f800001
	s_xor_b32 exec_lo, exec_lo, s1
	s_cbranch_execnz .LBB11_871
.LBB11_361:
	s_or_b32 exec_lo, exec_lo, s1
	s_and_saveexec_b32 s1, s0
	s_cbranch_execz .LBB11_363
.LBB11_362:
	v_lshrrev_b16 v7, 3, v225
	v_lshrrev_b16 v9, 7, v225
	s_delay_alu instid0(VALU_DEP_2) | instskip(NEXT) | instid1(VALU_DEP_1)
	v_and_b32_e32 v7, 15, v7
	v_cmp_eq_u16_e32 vcc_lo, 0, v7
	v_and_b32_e32 v5, 7, v225
	s_delay_alu instid0(VALU_DEP_1) | instskip(NEXT) | instid1(VALU_DEP_1)
	v_clz_i32_u32_e32 v6, v5
	v_min_u32_e32 v6, 32, v6
	s_delay_alu instid0(VALU_DEP_1) | instskip(SKIP_2) | instid1(VALU_DEP_1)
	v_subrev_nc_u32_e32 v8, 28, v6
	v_sub_nc_u32_e32 v6, 29, v6
	s_wait_alu 0xfffd
	v_cndmask_b32_e32 v6, v7, v6, vcc_lo
	s_delay_alu instid0(VALU_DEP_3) | instskip(SKIP_1) | instid1(VALU_DEP_3)
	v_lshlrev_b32_e32 v8, v8, v5
	v_lshlrev_b32_e32 v7, 31, v9
	v_lshl_add_u32 v6, v6, 23, 0x3b800000
	s_delay_alu instid0(VALU_DEP_3) | instskip(NEXT) | instid1(VALU_DEP_1)
	v_and_b32_e32 v8, 7, v8
	v_cndmask_b32_e32 v5, v5, v8, vcc_lo
	s_delay_alu instid0(VALU_DEP_1) | instskip(NEXT) | instid1(VALU_DEP_1)
	v_lshlrev_b32_e32 v5, 20, v5
	v_or3_b32 v227, v7, v6, v5
.LBB11_363:
	s_or_b32 exec_lo, exec_lo, s1
	s_mov_b32 s1, 0
	s_mov_b32 s0, exec_lo
	v_cmpx_lt_i16_e64 0x7f, v224
	s_xor_b32 s0, exec_lo, s0
	s_cbranch_execnz .LBB11_872
; %bb.364:
	s_or_saveexec_b32 s0, s0
	v_mov_b32_e32 v225, 0x7f800001
	s_xor_b32 exec_lo, exec_lo, s0
	s_cbranch_execnz .LBB11_875
.LBB11_365:
	s_or_b32 exec_lo, exec_lo, s0
	s_and_saveexec_b32 s0, s1
	s_cbranch_execz .LBB11_367
.LBB11_366:
	v_lshrrev_b16 v7, 3, v224
	v_lshrrev_b16 v9, 7, v224
	s_delay_alu instid0(VALU_DEP_2) | instskip(NEXT) | instid1(VALU_DEP_1)
	v_and_b32_e32 v7, 15, v7
	v_cmp_eq_u16_e32 vcc_lo, 0, v7
	v_and_b32_e32 v5, 7, v224
	s_delay_alu instid0(VALU_DEP_1) | instskip(NEXT) | instid1(VALU_DEP_1)
	v_clz_i32_u32_e32 v6, v5
	v_min_u32_e32 v6, 32, v6
	s_delay_alu instid0(VALU_DEP_1) | instskip(SKIP_2) | instid1(VALU_DEP_1)
	v_subrev_nc_u32_e32 v8, 28, v6
	v_sub_nc_u32_e32 v6, 29, v6
	s_wait_alu 0xfffd
	v_cndmask_b32_e32 v6, v7, v6, vcc_lo
	s_delay_alu instid0(VALU_DEP_3) | instskip(SKIP_1) | instid1(VALU_DEP_3)
	v_lshlrev_b32_e32 v8, v8, v5
	v_lshlrev_b32_e32 v7, 31, v9
	v_lshl_add_u32 v6, v6, 23, 0x3b800000
	s_delay_alu instid0(VALU_DEP_3) | instskip(NEXT) | instid1(VALU_DEP_1)
	v_and_b32_e32 v8, 7, v8
	v_cndmask_b32_e32 v5, v5, v8, vcc_lo
	s_delay_alu instid0(VALU_DEP_1) | instskip(NEXT) | instid1(VALU_DEP_1)
	v_lshlrev_b32_e32 v5, 20, v5
	v_or3_b32 v225, v7, v6, v5
.LBB11_367:
	s_or_b32 exec_lo, exec_lo, s0
	v_and_b32_e32 v255, 0xff, v139
	s_mov_b32 s0, 0
	s_mov_b32 s1, exec_lo
	s_delay_alu instid0(VALU_DEP_1)
	v_cmpx_lt_i16_e64 0x7f, v255
	s_xor_b32 s1, exec_lo, s1
	s_cbranch_execnz .LBB11_876
; %bb.368:
	s_or_saveexec_b32 s1, s1
	v_mov_b32_e32 v224, 0x7f800001
	s_xor_b32 exec_lo, exec_lo, s1
	s_cbranch_execnz .LBB11_879
.LBB11_369:
	s_or_b32 exec_lo, exec_lo, s1
	s_and_saveexec_b32 s1, s0
	s_cbranch_execz .LBB11_371
.LBB11_370:
	v_lshrrev_b16 v7, 3, v139
	v_lshrrev_b16 v9, 7, v139
	s_delay_alu instid0(VALU_DEP_2) | instskip(NEXT) | instid1(VALU_DEP_1)
	v_and_b32_e32 v7, 15, v7
	v_cmp_eq_u16_e32 vcc_lo, 0, v7
	v_and_b32_e32 v5, 7, v139
	s_delay_alu instid0(VALU_DEP_1) | instskip(NEXT) | instid1(VALU_DEP_1)
	v_clz_i32_u32_e32 v6, v5
	v_min_u32_e32 v6, 32, v6
	s_delay_alu instid0(VALU_DEP_1) | instskip(SKIP_2) | instid1(VALU_DEP_1)
	v_subrev_nc_u32_e32 v8, 28, v6
	v_sub_nc_u32_e32 v6, 29, v6
	s_wait_alu 0xfffd
	v_cndmask_b32_e32 v6, v7, v6, vcc_lo
	s_delay_alu instid0(VALU_DEP_3) | instskip(SKIP_1) | instid1(VALU_DEP_3)
	v_lshlrev_b32_e32 v8, v8, v5
	v_lshlrev_b32_e32 v7, 31, v9
	v_lshl_add_u32 v6, v6, 23, 0x3b800000
	s_delay_alu instid0(VALU_DEP_3) | instskip(NEXT) | instid1(VALU_DEP_1)
	v_and_b32_e32 v8, 7, v8
	v_cndmask_b32_e32 v5, v5, v8, vcc_lo
	s_delay_alu instid0(VALU_DEP_1) | instskip(NEXT) | instid1(VALU_DEP_1)
	v_lshlrev_b32_e32 v5, 20, v5
	v_or3_b32 v224, v7, v6, v5
.LBB11_371:
	s_or_b32 exec_lo, exec_lo, s1
	v_and_b32_e32 v255, 0xff, v221
	s_mov_b32 s0, 0
	s_mov_b32 s1, exec_lo
	s_delay_alu instid0(VALU_DEP_1)
	v_cmpx_lt_i16_e64 0x7f, v255
	s_xor_b32 s1, exec_lo, s1
	s_cbranch_execnz .LBB11_880
; %bb.372:
	s_or_saveexec_b32 s1, s1
	v_mov_b32_e32 v139, 0x7f800001
	s_xor_b32 exec_lo, exec_lo, s1
	s_cbranch_execnz .LBB11_883
.LBB11_373:
	s_or_b32 exec_lo, exec_lo, s1
	s_and_saveexec_b32 s1, s0
	s_cbranch_execz .LBB11_375
.LBB11_374:
	v_lshrrev_b16 v7, 3, v221
	v_lshrrev_b16 v9, 7, v221
	s_delay_alu instid0(VALU_DEP_2) | instskip(NEXT) | instid1(VALU_DEP_1)
	v_and_b32_e32 v7, 15, v7
	v_cmp_eq_u16_e32 vcc_lo, 0, v7
	v_and_b32_e32 v5, 7, v221
	s_delay_alu instid0(VALU_DEP_1) | instskip(NEXT) | instid1(VALU_DEP_1)
	v_clz_i32_u32_e32 v6, v5
	v_min_u32_e32 v6, 32, v6
	s_delay_alu instid0(VALU_DEP_1) | instskip(SKIP_2) | instid1(VALU_DEP_1)
	v_subrev_nc_u32_e32 v8, 28, v6
	v_sub_nc_u32_e32 v6, 29, v6
	s_wait_alu 0xfffd
	v_cndmask_b32_e32 v6, v7, v6, vcc_lo
	s_delay_alu instid0(VALU_DEP_3) | instskip(SKIP_1) | instid1(VALU_DEP_3)
	v_lshlrev_b32_e32 v8, v8, v5
	v_lshlrev_b32_e32 v7, 31, v9
	v_lshl_add_u32 v6, v6, 23, 0x3b800000
	s_delay_alu instid0(VALU_DEP_3) | instskip(NEXT) | instid1(VALU_DEP_1)
	v_and_b32_e32 v8, 7, v8
	v_cndmask_b32_e32 v5, v5, v8, vcc_lo
	s_delay_alu instid0(VALU_DEP_1) | instskip(NEXT) | instid1(VALU_DEP_1)
	v_lshlrev_b32_e32 v5, 20, v5
	v_or3_b32 v139, v7, v6, v5
.LBB11_375:
	s_or_b32 exec_lo, exec_lo, s1
	v_and_b32_e32 v255, 0xff, v219
	s_mov_b32 s0, 0
	s_mov_b32 s1, exec_lo
	s_delay_alu instid0(VALU_DEP_1)
	v_cmpx_lt_i16_e64 0x7f, v255
	s_xor_b32 s1, exec_lo, s1
	s_cbranch_execnz .LBB11_884
; %bb.376:
	s_or_saveexec_b32 s1, s1
	v_mov_b32_e32 v221, 0x7f800001
	s_xor_b32 exec_lo, exec_lo, s1
	s_cbranch_execnz .LBB11_887
.LBB11_377:
	s_or_b32 exec_lo, exec_lo, s1
	s_and_saveexec_b32 s1, s0
	s_cbranch_execz .LBB11_379
.LBB11_378:
	v_lshrrev_b16 v7, 3, v219
	v_lshrrev_b16 v9, 7, v219
	s_delay_alu instid0(VALU_DEP_2) | instskip(NEXT) | instid1(VALU_DEP_1)
	v_and_b32_e32 v7, 15, v7
	v_cmp_eq_u16_e32 vcc_lo, 0, v7
	v_and_b32_e32 v5, 7, v219
	s_delay_alu instid0(VALU_DEP_1) | instskip(NEXT) | instid1(VALU_DEP_1)
	v_clz_i32_u32_e32 v6, v5
	v_min_u32_e32 v6, 32, v6
	s_delay_alu instid0(VALU_DEP_1) | instskip(SKIP_2) | instid1(VALU_DEP_1)
	v_subrev_nc_u32_e32 v8, 28, v6
	v_sub_nc_u32_e32 v6, 29, v6
	s_wait_alu 0xfffd
	v_cndmask_b32_e32 v6, v7, v6, vcc_lo
	s_delay_alu instid0(VALU_DEP_3) | instskip(SKIP_1) | instid1(VALU_DEP_3)
	v_lshlrev_b32_e32 v8, v8, v5
	v_lshlrev_b32_e32 v7, 31, v9
	v_lshl_add_u32 v6, v6, 23, 0x3b800000
	s_delay_alu instid0(VALU_DEP_3) | instskip(NEXT) | instid1(VALU_DEP_1)
	v_and_b32_e32 v8, 7, v8
	v_cndmask_b32_e32 v5, v5, v8, vcc_lo
	s_delay_alu instid0(VALU_DEP_1) | instskip(NEXT) | instid1(VALU_DEP_1)
	v_lshlrev_b32_e32 v5, 20, v5
	v_or3_b32 v221, v7, v6, v5
.LBB11_379:
	s_or_b32 exec_lo, exec_lo, s1
	s_mov_b32 s1, 0
	s_mov_b32 s0, exec_lo
	v_cmpx_lt_i16_e64 0x7f, v218
	s_xor_b32 s0, exec_lo, s0
	s_cbranch_execnz .LBB11_888
; %bb.380:
	s_or_saveexec_b32 s0, s0
	v_mov_b32_e32 v219, 0x7f800001
	s_xor_b32 exec_lo, exec_lo, s0
	s_cbranch_execnz .LBB11_891
.LBB11_381:
	s_or_b32 exec_lo, exec_lo, s0
	s_and_saveexec_b32 s0, s1
	s_cbranch_execz .LBB11_383
.LBB11_382:
	v_and_b32_e32 v5, 7, v218
	v_lshrrev_b16 v7, 3, v218
	v_lshrrev_b16 v9, 7, v218
	s_delay_alu instid0(VALU_DEP_3) | instskip(NEXT) | instid1(VALU_DEP_3)
	v_clz_i32_u32_e32 v6, v5
	v_and_b32_e32 v7, 15, v7
	s_delay_alu instid0(VALU_DEP_2) | instskip(NEXT) | instid1(VALU_DEP_2)
	v_min_u32_e32 v6, 32, v6
	v_cmp_eq_u16_e32 vcc_lo, 0, v7
	s_delay_alu instid0(VALU_DEP_2) | instskip(SKIP_1) | instid1(VALU_DEP_2)
	v_subrev_nc_u32_e32 v8, 28, v6
	v_sub_nc_u32_e32 v6, 29, v6
	v_lshlrev_b32_e32 v8, v8, v5
	s_wait_alu 0xfffd
	s_delay_alu instid0(VALU_DEP_2) | instskip(NEXT) | instid1(VALU_DEP_2)
	v_dual_cndmask_b32 v6, v7, v6 :: v_dual_lshlrev_b32 v7, 31, v9
	v_and_b32_e32 v8, 7, v8
	s_delay_alu instid0(VALU_DEP_2) | instskip(NEXT) | instid1(VALU_DEP_2)
	v_lshl_add_u32 v6, v6, 23, 0x3b800000
	v_cndmask_b32_e32 v5, v5, v8, vcc_lo
	s_delay_alu instid0(VALU_DEP_1) | instskip(NEXT) | instid1(VALU_DEP_1)
	v_lshlrev_b32_e32 v5, 20, v5
	v_or3_b32 v219, v7, v6, v5
.LBB11_383:
	s_or_b32 exec_lo, exec_lo, s0
	v_and_b32_e32 v255, 0xff, v140
	s_mov_b32 s0, 0
	s_mov_b32 s1, exec_lo
	s_delay_alu instid0(VALU_DEP_1)
	v_cmpx_lt_i16_e64 0x7f, v255
	s_xor_b32 s1, exec_lo, s1
	s_cbranch_execnz .LBB11_892
; %bb.384:
	s_or_saveexec_b32 s1, s1
	v_mov_b32_e32 v218, 0x7f800001
	s_xor_b32 exec_lo, exec_lo, s1
	s_cbranch_execnz .LBB11_895
.LBB11_385:
	s_or_b32 exec_lo, exec_lo, s1
	s_and_saveexec_b32 s1, s0
	s_cbranch_execz .LBB11_387
.LBB11_386:
	v_lshrrev_b16 v7, 3, v140
	v_lshrrev_b16 v9, 7, v140
	s_delay_alu instid0(VALU_DEP_2) | instskip(NEXT) | instid1(VALU_DEP_1)
	v_and_b32_e32 v7, 15, v7
	v_cmp_eq_u16_e32 vcc_lo, 0, v7
	v_and_b32_e32 v5, 7, v140
	s_delay_alu instid0(VALU_DEP_1) | instskip(NEXT) | instid1(VALU_DEP_1)
	v_clz_i32_u32_e32 v6, v5
	v_min_u32_e32 v6, 32, v6
	s_delay_alu instid0(VALU_DEP_1) | instskip(SKIP_2) | instid1(VALU_DEP_1)
	v_subrev_nc_u32_e32 v8, 28, v6
	v_sub_nc_u32_e32 v6, 29, v6
	s_wait_alu 0xfffd
	v_cndmask_b32_e32 v6, v7, v6, vcc_lo
	s_delay_alu instid0(VALU_DEP_3) | instskip(SKIP_1) | instid1(VALU_DEP_3)
	v_lshlrev_b32_e32 v8, v8, v5
	v_lshlrev_b32_e32 v7, 31, v9
	v_lshl_add_u32 v6, v6, 23, 0x3b800000
	s_delay_alu instid0(VALU_DEP_3) | instskip(NEXT) | instid1(VALU_DEP_1)
	v_and_b32_e32 v8, 7, v8
	v_cndmask_b32_e32 v5, v5, v8, vcc_lo
	s_delay_alu instid0(VALU_DEP_1) | instskip(NEXT) | instid1(VALU_DEP_1)
	v_lshlrev_b32_e32 v5, 20, v5
	v_or3_b32 v218, v7, v6, v5
.LBB11_387:
	s_or_b32 exec_lo, exec_lo, s1
	v_and_b32_e32 v255, 0xff, v215
	s_mov_b32 s0, 0
	s_mov_b32 s1, exec_lo
	s_delay_alu instid0(VALU_DEP_1)
	v_cmpx_lt_i16_e64 0x7f, v255
	s_xor_b32 s1, exec_lo, s1
	s_cbranch_execnz .LBB11_896
; %bb.388:
	s_or_saveexec_b32 s1, s1
	v_mov_b32_e32 v140, 0x7f800001
	s_xor_b32 exec_lo, exec_lo, s1
	s_cbranch_execnz .LBB11_899
.LBB11_389:
	s_or_b32 exec_lo, exec_lo, s1
	s_and_saveexec_b32 s1, s0
	s_cbranch_execz .LBB11_391
.LBB11_390:
	v_lshrrev_b16 v7, 3, v215
	v_lshrrev_b16 v9, 7, v215
	s_delay_alu instid0(VALU_DEP_2) | instskip(NEXT) | instid1(VALU_DEP_1)
	v_and_b32_e32 v7, 15, v7
	v_cmp_eq_u16_e32 vcc_lo, 0, v7
	v_and_b32_e32 v5, 7, v215
	s_delay_alu instid0(VALU_DEP_1) | instskip(NEXT) | instid1(VALU_DEP_1)
	v_clz_i32_u32_e32 v6, v5
	v_min_u32_e32 v6, 32, v6
	s_delay_alu instid0(VALU_DEP_1) | instskip(SKIP_2) | instid1(VALU_DEP_1)
	v_subrev_nc_u32_e32 v8, 28, v6
	v_sub_nc_u32_e32 v6, 29, v6
	s_wait_alu 0xfffd
	v_cndmask_b32_e32 v6, v7, v6, vcc_lo
	s_delay_alu instid0(VALU_DEP_3) | instskip(SKIP_1) | instid1(VALU_DEP_3)
	v_lshlrev_b32_e32 v8, v8, v5
	v_lshlrev_b32_e32 v7, 31, v9
	v_lshl_add_u32 v6, v6, 23, 0x3b800000
	s_delay_alu instid0(VALU_DEP_3) | instskip(NEXT) | instid1(VALU_DEP_1)
	v_and_b32_e32 v8, 7, v8
	v_cndmask_b32_e32 v5, v5, v8, vcc_lo
	s_delay_alu instid0(VALU_DEP_1) | instskip(NEXT) | instid1(VALU_DEP_1)
	v_lshlrev_b32_e32 v5, 20, v5
	v_or3_b32 v140, v7, v6, v5
.LBB11_391:
	s_or_b32 exec_lo, exec_lo, s1
	v_and_b32_e32 v255, 0xff, v213
	s_mov_b32 s0, 0
	s_mov_b32 s1, exec_lo
	s_delay_alu instid0(VALU_DEP_1)
	v_cmpx_lt_i16_e64 0x7f, v255
	s_xor_b32 s1, exec_lo, s1
	s_cbranch_execnz .LBB11_900
; %bb.392:
	s_or_saveexec_b32 s1, s1
	v_mov_b32_e32 v215, 0x7f800001
	s_xor_b32 exec_lo, exec_lo, s1
	s_cbranch_execnz .LBB11_903
.LBB11_393:
	s_or_b32 exec_lo, exec_lo, s1
	s_and_saveexec_b32 s1, s0
	s_cbranch_execz .LBB11_395
.LBB11_394:
	v_lshrrev_b16 v7, 3, v213
	v_lshrrev_b16 v9, 7, v213
	s_delay_alu instid0(VALU_DEP_2) | instskip(NEXT) | instid1(VALU_DEP_1)
	v_and_b32_e32 v7, 15, v7
	v_cmp_eq_u16_e32 vcc_lo, 0, v7
	v_and_b32_e32 v5, 7, v213
	s_delay_alu instid0(VALU_DEP_1) | instskip(NEXT) | instid1(VALU_DEP_1)
	v_clz_i32_u32_e32 v6, v5
	v_min_u32_e32 v6, 32, v6
	s_delay_alu instid0(VALU_DEP_1) | instskip(SKIP_2) | instid1(VALU_DEP_1)
	v_subrev_nc_u32_e32 v8, 28, v6
	v_sub_nc_u32_e32 v6, 29, v6
	s_wait_alu 0xfffd
	v_cndmask_b32_e32 v6, v7, v6, vcc_lo
	s_delay_alu instid0(VALU_DEP_3) | instskip(SKIP_1) | instid1(VALU_DEP_3)
	v_lshlrev_b32_e32 v8, v8, v5
	v_lshlrev_b32_e32 v7, 31, v9
	v_lshl_add_u32 v6, v6, 23, 0x3b800000
	s_delay_alu instid0(VALU_DEP_3) | instskip(NEXT) | instid1(VALU_DEP_1)
	v_and_b32_e32 v8, 7, v8
	v_cndmask_b32_e32 v5, v5, v8, vcc_lo
	s_delay_alu instid0(VALU_DEP_1) | instskip(NEXT) | instid1(VALU_DEP_1)
	v_lshlrev_b32_e32 v5, 20, v5
	v_or3_b32 v215, v7, v6, v5
.LBB11_395:
	s_or_b32 exec_lo, exec_lo, s1
	s_mov_b32 s1, 0
	s_mov_b32 s0, exec_lo
	v_cmpx_lt_i16_e64 0x7f, v212
	s_xor_b32 s0, exec_lo, s0
	s_cbranch_execnz .LBB11_904
; %bb.396:
	s_or_saveexec_b32 s0, s0
	v_mov_b32_e32 v213, 0x7f800001
	s_xor_b32 exec_lo, exec_lo, s0
	s_cbranch_execnz .LBB11_907
.LBB11_397:
	s_or_b32 exec_lo, exec_lo, s0
	s_and_saveexec_b32 s0, s1
	s_cbranch_execz .LBB11_399
.LBB11_398:
	v_lshrrev_b16 v7, 3, v212
	v_lshrrev_b16 v9, 7, v212
	s_delay_alu instid0(VALU_DEP_2) | instskip(NEXT) | instid1(VALU_DEP_1)
	v_and_b32_e32 v7, 15, v7
	v_cmp_eq_u16_e32 vcc_lo, 0, v7
	v_and_b32_e32 v5, 7, v212
	s_delay_alu instid0(VALU_DEP_1) | instskip(NEXT) | instid1(VALU_DEP_1)
	v_clz_i32_u32_e32 v6, v5
	v_min_u32_e32 v6, 32, v6
	s_delay_alu instid0(VALU_DEP_1) | instskip(SKIP_2) | instid1(VALU_DEP_1)
	v_subrev_nc_u32_e32 v8, 28, v6
	v_sub_nc_u32_e32 v6, 29, v6
	s_wait_alu 0xfffd
	v_cndmask_b32_e32 v6, v7, v6, vcc_lo
	s_delay_alu instid0(VALU_DEP_3) | instskip(SKIP_1) | instid1(VALU_DEP_3)
	v_lshlrev_b32_e32 v8, v8, v5
	v_lshlrev_b32_e32 v7, 31, v9
	v_lshl_add_u32 v6, v6, 23, 0x3b800000
	s_delay_alu instid0(VALU_DEP_3) | instskip(NEXT) | instid1(VALU_DEP_1)
	v_and_b32_e32 v8, 7, v8
	v_cndmask_b32_e32 v5, v5, v8, vcc_lo
	s_delay_alu instid0(VALU_DEP_1) | instskip(NEXT) | instid1(VALU_DEP_1)
	v_lshlrev_b32_e32 v5, 20, v5
	v_or3_b32 v213, v7, v6, v5
.LBB11_399:
	s_or_b32 exec_lo, exec_lo, s0
	v_and_b32_e32 v255, 0xff, v133
	s_mov_b32 s0, 0
	s_mov_b32 s1, exec_lo
	s_delay_alu instid0(VALU_DEP_1)
	v_cmpx_lt_i16_e64 0x7f, v255
	s_xor_b32 s1, exec_lo, s1
	s_cbranch_execnz .LBB11_908
; %bb.400:
	s_or_saveexec_b32 s1, s1
	v_mov_b32_e32 v212, 0x7f800001
	s_xor_b32 exec_lo, exec_lo, s1
	s_cbranch_execnz .LBB11_911
.LBB11_401:
	s_or_b32 exec_lo, exec_lo, s1
	s_and_saveexec_b32 s1, s0
	s_cbranch_execz .LBB11_403
.LBB11_402:
	v_lshrrev_b16 v7, 3, v133
	v_lshrrev_b16 v9, 7, v133
	s_delay_alu instid0(VALU_DEP_2) | instskip(NEXT) | instid1(VALU_DEP_1)
	v_and_b32_e32 v7, 15, v7
	v_cmp_eq_u16_e32 vcc_lo, 0, v7
	v_and_b32_e32 v5, 7, v133
	s_delay_alu instid0(VALU_DEP_1) | instskip(NEXT) | instid1(VALU_DEP_1)
	v_clz_i32_u32_e32 v6, v5
	v_min_u32_e32 v6, 32, v6
	s_delay_alu instid0(VALU_DEP_1) | instskip(SKIP_2) | instid1(VALU_DEP_1)
	v_subrev_nc_u32_e32 v8, 28, v6
	v_sub_nc_u32_e32 v6, 29, v6
	s_wait_alu 0xfffd
	v_cndmask_b32_e32 v6, v7, v6, vcc_lo
	s_delay_alu instid0(VALU_DEP_3) | instskip(SKIP_1) | instid1(VALU_DEP_3)
	v_lshlrev_b32_e32 v8, v8, v5
	v_lshlrev_b32_e32 v7, 31, v9
	v_lshl_add_u32 v6, v6, 23, 0x3b800000
	s_delay_alu instid0(VALU_DEP_3) | instskip(NEXT) | instid1(VALU_DEP_1)
	v_and_b32_e32 v8, 7, v8
	v_cndmask_b32_e32 v5, v5, v8, vcc_lo
	s_delay_alu instid0(VALU_DEP_1) | instskip(NEXT) | instid1(VALU_DEP_1)
	v_lshlrev_b32_e32 v5, 20, v5
	v_or3_b32 v212, v7, v6, v5
.LBB11_403:
	s_or_b32 exec_lo, exec_lo, s1
	v_and_b32_e32 v255, 0xff, v209
	s_mov_b32 s0, 0
	s_mov_b32 s1, exec_lo
	s_delay_alu instid0(VALU_DEP_1)
	v_cmpx_lt_i16_e64 0x7f, v255
	s_xor_b32 s1, exec_lo, s1
	s_cbranch_execnz .LBB11_912
; %bb.404:
	s_or_saveexec_b32 s1, s1
	v_mov_b32_e32 v133, 0x7f800001
	s_xor_b32 exec_lo, exec_lo, s1
	s_cbranch_execnz .LBB11_915
.LBB11_405:
	s_or_b32 exec_lo, exec_lo, s1
	s_and_saveexec_b32 s1, s0
	s_cbranch_execz .LBB11_407
.LBB11_406:
	v_lshrrev_b16 v7, 3, v209
	v_lshrrev_b16 v9, 7, v209
	s_delay_alu instid0(VALU_DEP_2) | instskip(NEXT) | instid1(VALU_DEP_1)
	v_and_b32_e32 v7, 15, v7
	v_cmp_eq_u16_e32 vcc_lo, 0, v7
	v_and_b32_e32 v5, 7, v209
	s_delay_alu instid0(VALU_DEP_1) | instskip(NEXT) | instid1(VALU_DEP_1)
	v_clz_i32_u32_e32 v6, v5
	v_min_u32_e32 v6, 32, v6
	s_delay_alu instid0(VALU_DEP_1) | instskip(SKIP_2) | instid1(VALU_DEP_1)
	v_subrev_nc_u32_e32 v8, 28, v6
	v_sub_nc_u32_e32 v6, 29, v6
	s_wait_alu 0xfffd
	v_cndmask_b32_e32 v6, v7, v6, vcc_lo
	s_delay_alu instid0(VALU_DEP_3) | instskip(SKIP_1) | instid1(VALU_DEP_3)
	v_lshlrev_b32_e32 v8, v8, v5
	v_lshlrev_b32_e32 v7, 31, v9
	v_lshl_add_u32 v6, v6, 23, 0x3b800000
	s_delay_alu instid0(VALU_DEP_3) | instskip(NEXT) | instid1(VALU_DEP_1)
	v_and_b32_e32 v8, 7, v8
	v_cndmask_b32_e32 v5, v5, v8, vcc_lo
	s_delay_alu instid0(VALU_DEP_1) | instskip(NEXT) | instid1(VALU_DEP_1)
	v_lshlrev_b32_e32 v5, 20, v5
	v_or3_b32 v133, v7, v6, v5
.LBB11_407:
	s_or_b32 exec_lo, exec_lo, s1
	v_and_b32_e32 v255, 0xff, v207
	s_mov_b32 s0, 0
	s_mov_b32 s1, exec_lo
	s_delay_alu instid0(VALU_DEP_1)
	v_cmpx_lt_i16_e64 0x7f, v255
	s_xor_b32 s1, exec_lo, s1
	s_cbranch_execnz .LBB11_916
; %bb.408:
	s_or_saveexec_b32 s1, s1
	v_mov_b32_e32 v209, 0x7f800001
	s_xor_b32 exec_lo, exec_lo, s1
	s_cbranch_execnz .LBB11_919
.LBB11_409:
	s_or_b32 exec_lo, exec_lo, s1
	s_and_saveexec_b32 s1, s0
	s_cbranch_execz .LBB11_411
.LBB11_410:
	v_lshrrev_b16 v7, 3, v207
	v_lshrrev_b16 v9, 7, v207
	s_delay_alu instid0(VALU_DEP_2) | instskip(NEXT) | instid1(VALU_DEP_1)
	v_and_b32_e32 v7, 15, v7
	v_cmp_eq_u16_e32 vcc_lo, 0, v7
	v_and_b32_e32 v5, 7, v207
	s_delay_alu instid0(VALU_DEP_1) | instskip(NEXT) | instid1(VALU_DEP_1)
	v_clz_i32_u32_e32 v6, v5
	v_min_u32_e32 v6, 32, v6
	s_delay_alu instid0(VALU_DEP_1) | instskip(SKIP_2) | instid1(VALU_DEP_1)
	v_subrev_nc_u32_e32 v8, 28, v6
	v_sub_nc_u32_e32 v6, 29, v6
	s_wait_alu 0xfffd
	v_cndmask_b32_e32 v6, v7, v6, vcc_lo
	s_delay_alu instid0(VALU_DEP_3) | instskip(SKIP_1) | instid1(VALU_DEP_3)
	v_lshlrev_b32_e32 v8, v8, v5
	v_lshlrev_b32_e32 v7, 31, v9
	v_lshl_add_u32 v6, v6, 23, 0x3b800000
	s_delay_alu instid0(VALU_DEP_3) | instskip(NEXT) | instid1(VALU_DEP_1)
	v_and_b32_e32 v8, 7, v8
	v_cndmask_b32_e32 v5, v5, v8, vcc_lo
	s_delay_alu instid0(VALU_DEP_1) | instskip(NEXT) | instid1(VALU_DEP_1)
	v_lshlrev_b32_e32 v5, 20, v5
	v_or3_b32 v209, v7, v6, v5
.LBB11_411:
	s_or_b32 exec_lo, exec_lo, s1
	s_mov_b32 s1, 0
	s_mov_b32 s0, exec_lo
	v_cmpx_lt_i16_e64 0x7f, v206
	s_xor_b32 s0, exec_lo, s0
	s_cbranch_execnz .LBB11_920
; %bb.412:
	s_or_saveexec_b32 s0, s0
	v_mov_b32_e32 v207, 0x7f800001
	s_xor_b32 exec_lo, exec_lo, s0
	s_cbranch_execnz .LBB11_923
.LBB11_413:
	s_or_b32 exec_lo, exec_lo, s0
	s_and_saveexec_b32 s0, s1
	s_cbranch_execz .LBB11_415
.LBB11_414:
	v_and_b32_e32 v5, 7, v206
	v_lshrrev_b16 v7, 3, v206
	v_lshrrev_b16 v9, 7, v206
	s_delay_alu instid0(VALU_DEP_3) | instskip(NEXT) | instid1(VALU_DEP_3)
	v_clz_i32_u32_e32 v6, v5
	v_and_b32_e32 v7, 15, v7
	s_delay_alu instid0(VALU_DEP_2) | instskip(NEXT) | instid1(VALU_DEP_2)
	v_min_u32_e32 v6, 32, v6
	v_cmp_eq_u16_e32 vcc_lo, 0, v7
	s_delay_alu instid0(VALU_DEP_2) | instskip(SKIP_1) | instid1(VALU_DEP_2)
	v_subrev_nc_u32_e32 v8, 28, v6
	v_sub_nc_u32_e32 v6, 29, v6
	v_lshlrev_b32_e32 v8, v8, v5
	s_wait_alu 0xfffd
	s_delay_alu instid0(VALU_DEP_2) | instskip(NEXT) | instid1(VALU_DEP_2)
	v_dual_cndmask_b32 v6, v7, v6 :: v_dual_lshlrev_b32 v7, 31, v9
	v_and_b32_e32 v8, 7, v8
	s_delay_alu instid0(VALU_DEP_2) | instskip(NEXT) | instid1(VALU_DEP_2)
	v_lshl_add_u32 v6, v6, 23, 0x3b800000
	v_cndmask_b32_e32 v5, v5, v8, vcc_lo
	s_delay_alu instid0(VALU_DEP_1) | instskip(NEXT) | instid1(VALU_DEP_1)
	v_lshlrev_b32_e32 v5, 20, v5
	v_or3_b32 v207, v7, v6, v5
.LBB11_415:
	s_or_b32 exec_lo, exec_lo, s0
	v_and_b32_e32 v255, 0xff, v134
	s_mov_b32 s0, 0
	s_mov_b32 s1, exec_lo
	s_delay_alu instid0(VALU_DEP_1)
	v_cmpx_lt_i16_e64 0x7f, v255
	s_xor_b32 s1, exec_lo, s1
	s_cbranch_execnz .LBB11_924
; %bb.416:
	s_or_saveexec_b32 s1, s1
	v_mov_b32_e32 v206, 0x7f800001
	s_xor_b32 exec_lo, exec_lo, s1
	s_cbranch_execnz .LBB11_927
.LBB11_417:
	s_or_b32 exec_lo, exec_lo, s1
	s_and_saveexec_b32 s1, s0
	s_cbranch_execz .LBB11_419
.LBB11_418:
	v_and_b32_e32 v5, 7, v134
	v_lshrrev_b16 v7, 3, v134
	v_lshrrev_b16 v9, 7, v134
	s_delay_alu instid0(VALU_DEP_3) | instskip(NEXT) | instid1(VALU_DEP_3)
	v_clz_i32_u32_e32 v6, v5
	v_and_b32_e32 v7, 15, v7
	s_delay_alu instid0(VALU_DEP_2) | instskip(NEXT) | instid1(VALU_DEP_2)
	v_min_u32_e32 v6, 32, v6
	v_cmp_eq_u16_e32 vcc_lo, 0, v7
	s_delay_alu instid0(VALU_DEP_2) | instskip(SKIP_1) | instid1(VALU_DEP_2)
	v_subrev_nc_u32_e32 v8, 28, v6
	v_sub_nc_u32_e32 v6, 29, v6
	v_lshlrev_b32_e32 v8, v8, v5
	s_wait_alu 0xfffd
	s_delay_alu instid0(VALU_DEP_2) | instskip(NEXT) | instid1(VALU_DEP_2)
	v_dual_cndmask_b32 v6, v7, v6 :: v_dual_lshlrev_b32 v7, 31, v9
	v_and_b32_e32 v8, 7, v8
	s_delay_alu instid0(VALU_DEP_2) | instskip(NEXT) | instid1(VALU_DEP_2)
	v_lshl_add_u32 v6, v6, 23, 0x3b800000
	v_cndmask_b32_e32 v5, v5, v8, vcc_lo
	s_delay_alu instid0(VALU_DEP_1) | instskip(NEXT) | instid1(VALU_DEP_1)
	v_lshlrev_b32_e32 v5, 20, v5
	v_or3_b32 v206, v7, v6, v5
.LBB11_419:
	s_or_b32 exec_lo, exec_lo, s1
	v_and_b32_e32 v255, 0xff, v203
	s_mov_b32 s0, 0
	s_mov_b32 s1, exec_lo
	s_delay_alu instid0(VALU_DEP_1)
	v_cmpx_lt_i16_e64 0x7f, v255
	s_xor_b32 s1, exec_lo, s1
	s_cbranch_execnz .LBB11_928
; %bb.420:
	s_or_saveexec_b32 s1, s1
	v_mov_b32_e32 v134, 0x7f800001
	s_xor_b32 exec_lo, exec_lo, s1
	s_cbranch_execnz .LBB11_931
.LBB11_421:
	s_or_b32 exec_lo, exec_lo, s1
	s_and_saveexec_b32 s1, s0
	s_cbranch_execz .LBB11_423
.LBB11_422:
	v_lshrrev_b16 v7, 3, v203
	v_lshrrev_b16 v9, 7, v203
	s_delay_alu instid0(VALU_DEP_2) | instskip(NEXT) | instid1(VALU_DEP_1)
	v_and_b32_e32 v7, 15, v7
	v_cmp_eq_u16_e32 vcc_lo, 0, v7
	v_and_b32_e32 v5, 7, v203
	s_delay_alu instid0(VALU_DEP_1) | instskip(NEXT) | instid1(VALU_DEP_1)
	v_clz_i32_u32_e32 v6, v5
	v_min_u32_e32 v6, 32, v6
	s_delay_alu instid0(VALU_DEP_1) | instskip(SKIP_2) | instid1(VALU_DEP_1)
	v_subrev_nc_u32_e32 v8, 28, v6
	v_sub_nc_u32_e32 v6, 29, v6
	s_wait_alu 0xfffd
	v_cndmask_b32_e32 v6, v7, v6, vcc_lo
	s_delay_alu instid0(VALU_DEP_3) | instskip(SKIP_1) | instid1(VALU_DEP_3)
	v_lshlrev_b32_e32 v8, v8, v5
	v_lshlrev_b32_e32 v7, 31, v9
	v_lshl_add_u32 v6, v6, 23, 0x3b800000
	s_delay_alu instid0(VALU_DEP_3) | instskip(NEXT) | instid1(VALU_DEP_1)
	v_and_b32_e32 v8, 7, v8
	v_cndmask_b32_e32 v5, v5, v8, vcc_lo
	s_delay_alu instid0(VALU_DEP_1) | instskip(NEXT) | instid1(VALU_DEP_1)
	v_lshlrev_b32_e32 v5, 20, v5
	v_or3_b32 v134, v7, v6, v5
.LBB11_423:
	s_or_b32 exec_lo, exec_lo, s1
	v_and_b32_e32 v255, 0xff, v201
	s_mov_b32 s0, 0
	s_mov_b32 s1, exec_lo
	s_delay_alu instid0(VALU_DEP_1)
	v_cmpx_lt_i16_e64 0x7f, v255
	s_xor_b32 s1, exec_lo, s1
	s_cbranch_execnz .LBB11_932
; %bb.424:
	s_or_saveexec_b32 s1, s1
	v_mov_b32_e32 v203, 0x7f800001
	s_xor_b32 exec_lo, exec_lo, s1
	s_cbranch_execnz .LBB11_935
.LBB11_425:
	s_or_b32 exec_lo, exec_lo, s1
	s_and_saveexec_b32 s1, s0
	s_cbranch_execz .LBB11_427
.LBB11_426:
	v_lshrrev_b16 v7, 3, v201
	v_lshrrev_b16 v9, 7, v201
	s_delay_alu instid0(VALU_DEP_2) | instskip(NEXT) | instid1(VALU_DEP_1)
	v_and_b32_e32 v7, 15, v7
	v_cmp_eq_u16_e32 vcc_lo, 0, v7
	v_and_b32_e32 v5, 7, v201
	s_delay_alu instid0(VALU_DEP_1) | instskip(NEXT) | instid1(VALU_DEP_1)
	v_clz_i32_u32_e32 v6, v5
	v_min_u32_e32 v6, 32, v6
	s_delay_alu instid0(VALU_DEP_1) | instskip(SKIP_2) | instid1(VALU_DEP_1)
	v_subrev_nc_u32_e32 v8, 28, v6
	v_sub_nc_u32_e32 v6, 29, v6
	s_wait_alu 0xfffd
	v_cndmask_b32_e32 v6, v7, v6, vcc_lo
	s_delay_alu instid0(VALU_DEP_3) | instskip(SKIP_1) | instid1(VALU_DEP_3)
	v_lshlrev_b32_e32 v8, v8, v5
	v_lshlrev_b32_e32 v7, 31, v9
	v_lshl_add_u32 v6, v6, 23, 0x3b800000
	s_delay_alu instid0(VALU_DEP_3) | instskip(NEXT) | instid1(VALU_DEP_1)
	v_and_b32_e32 v8, 7, v8
	v_cndmask_b32_e32 v5, v5, v8, vcc_lo
	s_delay_alu instid0(VALU_DEP_1) | instskip(NEXT) | instid1(VALU_DEP_1)
	v_lshlrev_b32_e32 v5, 20, v5
	v_or3_b32 v203, v7, v6, v5
.LBB11_427:
	s_or_b32 exec_lo, exec_lo, s1
	s_mov_b32 s1, 0
	s_mov_b32 s0, exec_lo
	v_cmpx_lt_i16_e64 0x7f, v200
	s_xor_b32 s0, exec_lo, s0
	s_cbranch_execnz .LBB11_936
; %bb.428:
	s_or_saveexec_b32 s0, s0
	v_mov_b32_e32 v201, 0x7f800001
	s_xor_b32 exec_lo, exec_lo, s0
	s_cbranch_execnz .LBB11_939
.LBB11_429:
	s_or_b32 exec_lo, exec_lo, s0
	s_and_saveexec_b32 s0, s1
	s_cbranch_execz .LBB11_431
.LBB11_430:
	v_lshrrev_b16 v7, 3, v200
	v_lshrrev_b16 v9, 7, v200
	s_delay_alu instid0(VALU_DEP_2) | instskip(NEXT) | instid1(VALU_DEP_1)
	v_and_b32_e32 v7, 15, v7
	v_cmp_eq_u16_e32 vcc_lo, 0, v7
	v_and_b32_e32 v5, 7, v200
	s_delay_alu instid0(VALU_DEP_1) | instskip(NEXT) | instid1(VALU_DEP_1)
	v_clz_i32_u32_e32 v6, v5
	v_min_u32_e32 v6, 32, v6
	s_delay_alu instid0(VALU_DEP_1) | instskip(SKIP_2) | instid1(VALU_DEP_1)
	v_subrev_nc_u32_e32 v8, 28, v6
	v_sub_nc_u32_e32 v6, 29, v6
	s_wait_alu 0xfffd
	v_cndmask_b32_e32 v6, v7, v6, vcc_lo
	s_delay_alu instid0(VALU_DEP_3) | instskip(SKIP_1) | instid1(VALU_DEP_3)
	v_lshlrev_b32_e32 v8, v8, v5
	v_lshlrev_b32_e32 v7, 31, v9
	v_lshl_add_u32 v6, v6, 23, 0x3b800000
	s_delay_alu instid0(VALU_DEP_3) | instskip(NEXT) | instid1(VALU_DEP_1)
	v_and_b32_e32 v8, 7, v8
	v_cndmask_b32_e32 v5, v5, v8, vcc_lo
	s_delay_alu instid0(VALU_DEP_1) | instskip(NEXT) | instid1(VALU_DEP_1)
	v_lshlrev_b32_e32 v5, 20, v5
	v_or3_b32 v201, v7, v6, v5
.LBB11_431:
	s_or_b32 exec_lo, exec_lo, s0
	v_and_b32_e32 v255, 0xff, v135
	s_mov_b32 s0, 0
	s_mov_b32 s1, exec_lo
	s_delay_alu instid0(VALU_DEP_1)
	v_cmpx_lt_i16_e64 0x7f, v255
	s_xor_b32 s1, exec_lo, s1
	s_cbranch_execnz .LBB11_940
; %bb.432:
	s_or_saveexec_b32 s1, s1
	v_mov_b32_e32 v200, 0x7f800001
	s_xor_b32 exec_lo, exec_lo, s1
	s_cbranch_execnz .LBB11_943
.LBB11_433:
	s_or_b32 exec_lo, exec_lo, s1
	s_and_saveexec_b32 s1, s0
	s_cbranch_execz .LBB11_435
.LBB11_434:
	v_lshrrev_b16 v7, 3, v135
	v_lshrrev_b16 v9, 7, v135
	s_delay_alu instid0(VALU_DEP_2) | instskip(NEXT) | instid1(VALU_DEP_1)
	v_and_b32_e32 v7, 15, v7
	v_cmp_eq_u16_e32 vcc_lo, 0, v7
	v_and_b32_e32 v5, 7, v135
	s_delay_alu instid0(VALU_DEP_1) | instskip(NEXT) | instid1(VALU_DEP_1)
	v_clz_i32_u32_e32 v6, v5
	v_min_u32_e32 v6, 32, v6
	s_delay_alu instid0(VALU_DEP_1) | instskip(SKIP_2) | instid1(VALU_DEP_1)
	v_subrev_nc_u32_e32 v8, 28, v6
	v_sub_nc_u32_e32 v6, 29, v6
	s_wait_alu 0xfffd
	v_cndmask_b32_e32 v6, v7, v6, vcc_lo
	s_delay_alu instid0(VALU_DEP_3) | instskip(SKIP_1) | instid1(VALU_DEP_3)
	v_lshlrev_b32_e32 v8, v8, v5
	v_lshlrev_b32_e32 v7, 31, v9
	v_lshl_add_u32 v6, v6, 23, 0x3b800000
	s_delay_alu instid0(VALU_DEP_3) | instskip(NEXT) | instid1(VALU_DEP_1)
	v_and_b32_e32 v8, 7, v8
	v_cndmask_b32_e32 v5, v5, v8, vcc_lo
	s_delay_alu instid0(VALU_DEP_1) | instskip(NEXT) | instid1(VALU_DEP_1)
	v_lshlrev_b32_e32 v5, 20, v5
	v_or3_b32 v200, v7, v6, v5
.LBB11_435:
	s_or_b32 exec_lo, exec_lo, s1
	v_and_b32_e32 v255, 0xff, v197
	s_mov_b32 s0, 0
	s_mov_b32 s1, exec_lo
	s_delay_alu instid0(VALU_DEP_1)
	v_cmpx_lt_i16_e64 0x7f, v255
	s_xor_b32 s1, exec_lo, s1
	s_cbranch_execnz .LBB11_944
; %bb.436:
	s_or_saveexec_b32 s1, s1
	v_mov_b32_e32 v135, 0x7f800001
	s_xor_b32 exec_lo, exec_lo, s1
	s_cbranch_execnz .LBB11_947
.LBB11_437:
	s_or_b32 exec_lo, exec_lo, s1
	s_and_saveexec_b32 s1, s0
	s_cbranch_execz .LBB11_439
.LBB11_438:
	v_lshrrev_b16 v7, 3, v197
	v_lshrrev_b16 v9, 7, v197
	s_delay_alu instid0(VALU_DEP_2) | instskip(NEXT) | instid1(VALU_DEP_1)
	v_and_b32_e32 v7, 15, v7
	v_cmp_eq_u16_e32 vcc_lo, 0, v7
	v_and_b32_e32 v5, 7, v197
	s_delay_alu instid0(VALU_DEP_1) | instskip(NEXT) | instid1(VALU_DEP_1)
	v_clz_i32_u32_e32 v6, v5
	v_min_u32_e32 v6, 32, v6
	s_delay_alu instid0(VALU_DEP_1) | instskip(SKIP_2) | instid1(VALU_DEP_1)
	v_subrev_nc_u32_e32 v8, 28, v6
	v_sub_nc_u32_e32 v6, 29, v6
	s_wait_alu 0xfffd
	v_cndmask_b32_e32 v6, v7, v6, vcc_lo
	s_delay_alu instid0(VALU_DEP_3) | instskip(SKIP_1) | instid1(VALU_DEP_3)
	v_lshlrev_b32_e32 v8, v8, v5
	v_lshlrev_b32_e32 v7, 31, v9
	v_lshl_add_u32 v6, v6, 23, 0x3b800000
	s_delay_alu instid0(VALU_DEP_3) | instskip(NEXT) | instid1(VALU_DEP_1)
	v_and_b32_e32 v8, 7, v8
	v_cndmask_b32_e32 v5, v5, v8, vcc_lo
	s_delay_alu instid0(VALU_DEP_1) | instskip(NEXT) | instid1(VALU_DEP_1)
	v_lshlrev_b32_e32 v5, 20, v5
	v_or3_b32 v135, v7, v6, v5
.LBB11_439:
	s_or_b32 exec_lo, exec_lo, s1
	v_and_b32_e32 v255, 0xff, v195
	s_mov_b32 s0, 0
	s_mov_b32 s1, exec_lo
	s_delay_alu instid0(VALU_DEP_1)
	v_cmpx_lt_i16_e64 0x7f, v255
	s_xor_b32 s1, exec_lo, s1
	s_cbranch_execnz .LBB11_948
; %bb.440:
	s_or_saveexec_b32 s1, s1
	v_mov_b32_e32 v197, 0x7f800001
	s_xor_b32 exec_lo, exec_lo, s1
	s_cbranch_execnz .LBB11_951
.LBB11_441:
	s_or_b32 exec_lo, exec_lo, s1
	s_and_saveexec_b32 s1, s0
	s_cbranch_execz .LBB11_443
.LBB11_442:
	v_lshrrev_b16 v7, 3, v195
	v_lshrrev_b16 v9, 7, v195
	s_delay_alu instid0(VALU_DEP_2) | instskip(NEXT) | instid1(VALU_DEP_1)
	v_and_b32_e32 v7, 15, v7
	v_cmp_eq_u16_e32 vcc_lo, 0, v7
	v_and_b32_e32 v5, 7, v195
	s_delay_alu instid0(VALU_DEP_1) | instskip(NEXT) | instid1(VALU_DEP_1)
	v_clz_i32_u32_e32 v6, v5
	v_min_u32_e32 v6, 32, v6
	s_delay_alu instid0(VALU_DEP_1) | instskip(SKIP_2) | instid1(VALU_DEP_1)
	v_subrev_nc_u32_e32 v8, 28, v6
	v_sub_nc_u32_e32 v6, 29, v6
	s_wait_alu 0xfffd
	v_cndmask_b32_e32 v6, v7, v6, vcc_lo
	s_delay_alu instid0(VALU_DEP_3) | instskip(SKIP_1) | instid1(VALU_DEP_3)
	v_lshlrev_b32_e32 v8, v8, v5
	v_lshlrev_b32_e32 v7, 31, v9
	v_lshl_add_u32 v6, v6, 23, 0x3b800000
	s_delay_alu instid0(VALU_DEP_3) | instskip(NEXT) | instid1(VALU_DEP_1)
	v_and_b32_e32 v8, 7, v8
	v_cndmask_b32_e32 v5, v5, v8, vcc_lo
	s_delay_alu instid0(VALU_DEP_1) | instskip(NEXT) | instid1(VALU_DEP_1)
	v_lshlrev_b32_e32 v5, 20, v5
	v_or3_b32 v197, v7, v6, v5
.LBB11_443:
	s_or_b32 exec_lo, exec_lo, s1
	s_mov_b32 s1, 0
	s_mov_b32 s0, exec_lo
	v_cmpx_lt_i16_e64 0x7f, v194
	s_xor_b32 s0, exec_lo, s0
	s_cbranch_execnz .LBB11_952
; %bb.444:
	s_or_saveexec_b32 s0, s0
	v_mov_b32_e32 v195, 0x7f800001
	s_xor_b32 exec_lo, exec_lo, s0
	s_cbranch_execnz .LBB11_955
.LBB11_445:
	s_or_b32 exec_lo, exec_lo, s0
	s_and_saveexec_b32 s0, s1
	s_cbranch_execz .LBB11_447
.LBB11_446:
	v_and_b32_e32 v5, 7, v194
	v_lshrrev_b16 v7, 3, v194
	v_lshrrev_b16 v9, 7, v194
	s_delay_alu instid0(VALU_DEP_3) | instskip(NEXT) | instid1(VALU_DEP_3)
	v_clz_i32_u32_e32 v6, v5
	v_and_b32_e32 v7, 15, v7
	s_delay_alu instid0(VALU_DEP_2) | instskip(NEXT) | instid1(VALU_DEP_2)
	v_min_u32_e32 v6, 32, v6
	v_cmp_eq_u16_e32 vcc_lo, 0, v7
	s_delay_alu instid0(VALU_DEP_2) | instskip(SKIP_1) | instid1(VALU_DEP_2)
	v_subrev_nc_u32_e32 v8, 28, v6
	v_sub_nc_u32_e32 v6, 29, v6
	v_lshlrev_b32_e32 v8, v8, v5
	s_wait_alu 0xfffd
	s_delay_alu instid0(VALU_DEP_2) | instskip(NEXT) | instid1(VALU_DEP_2)
	v_dual_cndmask_b32 v6, v7, v6 :: v_dual_lshlrev_b32 v7, 31, v9
	v_and_b32_e32 v8, 7, v8
	s_delay_alu instid0(VALU_DEP_2) | instskip(NEXT) | instid1(VALU_DEP_2)
	v_lshl_add_u32 v6, v6, 23, 0x3b800000
	v_cndmask_b32_e32 v5, v5, v8, vcc_lo
	s_delay_alu instid0(VALU_DEP_1) | instskip(NEXT) | instid1(VALU_DEP_1)
	v_lshlrev_b32_e32 v5, 20, v5
	v_or3_b32 v195, v7, v6, v5
.LBB11_447:
	s_or_b32 exec_lo, exec_lo, s0
	v_and_b32_e32 v255, 0xff, v136
	s_mov_b32 s0, 0
	s_mov_b32 s1, exec_lo
	s_delay_alu instid0(VALU_DEP_1)
	v_cmpx_lt_i16_e64 0x7f, v255
	s_xor_b32 s1, exec_lo, s1
	s_cbranch_execnz .LBB11_956
; %bb.448:
	s_or_saveexec_b32 s1, s1
	v_mov_b32_e32 v194, 0x7f800001
	s_xor_b32 exec_lo, exec_lo, s1
	s_cbranch_execnz .LBB11_959
.LBB11_449:
	s_or_b32 exec_lo, exec_lo, s1
	s_and_saveexec_b32 s1, s0
	s_cbranch_execz .LBB11_451
.LBB11_450:
	v_lshrrev_b16 v7, 3, v136
	v_lshrrev_b16 v9, 7, v136
	s_delay_alu instid0(VALU_DEP_2) | instskip(NEXT) | instid1(VALU_DEP_1)
	v_and_b32_e32 v7, 15, v7
	v_cmp_eq_u16_e32 vcc_lo, 0, v7
	v_and_b32_e32 v5, 7, v136
	s_delay_alu instid0(VALU_DEP_1) | instskip(NEXT) | instid1(VALU_DEP_1)
	v_clz_i32_u32_e32 v6, v5
	v_min_u32_e32 v6, 32, v6
	s_delay_alu instid0(VALU_DEP_1) | instskip(SKIP_2) | instid1(VALU_DEP_1)
	v_subrev_nc_u32_e32 v8, 28, v6
	v_sub_nc_u32_e32 v6, 29, v6
	s_wait_alu 0xfffd
	v_cndmask_b32_e32 v6, v7, v6, vcc_lo
	s_delay_alu instid0(VALU_DEP_3) | instskip(SKIP_1) | instid1(VALU_DEP_3)
	v_lshlrev_b32_e32 v8, v8, v5
	v_lshlrev_b32_e32 v7, 31, v9
	v_lshl_add_u32 v6, v6, 23, 0x3b800000
	s_delay_alu instid0(VALU_DEP_3) | instskip(NEXT) | instid1(VALU_DEP_1)
	v_and_b32_e32 v8, 7, v8
	v_cndmask_b32_e32 v5, v5, v8, vcc_lo
	s_delay_alu instid0(VALU_DEP_1) | instskip(NEXT) | instid1(VALU_DEP_1)
	v_lshlrev_b32_e32 v5, 20, v5
	v_or3_b32 v194, v7, v6, v5
.LBB11_451:
	s_or_b32 exec_lo, exec_lo, s1
	v_and_b32_e32 v255, 0xff, v191
	s_mov_b32 s0, 0
	s_mov_b32 s1, exec_lo
	s_delay_alu instid0(VALU_DEP_1)
	v_cmpx_lt_i16_e64 0x7f, v255
	s_xor_b32 s1, exec_lo, s1
	s_cbranch_execnz .LBB11_960
; %bb.452:
	s_or_saveexec_b32 s1, s1
	v_mov_b32_e32 v136, 0x7f800001
	s_xor_b32 exec_lo, exec_lo, s1
	s_cbranch_execnz .LBB11_963
.LBB11_453:
	s_or_b32 exec_lo, exec_lo, s1
	s_and_saveexec_b32 s1, s0
	s_cbranch_execz .LBB11_455
.LBB11_454:
	v_lshrrev_b16 v7, 3, v191
	v_lshrrev_b16 v9, 7, v191
	s_delay_alu instid0(VALU_DEP_2) | instskip(NEXT) | instid1(VALU_DEP_1)
	v_and_b32_e32 v7, 15, v7
	v_cmp_eq_u16_e32 vcc_lo, 0, v7
	v_and_b32_e32 v5, 7, v191
	s_delay_alu instid0(VALU_DEP_1) | instskip(NEXT) | instid1(VALU_DEP_1)
	v_clz_i32_u32_e32 v6, v5
	v_min_u32_e32 v6, 32, v6
	s_delay_alu instid0(VALU_DEP_1) | instskip(SKIP_2) | instid1(VALU_DEP_1)
	v_subrev_nc_u32_e32 v8, 28, v6
	v_sub_nc_u32_e32 v6, 29, v6
	s_wait_alu 0xfffd
	v_cndmask_b32_e32 v6, v7, v6, vcc_lo
	s_delay_alu instid0(VALU_DEP_3) | instskip(SKIP_1) | instid1(VALU_DEP_3)
	v_lshlrev_b32_e32 v8, v8, v5
	v_lshlrev_b32_e32 v7, 31, v9
	v_lshl_add_u32 v6, v6, 23, 0x3b800000
	s_delay_alu instid0(VALU_DEP_3) | instskip(NEXT) | instid1(VALU_DEP_1)
	v_and_b32_e32 v8, 7, v8
	v_cndmask_b32_e32 v5, v5, v8, vcc_lo
	s_delay_alu instid0(VALU_DEP_1) | instskip(NEXT) | instid1(VALU_DEP_1)
	v_lshlrev_b32_e32 v5, 20, v5
	v_or3_b32 v136, v7, v6, v5
.LBB11_455:
	s_or_b32 exec_lo, exec_lo, s1
	v_and_b32_e32 v255, 0xff, v189
	s_mov_b32 s0, 0
	s_mov_b32 s1, exec_lo
	s_delay_alu instid0(VALU_DEP_1)
	v_cmpx_lt_i16_e64 0x7f, v255
	s_xor_b32 s1, exec_lo, s1
	s_cbranch_execnz .LBB11_964
; %bb.456:
	s_or_saveexec_b32 s1, s1
	v_mov_b32_e32 v191, 0x7f800001
	s_xor_b32 exec_lo, exec_lo, s1
	s_cbranch_execnz .LBB11_967
.LBB11_457:
	s_or_b32 exec_lo, exec_lo, s1
	s_and_saveexec_b32 s1, s0
	s_cbranch_execz .LBB11_459
.LBB11_458:
	v_lshrrev_b16 v7, 3, v189
	v_lshrrev_b16 v9, 7, v189
	s_delay_alu instid0(VALU_DEP_2) | instskip(NEXT) | instid1(VALU_DEP_1)
	v_and_b32_e32 v7, 15, v7
	v_cmp_eq_u16_e32 vcc_lo, 0, v7
	v_and_b32_e32 v5, 7, v189
	s_delay_alu instid0(VALU_DEP_1) | instskip(NEXT) | instid1(VALU_DEP_1)
	v_clz_i32_u32_e32 v6, v5
	v_min_u32_e32 v6, 32, v6
	s_delay_alu instid0(VALU_DEP_1) | instskip(SKIP_2) | instid1(VALU_DEP_1)
	v_subrev_nc_u32_e32 v8, 28, v6
	v_sub_nc_u32_e32 v6, 29, v6
	s_wait_alu 0xfffd
	v_cndmask_b32_e32 v6, v7, v6, vcc_lo
	s_delay_alu instid0(VALU_DEP_3) | instskip(SKIP_1) | instid1(VALU_DEP_3)
	v_lshlrev_b32_e32 v8, v8, v5
	v_lshlrev_b32_e32 v7, 31, v9
	v_lshl_add_u32 v6, v6, 23, 0x3b800000
	s_delay_alu instid0(VALU_DEP_3) | instskip(NEXT) | instid1(VALU_DEP_1)
	v_and_b32_e32 v8, 7, v8
	v_cndmask_b32_e32 v5, v5, v8, vcc_lo
	s_delay_alu instid0(VALU_DEP_1) | instskip(NEXT) | instid1(VALU_DEP_1)
	v_lshlrev_b32_e32 v5, 20, v5
	v_or3_b32 v191, v7, v6, v5
.LBB11_459:
	s_or_b32 exec_lo, exec_lo, s1
	s_mov_b32 s1, 0
	s_mov_b32 s0, exec_lo
	v_cmpx_lt_i16_e64 0x7f, v188
	s_xor_b32 s0, exec_lo, s0
	s_cbranch_execnz .LBB11_968
; %bb.460:
	s_or_saveexec_b32 s0, s0
	v_mov_b32_e32 v189, 0x7f800001
	s_xor_b32 exec_lo, exec_lo, s0
	s_cbranch_execnz .LBB11_971
.LBB11_461:
	s_or_b32 exec_lo, exec_lo, s0
	s_and_saveexec_b32 s0, s1
	s_cbranch_execz .LBB11_463
.LBB11_462:
	v_lshrrev_b16 v7, 3, v188
	v_lshrrev_b16 v9, 7, v188
	s_delay_alu instid0(VALU_DEP_2) | instskip(NEXT) | instid1(VALU_DEP_1)
	v_and_b32_e32 v7, 15, v7
	v_cmp_eq_u16_e32 vcc_lo, 0, v7
	v_and_b32_e32 v5, 7, v188
	s_delay_alu instid0(VALU_DEP_1) | instskip(NEXT) | instid1(VALU_DEP_1)
	v_clz_i32_u32_e32 v6, v5
	v_min_u32_e32 v6, 32, v6
	s_delay_alu instid0(VALU_DEP_1) | instskip(SKIP_2) | instid1(VALU_DEP_1)
	v_subrev_nc_u32_e32 v8, 28, v6
	v_sub_nc_u32_e32 v6, 29, v6
	s_wait_alu 0xfffd
	v_cndmask_b32_e32 v6, v7, v6, vcc_lo
	s_delay_alu instid0(VALU_DEP_3) | instskip(SKIP_1) | instid1(VALU_DEP_3)
	v_lshlrev_b32_e32 v8, v8, v5
	v_lshlrev_b32_e32 v7, 31, v9
	v_lshl_add_u32 v6, v6, 23, 0x3b800000
	s_delay_alu instid0(VALU_DEP_3) | instskip(NEXT) | instid1(VALU_DEP_1)
	v_and_b32_e32 v8, 7, v8
	v_cndmask_b32_e32 v5, v5, v8, vcc_lo
	s_delay_alu instid0(VALU_DEP_1) | instskip(NEXT) | instid1(VALU_DEP_1)
	v_lshlrev_b32_e32 v5, 20, v5
	v_or3_b32 v189, v7, v6, v5
.LBB11_463:
	s_or_b32 exec_lo, exec_lo, s0
	v_and_b32_e32 v255, 0xff, v129
	s_mov_b32 s0, 0
	s_mov_b32 s1, exec_lo
	s_delay_alu instid0(VALU_DEP_1)
	v_cmpx_lt_i16_e64 0x7f, v255
	s_xor_b32 s1, exec_lo, s1
	s_cbranch_execnz .LBB11_972
; %bb.464:
	s_or_saveexec_b32 s1, s1
	v_mov_b32_e32 v188, 0x7f800001
	s_xor_b32 exec_lo, exec_lo, s1
	s_cbranch_execnz .LBB11_975
.LBB11_465:
	s_or_b32 exec_lo, exec_lo, s1
	s_and_saveexec_b32 s1, s0
	s_cbranch_execz .LBB11_467
.LBB11_466:
	v_lshrrev_b16 v7, 3, v129
	v_lshrrev_b16 v9, 7, v129
	s_delay_alu instid0(VALU_DEP_2) | instskip(NEXT) | instid1(VALU_DEP_1)
	v_and_b32_e32 v7, 15, v7
	v_cmp_eq_u16_e32 vcc_lo, 0, v7
	v_and_b32_e32 v5, 7, v129
	s_delay_alu instid0(VALU_DEP_1) | instskip(NEXT) | instid1(VALU_DEP_1)
	v_clz_i32_u32_e32 v6, v5
	v_min_u32_e32 v6, 32, v6
	s_delay_alu instid0(VALU_DEP_1) | instskip(SKIP_2) | instid1(VALU_DEP_1)
	v_subrev_nc_u32_e32 v8, 28, v6
	v_sub_nc_u32_e32 v6, 29, v6
	s_wait_alu 0xfffd
	v_cndmask_b32_e32 v6, v7, v6, vcc_lo
	s_delay_alu instid0(VALU_DEP_3) | instskip(SKIP_1) | instid1(VALU_DEP_3)
	v_lshlrev_b32_e32 v8, v8, v5
	v_lshlrev_b32_e32 v7, 31, v9
	v_lshl_add_u32 v6, v6, 23, 0x3b800000
	s_delay_alu instid0(VALU_DEP_3) | instskip(NEXT) | instid1(VALU_DEP_1)
	v_and_b32_e32 v8, 7, v8
	v_cndmask_b32_e32 v5, v5, v8, vcc_lo
	s_delay_alu instid0(VALU_DEP_1) | instskip(NEXT) | instid1(VALU_DEP_1)
	v_lshlrev_b32_e32 v5, 20, v5
	v_or3_b32 v188, v7, v6, v5
.LBB11_467:
	s_or_b32 exec_lo, exec_lo, s1
	v_and_b32_e32 v255, 0xff, v185
	s_mov_b32 s0, 0
	s_mov_b32 s1, exec_lo
	s_delay_alu instid0(VALU_DEP_1)
	v_cmpx_lt_i16_e64 0x7f, v255
	s_xor_b32 s1, exec_lo, s1
	s_cbranch_execnz .LBB11_976
; %bb.468:
	s_or_saveexec_b32 s1, s1
	v_mov_b32_e32 v129, 0x7f800001
	s_xor_b32 exec_lo, exec_lo, s1
	s_cbranch_execnz .LBB11_979
.LBB11_469:
	s_or_b32 exec_lo, exec_lo, s1
	s_and_saveexec_b32 s1, s0
	s_cbranch_execz .LBB11_471
.LBB11_470:
	v_lshrrev_b16 v7, 3, v185
	v_lshrrev_b16 v9, 7, v185
	s_delay_alu instid0(VALU_DEP_2) | instskip(NEXT) | instid1(VALU_DEP_1)
	v_and_b32_e32 v7, 15, v7
	v_cmp_eq_u16_e32 vcc_lo, 0, v7
	v_and_b32_e32 v5, 7, v185
	s_delay_alu instid0(VALU_DEP_1) | instskip(NEXT) | instid1(VALU_DEP_1)
	v_clz_i32_u32_e32 v6, v5
	v_min_u32_e32 v6, 32, v6
	s_delay_alu instid0(VALU_DEP_1) | instskip(SKIP_2) | instid1(VALU_DEP_1)
	v_subrev_nc_u32_e32 v8, 28, v6
	v_sub_nc_u32_e32 v6, 29, v6
	s_wait_alu 0xfffd
	v_cndmask_b32_e32 v6, v7, v6, vcc_lo
	s_delay_alu instid0(VALU_DEP_3) | instskip(SKIP_1) | instid1(VALU_DEP_3)
	v_lshlrev_b32_e32 v8, v8, v5
	v_lshlrev_b32_e32 v7, 31, v9
	v_lshl_add_u32 v6, v6, 23, 0x3b800000
	s_delay_alu instid0(VALU_DEP_3) | instskip(NEXT) | instid1(VALU_DEP_1)
	v_and_b32_e32 v8, 7, v8
	v_cndmask_b32_e32 v5, v5, v8, vcc_lo
	s_delay_alu instid0(VALU_DEP_1) | instskip(NEXT) | instid1(VALU_DEP_1)
	v_lshlrev_b32_e32 v5, 20, v5
	v_or3_b32 v129, v7, v6, v5
.LBB11_471:
	s_or_b32 exec_lo, exec_lo, s1
	v_and_b32_e32 v255, 0xff, v183
	s_mov_b32 s0, 0
	s_mov_b32 s1, exec_lo
	s_delay_alu instid0(VALU_DEP_1)
	v_cmpx_lt_i16_e64 0x7f, v255
	s_xor_b32 s1, exec_lo, s1
	s_cbranch_execnz .LBB11_980
; %bb.472:
	s_or_saveexec_b32 s1, s1
	v_mov_b32_e32 v185, 0x7f800001
	s_xor_b32 exec_lo, exec_lo, s1
	s_cbranch_execnz .LBB11_983
.LBB11_473:
	s_or_b32 exec_lo, exec_lo, s1
	s_and_saveexec_b32 s1, s0
	s_cbranch_execz .LBB11_475
.LBB11_474:
	v_lshrrev_b16 v7, 3, v183
	v_lshrrev_b16 v9, 7, v183
	s_delay_alu instid0(VALU_DEP_2) | instskip(NEXT) | instid1(VALU_DEP_1)
	v_and_b32_e32 v7, 15, v7
	v_cmp_eq_u16_e32 vcc_lo, 0, v7
	v_and_b32_e32 v5, 7, v183
	s_delay_alu instid0(VALU_DEP_1) | instskip(NEXT) | instid1(VALU_DEP_1)
	v_clz_i32_u32_e32 v6, v5
	v_min_u32_e32 v6, 32, v6
	s_delay_alu instid0(VALU_DEP_1) | instskip(SKIP_2) | instid1(VALU_DEP_1)
	v_subrev_nc_u32_e32 v8, 28, v6
	v_sub_nc_u32_e32 v6, 29, v6
	s_wait_alu 0xfffd
	v_cndmask_b32_e32 v6, v7, v6, vcc_lo
	s_delay_alu instid0(VALU_DEP_3) | instskip(SKIP_1) | instid1(VALU_DEP_3)
	v_lshlrev_b32_e32 v8, v8, v5
	v_lshlrev_b32_e32 v7, 31, v9
	v_lshl_add_u32 v6, v6, 23, 0x3b800000
	s_delay_alu instid0(VALU_DEP_3) | instskip(NEXT) | instid1(VALU_DEP_1)
	v_and_b32_e32 v8, 7, v8
	v_cndmask_b32_e32 v5, v5, v8, vcc_lo
	s_delay_alu instid0(VALU_DEP_1) | instskip(NEXT) | instid1(VALU_DEP_1)
	v_lshlrev_b32_e32 v5, 20, v5
	v_or3_b32 v185, v7, v6, v5
.LBB11_475:
	s_or_b32 exec_lo, exec_lo, s1
	s_mov_b32 s1, 0
	s_mov_b32 s0, exec_lo
	v_cmpx_lt_i16_e64 0x7f, v182
	s_xor_b32 s0, exec_lo, s0
	s_cbranch_execnz .LBB11_984
; %bb.476:
	s_or_saveexec_b32 s0, s0
	v_mov_b32_e32 v183, 0x7f800001
	s_xor_b32 exec_lo, exec_lo, s0
	s_cbranch_execnz .LBB11_987
.LBB11_477:
	s_or_b32 exec_lo, exec_lo, s0
	s_and_saveexec_b32 s0, s1
	s_cbranch_execz .LBB11_479
.LBB11_478:
	v_and_b32_e32 v5, 7, v182
	v_lshrrev_b16 v7, 3, v182
	v_lshrrev_b16 v9, 7, v182
	s_delay_alu instid0(VALU_DEP_3) | instskip(NEXT) | instid1(VALU_DEP_3)
	v_clz_i32_u32_e32 v6, v5
	v_and_b32_e32 v7, 15, v7
	s_delay_alu instid0(VALU_DEP_2) | instskip(NEXT) | instid1(VALU_DEP_2)
	v_min_u32_e32 v6, 32, v6
	v_cmp_eq_u16_e32 vcc_lo, 0, v7
	s_delay_alu instid0(VALU_DEP_2) | instskip(SKIP_1) | instid1(VALU_DEP_2)
	v_subrev_nc_u32_e32 v8, 28, v6
	v_sub_nc_u32_e32 v6, 29, v6
	v_lshlrev_b32_e32 v8, v8, v5
	s_wait_alu 0xfffd
	s_delay_alu instid0(VALU_DEP_2) | instskip(NEXT) | instid1(VALU_DEP_2)
	v_dual_cndmask_b32 v6, v7, v6 :: v_dual_lshlrev_b32 v7, 31, v9
	v_and_b32_e32 v8, 7, v8
	s_delay_alu instid0(VALU_DEP_2) | instskip(NEXT) | instid1(VALU_DEP_2)
	v_lshl_add_u32 v6, v6, 23, 0x3b800000
	v_cndmask_b32_e32 v5, v5, v8, vcc_lo
	s_delay_alu instid0(VALU_DEP_1) | instskip(NEXT) | instid1(VALU_DEP_1)
	v_lshlrev_b32_e32 v5, 20, v5
	v_or3_b32 v183, v7, v6, v5
.LBB11_479:
	s_or_b32 exec_lo, exec_lo, s0
	v_and_b32_e32 v255, 0xff, v130
	s_mov_b32 s0, 0
	s_mov_b32 s1, exec_lo
	s_delay_alu instid0(VALU_DEP_1)
	v_cmpx_lt_i16_e64 0x7f, v255
	s_xor_b32 s1, exec_lo, s1
	s_cbranch_execnz .LBB11_988
; %bb.480:
	s_or_saveexec_b32 s1, s1
	v_mov_b32_e32 v182, 0x7f800001
	s_xor_b32 exec_lo, exec_lo, s1
	s_cbranch_execnz .LBB11_991
.LBB11_481:
	s_or_b32 exec_lo, exec_lo, s1
	s_and_saveexec_b32 s1, s0
	s_cbranch_execz .LBB11_483
.LBB11_482:
	v_and_b32_e32 v5, 7, v130
	v_lshrrev_b16 v7, 3, v130
	v_lshrrev_b16 v9, 7, v130
	s_delay_alu instid0(VALU_DEP_3) | instskip(NEXT) | instid1(VALU_DEP_3)
	v_clz_i32_u32_e32 v6, v5
	v_and_b32_e32 v7, 15, v7
	s_delay_alu instid0(VALU_DEP_2) | instskip(NEXT) | instid1(VALU_DEP_2)
	v_min_u32_e32 v6, 32, v6
	v_cmp_eq_u16_e32 vcc_lo, 0, v7
	s_delay_alu instid0(VALU_DEP_2) | instskip(SKIP_1) | instid1(VALU_DEP_2)
	v_subrev_nc_u32_e32 v8, 28, v6
	v_sub_nc_u32_e32 v6, 29, v6
	v_lshlrev_b32_e32 v8, v8, v5
	s_wait_alu 0xfffd
	s_delay_alu instid0(VALU_DEP_2) | instskip(NEXT) | instid1(VALU_DEP_2)
	v_dual_cndmask_b32 v6, v7, v6 :: v_dual_lshlrev_b32 v7, 31, v9
	v_and_b32_e32 v8, 7, v8
	s_delay_alu instid0(VALU_DEP_2) | instskip(NEXT) | instid1(VALU_DEP_2)
	v_lshl_add_u32 v6, v6, 23, 0x3b800000
	v_cndmask_b32_e32 v5, v5, v8, vcc_lo
	s_delay_alu instid0(VALU_DEP_1) | instskip(NEXT) | instid1(VALU_DEP_1)
	v_lshlrev_b32_e32 v5, 20, v5
	v_or3_b32 v182, v7, v6, v5
.LBB11_483:
	s_or_b32 exec_lo, exec_lo, s1
	v_and_b32_e32 v255, 0xff, v179
	s_mov_b32 s0, 0
	s_mov_b32 s1, exec_lo
	s_delay_alu instid0(VALU_DEP_1)
	v_cmpx_lt_i16_e64 0x7f, v255
	s_xor_b32 s1, exec_lo, s1
	s_cbranch_execnz .LBB11_992
; %bb.484:
	s_or_saveexec_b32 s1, s1
	v_mov_b32_e32 v130, 0x7f800001
	s_xor_b32 exec_lo, exec_lo, s1
	s_cbranch_execnz .LBB11_995
.LBB11_485:
	s_or_b32 exec_lo, exec_lo, s1
	s_and_saveexec_b32 s1, s0
	s_cbranch_execz .LBB11_487
.LBB11_486:
	v_lshrrev_b16 v7, 3, v179
	v_lshrrev_b16 v9, 7, v179
	s_delay_alu instid0(VALU_DEP_2) | instskip(NEXT) | instid1(VALU_DEP_1)
	v_and_b32_e32 v7, 15, v7
	v_cmp_eq_u16_e32 vcc_lo, 0, v7
	v_and_b32_e32 v5, 7, v179
	s_delay_alu instid0(VALU_DEP_1) | instskip(NEXT) | instid1(VALU_DEP_1)
	v_clz_i32_u32_e32 v6, v5
	v_min_u32_e32 v6, 32, v6
	s_delay_alu instid0(VALU_DEP_1) | instskip(SKIP_2) | instid1(VALU_DEP_1)
	v_subrev_nc_u32_e32 v8, 28, v6
	v_sub_nc_u32_e32 v6, 29, v6
	s_wait_alu 0xfffd
	v_cndmask_b32_e32 v6, v7, v6, vcc_lo
	s_delay_alu instid0(VALU_DEP_3) | instskip(SKIP_1) | instid1(VALU_DEP_3)
	v_lshlrev_b32_e32 v8, v8, v5
	v_lshlrev_b32_e32 v7, 31, v9
	v_lshl_add_u32 v6, v6, 23, 0x3b800000
	s_delay_alu instid0(VALU_DEP_3) | instskip(NEXT) | instid1(VALU_DEP_1)
	v_and_b32_e32 v8, 7, v8
	v_cndmask_b32_e32 v5, v5, v8, vcc_lo
	s_delay_alu instid0(VALU_DEP_1) | instskip(NEXT) | instid1(VALU_DEP_1)
	v_lshlrev_b32_e32 v5, 20, v5
	v_or3_b32 v130, v7, v6, v5
.LBB11_487:
	s_or_b32 exec_lo, exec_lo, s1
	v_and_b32_e32 v255, 0xff, v177
	s_mov_b32 s0, 0
	s_mov_b32 s1, exec_lo
	s_delay_alu instid0(VALU_DEP_1)
	v_cmpx_lt_i16_e64 0x7f, v255
	s_xor_b32 s1, exec_lo, s1
	s_cbranch_execnz .LBB11_996
; %bb.488:
	s_or_saveexec_b32 s1, s1
	v_mov_b32_e32 v179, 0x7f800001
	s_xor_b32 exec_lo, exec_lo, s1
	s_cbranch_execnz .LBB11_999
.LBB11_489:
	s_or_b32 exec_lo, exec_lo, s1
	s_and_saveexec_b32 s1, s0
	s_cbranch_execz .LBB11_491
.LBB11_490:
	v_lshrrev_b16 v7, 3, v177
	v_lshrrev_b16 v9, 7, v177
	s_delay_alu instid0(VALU_DEP_2) | instskip(NEXT) | instid1(VALU_DEP_1)
	v_and_b32_e32 v7, 15, v7
	v_cmp_eq_u16_e32 vcc_lo, 0, v7
	v_and_b32_e32 v5, 7, v177
	s_delay_alu instid0(VALU_DEP_1) | instskip(NEXT) | instid1(VALU_DEP_1)
	v_clz_i32_u32_e32 v6, v5
	v_min_u32_e32 v6, 32, v6
	s_delay_alu instid0(VALU_DEP_1) | instskip(SKIP_2) | instid1(VALU_DEP_1)
	v_subrev_nc_u32_e32 v8, 28, v6
	v_sub_nc_u32_e32 v6, 29, v6
	s_wait_alu 0xfffd
	v_cndmask_b32_e32 v6, v7, v6, vcc_lo
	s_delay_alu instid0(VALU_DEP_3) | instskip(SKIP_1) | instid1(VALU_DEP_3)
	v_lshlrev_b32_e32 v8, v8, v5
	v_lshlrev_b32_e32 v7, 31, v9
	v_lshl_add_u32 v6, v6, 23, 0x3b800000
	s_delay_alu instid0(VALU_DEP_3) | instskip(NEXT) | instid1(VALU_DEP_1)
	v_and_b32_e32 v8, 7, v8
	v_cndmask_b32_e32 v5, v5, v8, vcc_lo
	s_delay_alu instid0(VALU_DEP_1) | instskip(NEXT) | instid1(VALU_DEP_1)
	v_lshlrev_b32_e32 v5, 20, v5
	v_or3_b32 v179, v7, v6, v5
.LBB11_491:
	s_or_b32 exec_lo, exec_lo, s1
	s_mov_b32 s1, 0
	s_mov_b32 s0, exec_lo
	v_cmpx_lt_i16_e64 0x7f, v176
	s_xor_b32 s0, exec_lo, s0
	s_cbranch_execnz .LBB11_1000
; %bb.492:
	s_or_saveexec_b32 s0, s0
	v_mov_b32_e32 v177, 0x7f800001
	s_xor_b32 exec_lo, exec_lo, s0
	s_cbranch_execnz .LBB11_1003
.LBB11_493:
	s_or_b32 exec_lo, exec_lo, s0
	s_and_saveexec_b32 s0, s1
	s_cbranch_execz .LBB11_495
.LBB11_494:
	v_lshrrev_b16 v7, 3, v176
	v_lshrrev_b16 v9, 7, v176
	s_delay_alu instid0(VALU_DEP_2) | instskip(NEXT) | instid1(VALU_DEP_1)
	v_and_b32_e32 v7, 15, v7
	v_cmp_eq_u16_e32 vcc_lo, 0, v7
	v_and_b32_e32 v5, 7, v176
	s_delay_alu instid0(VALU_DEP_1) | instskip(NEXT) | instid1(VALU_DEP_1)
	v_clz_i32_u32_e32 v6, v5
	v_min_u32_e32 v6, 32, v6
	s_delay_alu instid0(VALU_DEP_1) | instskip(SKIP_2) | instid1(VALU_DEP_1)
	v_subrev_nc_u32_e32 v8, 28, v6
	v_sub_nc_u32_e32 v6, 29, v6
	s_wait_alu 0xfffd
	v_cndmask_b32_e32 v6, v7, v6, vcc_lo
	s_delay_alu instid0(VALU_DEP_3) | instskip(SKIP_1) | instid1(VALU_DEP_3)
	v_lshlrev_b32_e32 v8, v8, v5
	v_lshlrev_b32_e32 v7, 31, v9
	v_lshl_add_u32 v6, v6, 23, 0x3b800000
	s_delay_alu instid0(VALU_DEP_3) | instskip(NEXT) | instid1(VALU_DEP_1)
	v_and_b32_e32 v8, 7, v8
	v_cndmask_b32_e32 v5, v5, v8, vcc_lo
	s_delay_alu instid0(VALU_DEP_1) | instskip(NEXT) | instid1(VALU_DEP_1)
	v_lshlrev_b32_e32 v5, 20, v5
	v_or3_b32 v177, v7, v6, v5
.LBB11_495:
	s_or_b32 exec_lo, exec_lo, s0
	v_and_b32_e32 v255, 0xff, v131
	s_mov_b32 s0, 0
	s_mov_b32 s1, exec_lo
	s_delay_alu instid0(VALU_DEP_1)
	v_cmpx_lt_i16_e64 0x7f, v255
	s_xor_b32 s1, exec_lo, s1
	s_cbranch_execnz .LBB11_1004
; %bb.496:
	s_or_saveexec_b32 s1, s1
	v_mov_b32_e32 v176, 0x7f800001
	s_xor_b32 exec_lo, exec_lo, s1
	s_cbranch_execnz .LBB11_1007
.LBB11_497:
	s_or_b32 exec_lo, exec_lo, s1
	s_and_saveexec_b32 s1, s0
	s_cbranch_execz .LBB11_499
.LBB11_498:
	v_lshrrev_b16 v7, 3, v131
	v_lshrrev_b16 v9, 7, v131
	s_delay_alu instid0(VALU_DEP_2) | instskip(NEXT) | instid1(VALU_DEP_1)
	v_and_b32_e32 v7, 15, v7
	v_cmp_eq_u16_e32 vcc_lo, 0, v7
	v_and_b32_e32 v5, 7, v131
	s_delay_alu instid0(VALU_DEP_1) | instskip(NEXT) | instid1(VALU_DEP_1)
	v_clz_i32_u32_e32 v6, v5
	v_min_u32_e32 v6, 32, v6
	s_delay_alu instid0(VALU_DEP_1) | instskip(SKIP_2) | instid1(VALU_DEP_1)
	v_subrev_nc_u32_e32 v8, 28, v6
	v_sub_nc_u32_e32 v6, 29, v6
	s_wait_alu 0xfffd
	v_cndmask_b32_e32 v6, v7, v6, vcc_lo
	s_delay_alu instid0(VALU_DEP_3) | instskip(SKIP_1) | instid1(VALU_DEP_3)
	v_lshlrev_b32_e32 v8, v8, v5
	v_lshlrev_b32_e32 v7, 31, v9
	v_lshl_add_u32 v6, v6, 23, 0x3b800000
	s_delay_alu instid0(VALU_DEP_3) | instskip(NEXT) | instid1(VALU_DEP_1)
	v_and_b32_e32 v8, 7, v8
	v_cndmask_b32_e32 v5, v5, v8, vcc_lo
	s_delay_alu instid0(VALU_DEP_1) | instskip(NEXT) | instid1(VALU_DEP_1)
	v_lshlrev_b32_e32 v5, 20, v5
	v_or3_b32 v176, v7, v6, v5
.LBB11_499:
	s_or_b32 exec_lo, exec_lo, s1
	v_and_b32_e32 v255, 0xff, v173
	s_mov_b32 s0, 0
	s_mov_b32 s1, exec_lo
	s_delay_alu instid0(VALU_DEP_1)
	v_cmpx_lt_i16_e64 0x7f, v255
	s_xor_b32 s1, exec_lo, s1
	s_cbranch_execnz .LBB11_1008
; %bb.500:
	s_or_saveexec_b32 s1, s1
	v_mov_b32_e32 v131, 0x7f800001
	s_xor_b32 exec_lo, exec_lo, s1
	s_cbranch_execnz .LBB11_1011
.LBB11_501:
	s_or_b32 exec_lo, exec_lo, s1
	s_and_saveexec_b32 s1, s0
	s_cbranch_execz .LBB11_503
.LBB11_502:
	v_lshrrev_b16 v7, 3, v173
	v_lshrrev_b16 v9, 7, v173
	s_delay_alu instid0(VALU_DEP_2) | instskip(NEXT) | instid1(VALU_DEP_1)
	v_and_b32_e32 v7, 15, v7
	v_cmp_eq_u16_e32 vcc_lo, 0, v7
	v_and_b32_e32 v5, 7, v173
	s_delay_alu instid0(VALU_DEP_1) | instskip(NEXT) | instid1(VALU_DEP_1)
	v_clz_i32_u32_e32 v6, v5
	v_min_u32_e32 v6, 32, v6
	s_delay_alu instid0(VALU_DEP_1) | instskip(SKIP_2) | instid1(VALU_DEP_1)
	v_subrev_nc_u32_e32 v8, 28, v6
	v_sub_nc_u32_e32 v6, 29, v6
	s_wait_alu 0xfffd
	v_cndmask_b32_e32 v6, v7, v6, vcc_lo
	s_delay_alu instid0(VALU_DEP_3) | instskip(SKIP_1) | instid1(VALU_DEP_3)
	v_lshlrev_b32_e32 v8, v8, v5
	v_lshlrev_b32_e32 v7, 31, v9
	v_lshl_add_u32 v6, v6, 23, 0x3b800000
	s_delay_alu instid0(VALU_DEP_3) | instskip(NEXT) | instid1(VALU_DEP_1)
	v_and_b32_e32 v8, 7, v8
	v_cndmask_b32_e32 v5, v5, v8, vcc_lo
	s_delay_alu instid0(VALU_DEP_1) | instskip(NEXT) | instid1(VALU_DEP_1)
	v_lshlrev_b32_e32 v5, 20, v5
	v_or3_b32 v131, v7, v6, v5
.LBB11_503:
	s_or_b32 exec_lo, exec_lo, s1
	v_and_b32_e32 v255, 0xff, v171
	s_mov_b32 s0, 0
	s_mov_b32 s1, exec_lo
	s_delay_alu instid0(VALU_DEP_1)
	v_cmpx_lt_i16_e64 0x7f, v255
	s_xor_b32 s1, exec_lo, s1
	s_cbranch_execnz .LBB11_1012
; %bb.504:
	s_or_saveexec_b32 s1, s1
	v_mov_b32_e32 v173, 0x7f800001
	s_xor_b32 exec_lo, exec_lo, s1
	s_cbranch_execnz .LBB11_1015
.LBB11_505:
	s_or_b32 exec_lo, exec_lo, s1
	s_and_saveexec_b32 s1, s0
	s_cbranch_execz .LBB11_507
.LBB11_506:
	v_lshrrev_b16 v7, 3, v171
	v_lshrrev_b16 v9, 7, v171
	s_delay_alu instid0(VALU_DEP_2) | instskip(NEXT) | instid1(VALU_DEP_1)
	v_and_b32_e32 v7, 15, v7
	v_cmp_eq_u16_e32 vcc_lo, 0, v7
	v_and_b32_e32 v5, 7, v171
	s_delay_alu instid0(VALU_DEP_1) | instskip(NEXT) | instid1(VALU_DEP_1)
	v_clz_i32_u32_e32 v6, v5
	v_min_u32_e32 v6, 32, v6
	s_delay_alu instid0(VALU_DEP_1) | instskip(SKIP_2) | instid1(VALU_DEP_1)
	v_subrev_nc_u32_e32 v8, 28, v6
	v_sub_nc_u32_e32 v6, 29, v6
	s_wait_alu 0xfffd
	v_cndmask_b32_e32 v6, v7, v6, vcc_lo
	s_delay_alu instid0(VALU_DEP_3) | instskip(SKIP_1) | instid1(VALU_DEP_3)
	v_lshlrev_b32_e32 v8, v8, v5
	v_lshlrev_b32_e32 v7, 31, v9
	v_lshl_add_u32 v6, v6, 23, 0x3b800000
	s_delay_alu instid0(VALU_DEP_3) | instskip(NEXT) | instid1(VALU_DEP_1)
	v_and_b32_e32 v8, 7, v8
	v_cndmask_b32_e32 v5, v5, v8, vcc_lo
	s_delay_alu instid0(VALU_DEP_1) | instskip(NEXT) | instid1(VALU_DEP_1)
	v_lshlrev_b32_e32 v5, 20, v5
	v_or3_b32 v173, v7, v6, v5
.LBB11_507:
	s_or_b32 exec_lo, exec_lo, s1
	s_mov_b32 s1, 0
	s_mov_b32 s0, exec_lo
	v_cmpx_lt_i16_e64 0x7f, v170
	s_xor_b32 s0, exec_lo, s0
	s_cbranch_execnz .LBB11_1016
; %bb.508:
	s_or_saveexec_b32 s0, s0
	v_mov_b32_e32 v171, 0x7f800001
	s_xor_b32 exec_lo, exec_lo, s0
	s_cbranch_execnz .LBB11_1019
.LBB11_509:
	s_or_b32 exec_lo, exec_lo, s0
	s_and_saveexec_b32 s0, s1
	s_cbranch_execz .LBB11_511
.LBB11_510:
	v_and_b32_e32 v5, 7, v170
	v_lshrrev_b16 v7, 3, v170
	v_lshrrev_b16 v9, 7, v170
	s_delay_alu instid0(VALU_DEP_3) | instskip(NEXT) | instid1(VALU_DEP_3)
	v_clz_i32_u32_e32 v6, v5
	v_and_b32_e32 v7, 15, v7
	s_delay_alu instid0(VALU_DEP_2) | instskip(NEXT) | instid1(VALU_DEP_2)
	v_min_u32_e32 v6, 32, v6
	v_cmp_eq_u16_e32 vcc_lo, 0, v7
	s_delay_alu instid0(VALU_DEP_2) | instskip(SKIP_1) | instid1(VALU_DEP_2)
	v_subrev_nc_u32_e32 v8, 28, v6
	v_sub_nc_u32_e32 v6, 29, v6
	v_lshlrev_b32_e32 v8, v8, v5
	s_wait_alu 0xfffd
	s_delay_alu instid0(VALU_DEP_2) | instskip(NEXT) | instid1(VALU_DEP_2)
	v_dual_cndmask_b32 v6, v7, v6 :: v_dual_lshlrev_b32 v7, 31, v9
	v_and_b32_e32 v8, 7, v8
	s_delay_alu instid0(VALU_DEP_2) | instskip(NEXT) | instid1(VALU_DEP_2)
	v_lshl_add_u32 v6, v6, 23, 0x3b800000
	v_cndmask_b32_e32 v5, v5, v8, vcc_lo
	s_delay_alu instid0(VALU_DEP_1) | instskip(NEXT) | instid1(VALU_DEP_1)
	v_lshlrev_b32_e32 v5, 20, v5
	v_or3_b32 v171, v7, v6, v5
.LBB11_511:
	s_or_b32 exec_lo, exec_lo, s0
	v_and_b32_e32 v255, 0xff, v132
	s_mov_b32 s0, 0
	s_mov_b32 s1, exec_lo
	s_delay_alu instid0(VALU_DEP_1)
	v_cmpx_lt_i16_e64 0x7f, v255
	s_xor_b32 s1, exec_lo, s1
	s_cbranch_execnz .LBB11_1020
; %bb.512:
	s_or_saveexec_b32 s1, s1
	v_mov_b32_e32 v170, 0x7f800001
	s_xor_b32 exec_lo, exec_lo, s1
	s_cbranch_execnz .LBB11_1023
.LBB11_513:
	s_or_b32 exec_lo, exec_lo, s1
	s_and_saveexec_b32 s1, s0
	s_cbranch_execz .LBB11_515
.LBB11_514:
	v_lshrrev_b16 v7, 3, v132
	v_lshrrev_b16 v9, 7, v132
	s_delay_alu instid0(VALU_DEP_2) | instskip(NEXT) | instid1(VALU_DEP_1)
	v_and_b32_e32 v7, 15, v7
	v_cmp_eq_u16_e32 vcc_lo, 0, v7
	v_and_b32_e32 v5, 7, v132
	s_delay_alu instid0(VALU_DEP_1) | instskip(NEXT) | instid1(VALU_DEP_1)
	v_clz_i32_u32_e32 v6, v5
	v_min_u32_e32 v6, 32, v6
	s_delay_alu instid0(VALU_DEP_1) | instskip(SKIP_2) | instid1(VALU_DEP_1)
	v_subrev_nc_u32_e32 v8, 28, v6
	v_sub_nc_u32_e32 v6, 29, v6
	s_wait_alu 0xfffd
	v_cndmask_b32_e32 v6, v7, v6, vcc_lo
	s_delay_alu instid0(VALU_DEP_3) | instskip(SKIP_1) | instid1(VALU_DEP_3)
	v_lshlrev_b32_e32 v8, v8, v5
	v_lshlrev_b32_e32 v7, 31, v9
	v_lshl_add_u32 v6, v6, 23, 0x3b800000
	s_delay_alu instid0(VALU_DEP_3) | instskip(NEXT) | instid1(VALU_DEP_1)
	v_and_b32_e32 v8, 7, v8
	v_cndmask_b32_e32 v5, v5, v8, vcc_lo
	s_delay_alu instid0(VALU_DEP_1) | instskip(NEXT) | instid1(VALU_DEP_1)
	v_lshlrev_b32_e32 v5, 20, v5
	v_or3_b32 v170, v7, v6, v5
.LBB11_515:
	s_or_b32 exec_lo, exec_lo, s1
	v_and_b32_e32 v255, 0xff, v167
	s_mov_b32 s0, 0
	s_mov_b32 s1, exec_lo
	s_delay_alu instid0(VALU_DEP_1)
	v_cmpx_lt_i16_e64 0x7f, v255
	s_xor_b32 s1, exec_lo, s1
	s_cbranch_execnz .LBB11_1024
; %bb.516:
	s_or_saveexec_b32 s1, s1
	v_mov_b32_e32 v132, 0x7f800001
	s_xor_b32 exec_lo, exec_lo, s1
	s_cbranch_execnz .LBB11_1027
.LBB11_517:
	s_or_b32 exec_lo, exec_lo, s1
	s_and_saveexec_b32 s1, s0
	s_cbranch_execz .LBB11_519
.LBB11_518:
	v_lshrrev_b16 v7, 3, v167
	v_lshrrev_b16 v9, 7, v167
	s_delay_alu instid0(VALU_DEP_2) | instskip(NEXT) | instid1(VALU_DEP_1)
	v_and_b32_e32 v7, 15, v7
	v_cmp_eq_u16_e32 vcc_lo, 0, v7
	v_and_b32_e32 v5, 7, v167
	s_delay_alu instid0(VALU_DEP_1) | instskip(NEXT) | instid1(VALU_DEP_1)
	v_clz_i32_u32_e32 v6, v5
	v_min_u32_e32 v6, 32, v6
	s_delay_alu instid0(VALU_DEP_1) | instskip(SKIP_2) | instid1(VALU_DEP_1)
	v_subrev_nc_u32_e32 v8, 28, v6
	v_sub_nc_u32_e32 v6, 29, v6
	s_wait_alu 0xfffd
	v_cndmask_b32_e32 v6, v7, v6, vcc_lo
	s_delay_alu instid0(VALU_DEP_3) | instskip(SKIP_1) | instid1(VALU_DEP_3)
	v_lshlrev_b32_e32 v8, v8, v5
	v_lshlrev_b32_e32 v7, 31, v9
	v_lshl_add_u32 v6, v6, 23, 0x3b800000
	s_delay_alu instid0(VALU_DEP_3) | instskip(NEXT) | instid1(VALU_DEP_1)
	v_and_b32_e32 v8, 7, v8
	v_cndmask_b32_e32 v5, v5, v8, vcc_lo
	s_delay_alu instid0(VALU_DEP_1) | instskip(NEXT) | instid1(VALU_DEP_1)
	v_lshlrev_b32_e32 v5, 20, v5
	v_or3_b32 v132, v7, v6, v5
.LBB11_519:
	s_or_b32 exec_lo, exec_lo, s1
	v_and_b32_e32 v255, 0xff, v165
	s_mov_b32 s0, 0
	s_mov_b32 s1, exec_lo
	s_delay_alu instid0(VALU_DEP_1)
	v_cmpx_lt_i16_e64 0x7f, v255
	s_xor_b32 s1, exec_lo, s1
	s_cbranch_execnz .LBB11_1028
; %bb.520:
	s_or_saveexec_b32 s1, s1
	v_mov_b32_e32 v167, 0x7f800001
	s_xor_b32 exec_lo, exec_lo, s1
	s_cbranch_execnz .LBB11_1031
.LBB11_521:
	s_or_b32 exec_lo, exec_lo, s1
	s_and_saveexec_b32 s1, s0
	s_cbranch_execz .LBB11_523
.LBB11_522:
	v_lshrrev_b16 v7, 3, v165
	v_lshrrev_b16 v9, 7, v165
	s_delay_alu instid0(VALU_DEP_2) | instskip(NEXT) | instid1(VALU_DEP_1)
	v_and_b32_e32 v7, 15, v7
	v_cmp_eq_u16_e32 vcc_lo, 0, v7
	v_and_b32_e32 v5, 7, v165
	s_delay_alu instid0(VALU_DEP_1) | instskip(NEXT) | instid1(VALU_DEP_1)
	v_clz_i32_u32_e32 v6, v5
	v_min_u32_e32 v6, 32, v6
	s_delay_alu instid0(VALU_DEP_1) | instskip(SKIP_2) | instid1(VALU_DEP_1)
	v_subrev_nc_u32_e32 v8, 28, v6
	v_sub_nc_u32_e32 v6, 29, v6
	s_wait_alu 0xfffd
	v_cndmask_b32_e32 v6, v7, v6, vcc_lo
	s_delay_alu instid0(VALU_DEP_3) | instskip(SKIP_1) | instid1(VALU_DEP_3)
	v_lshlrev_b32_e32 v8, v8, v5
	v_lshlrev_b32_e32 v7, 31, v9
	v_lshl_add_u32 v6, v6, 23, 0x3b800000
	s_delay_alu instid0(VALU_DEP_3) | instskip(NEXT) | instid1(VALU_DEP_1)
	v_and_b32_e32 v8, 7, v8
	v_cndmask_b32_e32 v5, v5, v8, vcc_lo
	s_delay_alu instid0(VALU_DEP_1) | instskip(NEXT) | instid1(VALU_DEP_1)
	v_lshlrev_b32_e32 v5, 20, v5
	v_or3_b32 v167, v7, v6, v5
.LBB11_523:
	s_or_b32 exec_lo, exec_lo, s1
	s_mov_b32 s1, 0
	s_mov_b32 s0, exec_lo
	v_cmpx_lt_i16_e64 0x7f, v164
	s_xor_b32 s0, exec_lo, s0
	s_cbranch_execnz .LBB11_1032
; %bb.524:
	s_or_saveexec_b32 s0, s0
	v_mov_b32_e32 v165, 0x7f800001
	s_xor_b32 exec_lo, exec_lo, s0
	s_cbranch_execnz .LBB11_1035
.LBB11_525:
	s_or_b32 exec_lo, exec_lo, s0
	s_and_saveexec_b32 s0, s1
	s_cbranch_execz .LBB11_527
.LBB11_526:
	v_lshrrev_b16 v7, 3, v164
	v_lshrrev_b16 v9, 7, v164
	s_delay_alu instid0(VALU_DEP_2) | instskip(NEXT) | instid1(VALU_DEP_1)
	v_and_b32_e32 v7, 15, v7
	v_cmp_eq_u16_e32 vcc_lo, 0, v7
	v_and_b32_e32 v5, 7, v164
	s_delay_alu instid0(VALU_DEP_1) | instskip(NEXT) | instid1(VALU_DEP_1)
	v_clz_i32_u32_e32 v6, v5
	v_min_u32_e32 v6, 32, v6
	s_delay_alu instid0(VALU_DEP_1) | instskip(SKIP_2) | instid1(VALU_DEP_1)
	v_subrev_nc_u32_e32 v8, 28, v6
	v_sub_nc_u32_e32 v6, 29, v6
	s_wait_alu 0xfffd
	v_cndmask_b32_e32 v6, v7, v6, vcc_lo
	s_delay_alu instid0(VALU_DEP_3) | instskip(SKIP_1) | instid1(VALU_DEP_3)
	v_lshlrev_b32_e32 v8, v8, v5
	v_lshlrev_b32_e32 v7, 31, v9
	v_lshl_add_u32 v6, v6, 23, 0x3b800000
	s_delay_alu instid0(VALU_DEP_3) | instskip(NEXT) | instid1(VALU_DEP_1)
	v_and_b32_e32 v8, 7, v8
	v_cndmask_b32_e32 v5, v5, v8, vcc_lo
	s_delay_alu instid0(VALU_DEP_1) | instskip(NEXT) | instid1(VALU_DEP_1)
	v_lshlrev_b32_e32 v5, 20, v5
	v_or3_b32 v165, v7, v6, v5
.LBB11_527:
	s_or_b32 exec_lo, exec_lo, s0
	s_lshl_b64 s[0:1], s[22:23], 1
	s_mov_b32 s3, 0
	s_mov_b32 s2, s17
	v_cvt_pk_rtz_f16_f32_e32 v8, v191, v189
	v_cvt_pk_rtz_f16_f32_e32 v7, v194, v136
	v_cvt_pk_rtz_f16_f32_e32 v6, v197, v195
	v_cvt_pk_rtz_f16_f32_e32 v5, v200, v135
	v_cvt_pk_rtz_f16_f32_e32 v12, v203, v201
	v_cvt_pk_rtz_f16_f32_e32 v11, v206, v134
	v_cvt_pk_rtz_f16_f32_e32 v10, v209, v207
	v_cvt_pk_rtz_f16_f32_e32 v9, v212, v133
	v_cvt_pk_rtz_f16_f32_e32 v16, v215, v213
	v_cvt_pk_rtz_f16_f32_e32 v15, v218, v140
	v_cvt_pk_rtz_f16_f32_e32 v14, v221, v219
	v_cvt_pk_rtz_f16_f32_e32 v13, v224, v139
	v_cvt_pk_rtz_f16_f32_e32 v140, v227, v225
	v_cvt_pk_rtz_f16_f32_e32 v139, v230, v138
	v_cvt_pk_rtz_f16_f32_e32 v138, v233, v231
	v_cvt_pk_rtz_f16_f32_e32 v137, v235, v137
	v_cvt_pk_rtz_f16_f32_e32 v20, v238, v237
	v_cvt_pk_rtz_f16_f32_e32 v19, v241, v144
	v_cvt_pk_rtz_f16_f32_e32 v18, v244, v243
	v_cvt_pk_rtz_f16_f32_e32 v17, v247, v143
	v_cvt_pk_rtz_f16_f32_e32 v144, v250, v249
	v_cvt_pk_rtz_f16_f32_e32 v143, v253, v142
	v_cvt_pk_rtz_f16_f32_e32 v142, v141, v162
	v_cvt_pk_rtz_f16_f32_e32 v141, v3, v4
	v_cvt_pk_rtz_f16_f32_e32 v4, v1, v2
	v_cvt_pk_rtz_f16_f32_e32 v3, v254, v148
	v_cvt_pk_rtz_f16_f32_e32 v2, v251, v252
	v_cvt_pk_rtz_f16_f32_e32 v1, v248, v147
	v_cvt_pk_rtz_f16_f32_e32 v148, v245, v246
	v_cvt_pk_rtz_f16_f32_e32 v147, v242, v146
	v_cvt_pk_rtz_f16_f32_e32 v146, v239, v240
	v_cvt_pk_rtz_f16_f32_e32 v145, v236, v145
	v_cvt_pk_rtz_f16_f32_e32 v230, v232, v234
	v_cvt_pk_rtz_f16_f32_e32 v229, v229, v152
	v_cvt_pk_rtz_f16_f32_e32 v228, v226, v228
	v_cvt_pk_rtz_f16_f32_e32 v227, v223, v151
	v_cvt_pk_rtz_f16_f32_e32 v152, v220, v222
	v_cvt_pk_rtz_f16_f32_e32 v151, v217, v150
	v_cvt_pk_rtz_f16_f32_e32 v150, v214, v216
	v_cvt_pk_rtz_f16_f32_e32 v149, v211, v149
	v_cvt_pk_rtz_f16_f32_e32 v206, v208, v210
	v_cvt_pk_rtz_f16_f32_e32 v205, v205, v156
	v_cvt_pk_rtz_f16_f32_e32 v204, v202, v204
	v_cvt_pk_rtz_f16_f32_e32 v203, v199, v155
	v_cvt_pk_rtz_f16_f32_e32 v156, v196, v198
	v_cvt_pk_rtz_f16_f32_e32 v155, v193, v154
	v_cvt_pk_rtz_f16_f32_e32 v154, v190, v192
	v_cvt_pk_rtz_f16_f32_e32 v153, v187, v153
	v_cvt_pk_rtz_f16_f32_e32 v192, v184, v186
	v_cvt_pk_rtz_f16_f32_e32 v191, v181, v160
	v_cvt_pk_rtz_f16_f32_e32 v190, v178, v180
	v_cvt_pk_rtz_f16_f32_e32 v189, v175, v159
	v_cvt_pk_rtz_f16_f32_e32 v160, v172, v174
	v_cvt_pk_rtz_f16_f32_e32 v159, v169, v158
	v_cvt_pk_rtz_f16_f32_e32 v158, v166, v168
	v_cvt_pk_rtz_f16_f32_e32 v157, v163, v157
	v_cvt_pk_rtz_f16_f32_e32 v180, v188, v129
	v_cvt_pk_rtz_f16_f32_e32 v181, v185, v183
	v_cvt_pk_rtz_f16_f32_e32 v182, v182, v130
	v_cvt_pk_rtz_f16_f32_e32 v183, v179, v177
	v_cvt_pk_rtz_f16_f32_e32 v164, v170, v132
	v_cvt_pk_rtz_f16_f32_e32 v162, v176, v131
	v_cvt_pk_rtz_f16_f32_e32 v163, v173, v171
	v_cvt_pk_rtz_f16_f32_e32 v165, v167, v165
	s_add_nc_u64 s[8:9], s[20:21], s[0:1]
	s_mul_u64 s[2:3], s[24:25], s[2:3]
	; sched_barrier mask(0x00000000)
	s_barrier_signal -1
	s_barrier_wait -1
	; sched_barrier mask(0x00000000)
	v_wmma_f32_16x16x16_f16 v[129:136], v[157:160], v[61:64], 0
	s_delay_alu instid0(VALU_DEP_1) | instskip(SKIP_1) | instid1(VALU_DEP_1)
	v_wmma_f32_16x16x16_f16 v[129:136], v[189:192], v[57:60], v[129:136]
	; sched_barrier mask(0x00000000)
	s_setprio 1
	; sched_barrier mask(0x00000000)
	v_wmma_f32_16x16x16_f16 v[129:136], v[153:156], v[29:32], v[129:136]
	scratch_load_b128 v[29:32], off, off offset:64 th:TH_LOAD_LU ; 16-byte Folded Reload
	s_wait_dscnt 0xf
	v_wmma_f32_16x16x16_f16 v[57:64], v[157:160], v[125:128], 0
	s_wait_dscnt 0xe
	s_delay_alu instid0(VALU_DEP_1) | instskip(SKIP_1) | instid1(VALU_DEP_1)
	v_wmma_f32_16x16x16_f16 v[57:64], v[189:192], v[121:124], v[57:64]
	s_wait_dscnt 0xd
	v_wmma_f32_16x16x16_f16 v[57:64], v[153:156], v[113:116], v[57:64]
	s_wait_dscnt 0xc
	s_delay_alu instid0(VALU_DEP_1) | instskip(SKIP_1) | instid1(VALU_DEP_1)
	v_wmma_f32_16x16x16_f16 v[57:64], v[203:206], v[97:100], v[57:64]
	;; [unrolled: 5-line block ×6, first 2 shown]
	s_wait_dscnt 0x3
	v_wmma_f32_16x16x16_f16 v[57:64], v[9:12], v[81:84], v[57:64]
	s_wait_dscnt 0x2
	s_delay_alu instid0(VALU_DEP_1)
	v_wmma_f32_16x16x16_f16 v[57:64], v[5:8], v[73:76], v[57:64]
	s_wait_loadcnt 0x0
	v_wmma_f32_16x16x16_f16 v[129:136], v[203:206], v[29:32], v[129:136]
	scratch_load_b128 v[29:32], off, off th:TH_LOAD_LU ; 16-byte Folded Reload
	s_wait_loadcnt 0x0
	v_wmma_f32_16x16x16_f16 v[129:136], v[149:152], v[29:32], v[129:136]
	scratch_load_b128 v[29:32], off, off offset:32 th:TH_LOAD_LU ; 16-byte Folded Reload
	v_wmma_f32_16x16x16_f16 v[129:136], v[227:230], v[33:36], v[129:136]
	s_wait_loadcnt 0x0
	s_delay_alu instid0(VALU_DEP_1) | instskip(NEXT) | instid1(VALU_DEP_1)
	v_wmma_f32_16x16x16_f16 v[129:136], v[145:148], v[29:32], v[129:136]
	v_wmma_f32_16x16x16_f16 v[129:136], v[1:4], v[21:24], v[129:136]
	s_clause 0x1
	scratch_load_b128 v[21:24], off, off offset:16 th:TH_LOAD_LU
	scratch_load_b128 v[1:4], off, off offset:48 th:TH_LOAD_LU
	s_wait_loadcnt 0x1
	v_wmma_f32_16x16x16_f16 v[129:136], v[141:144], v[21:24], v[129:136]
	s_delay_alu instid0(VALU_DEP_1) | instskip(SKIP_1) | instid1(VALU_DEP_1)
	v_wmma_f32_16x16x16_f16 v[129:136], v[17:20], v[41:44], v[129:136]
	s_wait_loadcnt 0x0
	v_wmma_f32_16x16x16_f16 v[129:136], v[137:140], v[1:4], v[129:136]
	s_delay_alu instid0(VALU_DEP_1) | instskip(NEXT) | instid1(VALU_DEP_1)
	v_wmma_f32_16x16x16_f16 v[129:136], v[13:16], v[49:52], v[129:136]
	v_wmma_f32_16x16x16_f16 v[129:136], v[9:12], v[37:40], v[129:136]
	s_delay_alu instid0(VALU_DEP_1) | instskip(NEXT) | instid1(VALU_DEP_1)
	v_wmma_f32_16x16x16_f16 v[129:136], v[5:8], v[45:48], v[129:136]
	v_wmma_f32_16x16x16_f16 v[129:136], v[180:183], v[25:28], v[129:136]
	s_delay_alu instid0(VALU_DEP_1) | instskip(SKIP_4) | instid1(VALU_DEP_1)
	v_wmma_f32_16x16x16_f16 v[129:136], v[162:165], v[53:56], v[129:136]
	; sched_barrier mask(0x00000000)
	s_wait_dscnt 0x0
	s_barrier_signal -1
	s_barrier_wait -1
	; sched_barrier mask(0x00000000)
	v_wmma_f32_16x16x16_f16 v[57:64], v[180:183], v[69:72], v[57:64]
	v_wmma_f32_16x16x16_f16 v[57:64], v[162:165], v[65:68], v[57:64]
	; sched_barrier mask(0x00000000)
	s_setprio 0
	; sched_barrier mask(0x00000000)
	v_lshrrev_b32_e32 v4, 2, v0
	v_lshlrev_b32_e32 v1, 3, v0
	v_lshlrev_b32_e32 v0, 6, v0
	v_cvt_f16_f32_e64 v6, v129
	v_cvt_f16_f32_e64 v2, v133
	;; [unrolled: 1-line block ×3, first 2 shown]
	v_and_b32_e32 v5, 24, v1
	v_and_b32_e32 v0, 0x3c0, v0
	v_cvt_f16_f32_e64 v1, v131
	v_cvt_f16_f32_e64 v10, v136
	;; [unrolled: 1-line block ×3, first 2 shown]
	v_or_b32_e32 v8, s6, v5
	v_cvt_f16_f32_e64 v12, v132
	v_lshl_or_b32 v13, v161, 1, v0
	v_cvt_f16_f32_e64 v0, v130
	v_lshlrev_b32_e32 v5, 1, v5
	v_lshl_or_b32 v7, s19, 5, v4
	v_pack_b32_f16 v3, v3, v10
	v_pack_b32_f16 v2, v2, v11
	v_pack_b32_f16 v1, v1, v12
	v_pack_b32_f16 v0, v6, v0
	v_lshl_or_b32 v4, v4, 6, v5
	v_mul_lo_u32 v9, v7, s17
	s_wait_dscnt 0x0
	s_barrier_signal -1
	s_barrier_wait -1
	ds_store_b128 v13, v[0:3]
	s_wait_dscnt 0x0
	s_barrier_signal -1
	s_barrier_wait -1
	ds_load_b128 v[0:3], v4
	v_cmp_gt_i32_e32 vcc_lo, s5, v8
	v_cmp_gt_i32_e64 s0, s4, v7
	v_or_b32_e32 v5, 4, v8
	v_add_lshl_u32 v6, v9, v8, 1
	s_add_co_i32 s2, s5, s3
	s_and_b32 s9, s9, 0xffff
	s_and_b32 s1, s0, vcc_lo
	s_lshl_b32 s10, s2, 1
	v_cndmask_b32_e64 v8, 0x80000000, 0, s1
	v_cmp_gt_i32_e64 s1, s5, v5
	s_mov_b32 s11, 0x31004000
	v_cvt_f16_f32_e32 v9, v63
	v_cvt_f16_f32_e32 v10, v64
	v_add_nc_u32_e32 v5, v8, v6
	s_and_b32 s0, s0, s1
	v_cvt_f16_f32_e32 v11, v62
	s_wait_alu 0xfffe
	v_cndmask_b32_e64 v8, 0x80000000, 0, s0
	v_cvt_f16_f32_e32 v12, v60
	v_cvt_f16_f32_e32 v14, v58
	s_wait_dscnt 0x0
	buffer_store_b64 v[0:1], v5, s[8:11], null offen
	v_cvt_f16_f32_e32 v5, v57
	v_add_nc_u32_e32 v0, v6, v8
	v_cvt_f16_f32_e32 v1, v59
	v_cvt_f16_f32_e32 v8, v61
	buffer_store_b64 v[2:3], v0, s[8:11], null offen offset:8
	v_pack_b32_f16 v3, v9, v10
	v_pack_b32_f16 v2, v8, v11
	v_pack_b32_f16 v1, v1, v12
	v_pack_b32_f16 v0, v5, v14
	v_or_b32_e32 v5, 16, v7
	s_wait_dscnt 0x0
	s_barrier_signal -1
	s_barrier_wait -1
	ds_store_b128 v13, v[0:3]
	s_wait_dscnt 0x0
	s_barrier_signal -1
	s_barrier_wait -1
	ds_load_b128 v[0:3], v4
	v_cmp_gt_i32_e64 s0, s4, v5
	v_lshl_add_u32 v4, s17, 5, v6
	s_and_b32 s2, vcc_lo, s0
	s_and_b32 s0, s0, s1
	v_cndmask_b32_e64 v5, 0x80000000, 0, s2
	s_wait_alu 0xfffe
	v_cndmask_b32_e64 v6, 0x80000000, 0, s0
	s_delay_alu instid0(VALU_DEP_2) | instskip(NEXT) | instid1(VALU_DEP_2)
	v_add_nc_u32_e32 v5, v5, v4
	v_add_nc_u32_e32 v4, v4, v6
	s_wait_dscnt 0x0
	s_clause 0x1
	buffer_store_b64 v[0:1], v5, s[8:11], null offen
	buffer_store_b64 v[2:3], v4, s[8:11], null offen offset:8
	s_nop 0
	s_sendmsg sendmsg(MSG_DEALLOC_VGPRS)
	s_endpgm
.LBB11_528:
	s_mov_b32 s0, -1
	s_mov_b32 s2, exec_lo
	v_cmpx_eq_u16_e64 0x80, v254
; %bb.529:
	s_xor_b32 s0, exec_lo, -1
; %bb.530:
	s_or_b32 exec_lo, exec_lo, s2
	s_delay_alu instid0(SALU_CYCLE_1)
	s_and_b32 s0, s0, exec_lo
                                        ; implicit-def: $vgpr254
	s_or_saveexec_b32 s1, s1
	v_mov_b32_e32 v157, 0x7f800001
	s_xor_b32 exec_lo, exec_lo, s1
	s_cbranch_execz .LBB11_21
.LBB11_531:
	v_cmp_ne_u16_e64 vcc_lo, 0, v254
	v_mov_b32_e32 v157, 0
	s_and_not1_b32 s0, s0, exec_lo
	s_and_b32 s2, vcc_lo, exec_lo
	s_delay_alu instid0(SALU_CYCLE_1)
	s_or_b32 s0, s0, s2
	s_or_b32 exec_lo, exec_lo, s1
	s_and_saveexec_b32 s1, s0
	s_cbranch_execnz .LBB11_22
	s_branch .LBB11_23
.LBB11_532:
	s_mov_b32 s0, -1
	s_mov_b32 s2, exec_lo
	v_cmpx_eq_u16_e64 0x80, v254
; %bb.533:
	s_xor_b32 s0, exec_lo, -1
; %bb.534:
	s_or_b32 exec_lo, exec_lo, s2
	s_delay_alu instid0(SALU_CYCLE_1)
	s_and_b32 s0, s0, exec_lo
                                        ; implicit-def: $vgpr254
	s_or_saveexec_b32 s1, s1
	v_mov_b32_e32 v166, 0x7f800001
	s_xor_b32 exec_lo, exec_lo, s1
	s_cbranch_execz .LBB11_25
.LBB11_535:
	v_cmp_ne_u16_e64 vcc_lo, 0, v254
	v_mov_b32_e32 v166, 0
	s_and_not1_b32 s0, s0, exec_lo
	s_and_b32 s2, vcc_lo, exec_lo
	s_delay_alu instid0(SALU_CYCLE_1)
	s_or_b32 s0, s0, s2
	s_or_b32 exec_lo, exec_lo, s1
	s_and_saveexec_b32 s1, s0
	s_cbranch_execnz .LBB11_26
	s_branch .LBB11_27
.LBB11_536:
	s_mov_b32 s1, -1
	s_mov_b32 s2, exec_lo
	v_cmpx_eq_u16_e64 0x80, v169
; %bb.537:
	s_xor_b32 s1, exec_lo, -1
; %bb.538:
	s_or_b32 exec_lo, exec_lo, s2
	s_delay_alu instid0(SALU_CYCLE_1)
	s_and_b32 s1, s1, exec_lo
	s_or_saveexec_b32 s0, s0
	v_mov_b32_e32 v168, 0x7f800001
	s_xor_b32 exec_lo, exec_lo, s0
	s_cbranch_execz .LBB11_29
.LBB11_539:
	v_cmp_ne_u16_e64 vcc_lo, 0, v169
	v_mov_b32_e32 v168, 0
	s_and_not1_b32 s1, s1, exec_lo
	s_and_b32 s2, vcc_lo, exec_lo
	s_delay_alu instid0(SALU_CYCLE_1)
	s_or_b32 s1, s1, s2
	s_or_b32 exec_lo, exec_lo, s0
	s_and_saveexec_b32 s0, s1
	s_cbranch_execnz .LBB11_30
	s_branch .LBB11_31
.LBB11_540:
	s_mov_b32 s0, -1
	s_mov_b32 s2, exec_lo
	v_cmpx_eq_u16_e64 0x80, v254
; %bb.541:
	s_xor_b32 s0, exec_lo, -1
; %bb.542:
	s_or_b32 exec_lo, exec_lo, s2
	s_delay_alu instid0(SALU_CYCLE_1)
	s_and_b32 s0, s0, exec_lo
                                        ; implicit-def: $vgpr254
	s_or_saveexec_b32 s1, s1
	v_mov_b32_e32 v169, 0x7f800001
	s_xor_b32 exec_lo, exec_lo, s1
	s_cbranch_execz .LBB11_33
.LBB11_543:
	v_cmp_ne_u16_e64 vcc_lo, 0, v254
	v_mov_b32_e32 v169, 0
	s_and_not1_b32 s0, s0, exec_lo
	s_and_b32 s2, vcc_lo, exec_lo
	s_delay_alu instid0(SALU_CYCLE_1)
	s_or_b32 s0, s0, s2
	s_or_b32 exec_lo, exec_lo, s1
	s_and_saveexec_b32 s1, s0
	s_cbranch_execnz .LBB11_34
	s_branch .LBB11_35
.LBB11_544:
	s_mov_b32 s0, -1
	s_mov_b32 s2, exec_lo
	v_cmpx_eq_u16_e64 0x80, v254
; %bb.545:
	s_xor_b32 s0, exec_lo, -1
; %bb.546:
	s_or_b32 exec_lo, exec_lo, s2
	s_delay_alu instid0(SALU_CYCLE_1)
	s_and_b32 s0, s0, exec_lo
                                        ; implicit-def: $vgpr254
	s_or_saveexec_b32 s1, s1
	v_mov_b32_e32 v158, 0x7f800001
	s_xor_b32 exec_lo, exec_lo, s1
	s_cbranch_execz .LBB11_37
.LBB11_547:
	v_cmp_ne_u16_e64 vcc_lo, 0, v254
	v_mov_b32_e32 v158, 0
	s_and_not1_b32 s0, s0, exec_lo
	s_and_b32 s2, vcc_lo, exec_lo
	s_delay_alu instid0(SALU_CYCLE_1)
	s_or_b32 s0, s0, s2
	s_or_b32 exec_lo, exec_lo, s1
	s_and_saveexec_b32 s1, s0
	s_cbranch_execnz .LBB11_38
	s_branch .LBB11_39
.LBB11_548:
	s_mov_b32 s0, -1
	s_mov_b32 s2, exec_lo
	v_cmpx_eq_u16_e64 0x80, v254
; %bb.549:
	s_xor_b32 s0, exec_lo, -1
; %bb.550:
	s_or_b32 exec_lo, exec_lo, s2
	s_delay_alu instid0(SALU_CYCLE_1)
	s_and_b32 s0, s0, exec_lo
                                        ; implicit-def: $vgpr254
	s_or_saveexec_b32 s1, s1
	v_mov_b32_e32 v172, 0x7f800001
	s_xor_b32 exec_lo, exec_lo, s1
	s_cbranch_execz .LBB11_41
.LBB11_551:
	v_cmp_ne_u16_e64 vcc_lo, 0, v254
	v_mov_b32_e32 v172, 0
	s_and_not1_b32 s0, s0, exec_lo
	s_and_b32 s2, vcc_lo, exec_lo
	s_delay_alu instid0(SALU_CYCLE_1)
	s_or_b32 s0, s0, s2
	s_or_b32 exec_lo, exec_lo, s1
	s_and_saveexec_b32 s1, s0
	s_cbranch_execnz .LBB11_42
	s_branch .LBB11_43
.LBB11_552:
	s_mov_b32 s1, -1
	s_mov_b32 s2, exec_lo
	v_cmpx_eq_u16_e64 0x80, v175
; %bb.553:
	s_xor_b32 s1, exec_lo, -1
; %bb.554:
	s_or_b32 exec_lo, exec_lo, s2
	s_delay_alu instid0(SALU_CYCLE_1)
	s_and_b32 s1, s1, exec_lo
	s_or_saveexec_b32 s0, s0
	v_mov_b32_e32 v174, 0x7f800001
	s_xor_b32 exec_lo, exec_lo, s0
	s_cbranch_execz .LBB11_45
.LBB11_555:
	v_cmp_ne_u16_e64 vcc_lo, 0, v175
	v_mov_b32_e32 v174, 0
	s_and_not1_b32 s1, s1, exec_lo
	s_and_b32 s2, vcc_lo, exec_lo
	s_delay_alu instid0(SALU_CYCLE_1)
	s_or_b32 s1, s1, s2
	s_or_b32 exec_lo, exec_lo, s0
	s_and_saveexec_b32 s0, s1
	s_cbranch_execnz .LBB11_46
	s_branch .LBB11_47
.LBB11_556:
	s_mov_b32 s0, -1
	s_mov_b32 s2, exec_lo
	v_cmpx_eq_u16_e64 0x80, v254
; %bb.557:
	s_xor_b32 s0, exec_lo, -1
; %bb.558:
	s_or_b32 exec_lo, exec_lo, s2
	s_delay_alu instid0(SALU_CYCLE_1)
	s_and_b32 s0, s0, exec_lo
                                        ; implicit-def: $vgpr254
	s_or_saveexec_b32 s1, s1
	v_mov_b32_e32 v175, 0x7f800001
	s_xor_b32 exec_lo, exec_lo, s1
	s_cbranch_execz .LBB11_49
.LBB11_559:
	v_cmp_ne_u16_e64 vcc_lo, 0, v254
	v_mov_b32_e32 v175, 0
	s_and_not1_b32 s0, s0, exec_lo
	s_and_b32 s2, vcc_lo, exec_lo
	s_delay_alu instid0(SALU_CYCLE_1)
	s_or_b32 s0, s0, s2
	s_or_b32 exec_lo, exec_lo, s1
	s_and_saveexec_b32 s1, s0
	s_cbranch_execnz .LBB11_50
	s_branch .LBB11_51
.LBB11_560:
	s_mov_b32 s0, -1
	s_mov_b32 s2, exec_lo
	v_cmpx_eq_u16_e64 0x80, v254
; %bb.561:
	s_xor_b32 s0, exec_lo, -1
; %bb.562:
	s_or_b32 exec_lo, exec_lo, s2
	s_delay_alu instid0(SALU_CYCLE_1)
	s_and_b32 s0, s0, exec_lo
                                        ; implicit-def: $vgpr254
	s_or_saveexec_b32 s1, s1
	v_mov_b32_e32 v159, 0x7f800001
	s_xor_b32 exec_lo, exec_lo, s1
	s_cbranch_execz .LBB11_53
.LBB11_563:
	v_cmp_ne_u16_e64 vcc_lo, 0, v254
	v_mov_b32_e32 v159, 0
	s_and_not1_b32 s0, s0, exec_lo
	s_and_b32 s2, vcc_lo, exec_lo
	s_delay_alu instid0(SALU_CYCLE_1)
	s_or_b32 s0, s0, s2
	s_or_b32 exec_lo, exec_lo, s1
	s_and_saveexec_b32 s1, s0
	s_cbranch_execnz .LBB11_54
	s_branch .LBB11_55
.LBB11_564:
	s_mov_b32 s0, -1
	s_mov_b32 s2, exec_lo
	v_cmpx_eq_u16_e64 0x80, v254
; %bb.565:
	s_xor_b32 s0, exec_lo, -1
; %bb.566:
	s_or_b32 exec_lo, exec_lo, s2
	s_delay_alu instid0(SALU_CYCLE_1)
	s_and_b32 s0, s0, exec_lo
                                        ; implicit-def: $vgpr254
	s_or_saveexec_b32 s1, s1
	v_mov_b32_e32 v178, 0x7f800001
	s_xor_b32 exec_lo, exec_lo, s1
	s_cbranch_execz .LBB11_57
.LBB11_567:
	v_cmp_ne_u16_e64 vcc_lo, 0, v254
	v_mov_b32_e32 v178, 0
	s_and_not1_b32 s0, s0, exec_lo
	s_and_b32 s2, vcc_lo, exec_lo
	s_delay_alu instid0(SALU_CYCLE_1)
	s_or_b32 s0, s0, s2
	s_or_b32 exec_lo, exec_lo, s1
	s_and_saveexec_b32 s1, s0
	s_cbranch_execnz .LBB11_58
	s_branch .LBB11_59
.LBB11_568:
	s_mov_b32 s1, -1
	s_mov_b32 s2, exec_lo
	v_cmpx_eq_u16_e64 0x80, v181
; %bb.569:
	s_xor_b32 s1, exec_lo, -1
; %bb.570:
	s_or_b32 exec_lo, exec_lo, s2
	s_delay_alu instid0(SALU_CYCLE_1)
	s_and_b32 s1, s1, exec_lo
	s_or_saveexec_b32 s0, s0
	v_mov_b32_e32 v180, 0x7f800001
	s_xor_b32 exec_lo, exec_lo, s0
	s_cbranch_execz .LBB11_61
.LBB11_571:
	v_cmp_ne_u16_e64 vcc_lo, 0, v181
	v_mov_b32_e32 v180, 0
	s_and_not1_b32 s1, s1, exec_lo
	s_and_b32 s2, vcc_lo, exec_lo
	s_delay_alu instid0(SALU_CYCLE_1)
	s_or_b32 s1, s1, s2
	s_or_b32 exec_lo, exec_lo, s0
	s_and_saveexec_b32 s0, s1
	s_cbranch_execnz .LBB11_62
	s_branch .LBB11_63
.LBB11_572:
	s_mov_b32 s0, -1
	s_mov_b32 s2, exec_lo
	v_cmpx_eq_u16_e64 0x80, v254
; %bb.573:
	s_xor_b32 s0, exec_lo, -1
; %bb.574:
	s_or_b32 exec_lo, exec_lo, s2
	s_delay_alu instid0(SALU_CYCLE_1)
	s_and_b32 s0, s0, exec_lo
                                        ; implicit-def: $vgpr254
	s_or_saveexec_b32 s1, s1
	v_mov_b32_e32 v181, 0x7f800001
	s_xor_b32 exec_lo, exec_lo, s1
	s_cbranch_execz .LBB11_65
.LBB11_575:
	v_cmp_ne_u16_e64 vcc_lo, 0, v254
	v_mov_b32_e32 v181, 0
	s_and_not1_b32 s0, s0, exec_lo
	s_and_b32 s2, vcc_lo, exec_lo
	s_delay_alu instid0(SALU_CYCLE_1)
	s_or_b32 s0, s0, s2
	s_or_b32 exec_lo, exec_lo, s1
	s_and_saveexec_b32 s1, s0
	s_cbranch_execnz .LBB11_66
	s_branch .LBB11_67
.LBB11_576:
	s_mov_b32 s0, -1
	s_mov_b32 s2, exec_lo
	v_cmpx_eq_u16_e64 0x80, v254
; %bb.577:
	s_xor_b32 s0, exec_lo, -1
; %bb.578:
	s_or_b32 exec_lo, exec_lo, s2
	s_delay_alu instid0(SALU_CYCLE_1)
	s_and_b32 s0, s0, exec_lo
                                        ; implicit-def: $vgpr254
	s_or_saveexec_b32 s1, s1
	v_mov_b32_e32 v160, 0x7f800001
	s_xor_b32 exec_lo, exec_lo, s1
	s_cbranch_execz .LBB11_69
.LBB11_579:
	v_cmp_ne_u16_e64 vcc_lo, 0, v254
	v_mov_b32_e32 v160, 0
	s_and_not1_b32 s0, s0, exec_lo
	s_and_b32 s2, vcc_lo, exec_lo
	s_delay_alu instid0(SALU_CYCLE_1)
	s_or_b32 s0, s0, s2
	s_or_b32 exec_lo, exec_lo, s1
	s_and_saveexec_b32 s1, s0
	s_cbranch_execnz .LBB11_70
	s_branch .LBB11_71
.LBB11_580:
	s_mov_b32 s0, -1
	s_mov_b32 s2, exec_lo
	v_cmpx_eq_u16_e64 0x80, v254
; %bb.581:
	s_xor_b32 s0, exec_lo, -1
; %bb.582:
	s_or_b32 exec_lo, exec_lo, s2
	s_delay_alu instid0(SALU_CYCLE_1)
	s_and_b32 s0, s0, exec_lo
                                        ; implicit-def: $vgpr254
	s_or_saveexec_b32 s1, s1
	v_mov_b32_e32 v184, 0x7f800001
	s_xor_b32 exec_lo, exec_lo, s1
	s_cbranch_execz .LBB11_73
.LBB11_583:
	v_cmp_ne_u16_e64 vcc_lo, 0, v254
	v_mov_b32_e32 v184, 0
	s_and_not1_b32 s0, s0, exec_lo
	s_and_b32 s2, vcc_lo, exec_lo
	s_delay_alu instid0(SALU_CYCLE_1)
	s_or_b32 s0, s0, s2
	s_or_b32 exec_lo, exec_lo, s1
	s_and_saveexec_b32 s1, s0
	s_cbranch_execnz .LBB11_74
	s_branch .LBB11_75
.LBB11_584:
	s_mov_b32 s1, -1
	s_mov_b32 s2, exec_lo
	v_cmpx_eq_u16_e64 0x80, v187
; %bb.585:
	s_xor_b32 s1, exec_lo, -1
; %bb.586:
	s_or_b32 exec_lo, exec_lo, s2
	s_delay_alu instid0(SALU_CYCLE_1)
	s_and_b32 s1, s1, exec_lo
	s_or_saveexec_b32 s0, s0
	v_mov_b32_e32 v186, 0x7f800001
	s_xor_b32 exec_lo, exec_lo, s0
	s_cbranch_execz .LBB11_77
.LBB11_587:
	v_cmp_ne_u16_e64 vcc_lo, 0, v187
	v_mov_b32_e32 v186, 0
	s_and_not1_b32 s1, s1, exec_lo
	s_and_b32 s2, vcc_lo, exec_lo
	s_delay_alu instid0(SALU_CYCLE_1)
	s_or_b32 s1, s1, s2
	s_or_b32 exec_lo, exec_lo, s0
	s_and_saveexec_b32 s0, s1
	s_cbranch_execnz .LBB11_78
	s_branch .LBB11_79
.LBB11_588:
	s_mov_b32 s0, -1
	s_mov_b32 s2, exec_lo
	v_cmpx_eq_u16_e64 0x80, v254
; %bb.589:
	s_xor_b32 s0, exec_lo, -1
; %bb.590:
	s_or_b32 exec_lo, exec_lo, s2
	s_delay_alu instid0(SALU_CYCLE_1)
	s_and_b32 s0, s0, exec_lo
                                        ; implicit-def: $vgpr254
	s_or_saveexec_b32 s1, s1
	v_mov_b32_e32 v187, 0x7f800001
	s_xor_b32 exec_lo, exec_lo, s1
	s_cbranch_execz .LBB11_81
.LBB11_591:
	v_cmp_ne_u16_e64 vcc_lo, 0, v254
	v_mov_b32_e32 v187, 0
	s_and_not1_b32 s0, s0, exec_lo
	s_and_b32 s2, vcc_lo, exec_lo
	s_delay_alu instid0(SALU_CYCLE_1)
	s_or_b32 s0, s0, s2
	s_or_b32 exec_lo, exec_lo, s1
	s_and_saveexec_b32 s1, s0
	s_cbranch_execnz .LBB11_82
	s_branch .LBB11_83
.LBB11_592:
	s_mov_b32 s0, -1
	s_mov_b32 s2, exec_lo
	v_cmpx_eq_u16_e64 0x80, v254
; %bb.593:
	s_xor_b32 s0, exec_lo, -1
; %bb.594:
	s_or_b32 exec_lo, exec_lo, s2
	s_delay_alu instid0(SALU_CYCLE_1)
	s_and_b32 s0, s0, exec_lo
                                        ; implicit-def: $vgpr254
	s_or_saveexec_b32 s1, s1
	v_mov_b32_e32 v153, 0x7f800001
	s_xor_b32 exec_lo, exec_lo, s1
	s_cbranch_execz .LBB11_85
.LBB11_595:
	v_cmp_ne_u16_e64 vcc_lo, 0, v254
	v_mov_b32_e32 v153, 0
	s_and_not1_b32 s0, s0, exec_lo
	s_and_b32 s2, vcc_lo, exec_lo
	s_delay_alu instid0(SALU_CYCLE_1)
	s_or_b32 s0, s0, s2
	s_or_b32 exec_lo, exec_lo, s1
	s_and_saveexec_b32 s1, s0
	s_cbranch_execnz .LBB11_86
	s_branch .LBB11_87
.LBB11_596:
	s_mov_b32 s0, -1
	s_mov_b32 s2, exec_lo
	v_cmpx_eq_u16_e64 0x80, v254
; %bb.597:
	s_xor_b32 s0, exec_lo, -1
; %bb.598:
	s_or_b32 exec_lo, exec_lo, s2
	s_delay_alu instid0(SALU_CYCLE_1)
	s_and_b32 s0, s0, exec_lo
                                        ; implicit-def: $vgpr254
	s_or_saveexec_b32 s1, s1
	v_mov_b32_e32 v190, 0x7f800001
	s_xor_b32 exec_lo, exec_lo, s1
	s_cbranch_execz .LBB11_89
.LBB11_599:
	v_cmp_ne_u16_e64 vcc_lo, 0, v254
	v_mov_b32_e32 v190, 0
	s_and_not1_b32 s0, s0, exec_lo
	s_and_b32 s2, vcc_lo, exec_lo
	s_delay_alu instid0(SALU_CYCLE_1)
	s_or_b32 s0, s0, s2
	s_or_b32 exec_lo, exec_lo, s1
	s_and_saveexec_b32 s1, s0
	s_cbranch_execnz .LBB11_90
	s_branch .LBB11_91
.LBB11_600:
	s_mov_b32 s1, -1
	s_mov_b32 s2, exec_lo
	v_cmpx_eq_u16_e64 0x80, v193
; %bb.601:
	s_xor_b32 s1, exec_lo, -1
; %bb.602:
	s_or_b32 exec_lo, exec_lo, s2
	s_delay_alu instid0(SALU_CYCLE_1)
	s_and_b32 s1, s1, exec_lo
	s_or_saveexec_b32 s0, s0
	v_mov_b32_e32 v192, 0x7f800001
	s_xor_b32 exec_lo, exec_lo, s0
	s_cbranch_execz .LBB11_93
.LBB11_603:
	v_cmp_ne_u16_e64 vcc_lo, 0, v193
	v_mov_b32_e32 v192, 0
	s_and_not1_b32 s1, s1, exec_lo
	s_and_b32 s2, vcc_lo, exec_lo
	s_delay_alu instid0(SALU_CYCLE_1)
	s_or_b32 s1, s1, s2
	s_or_b32 exec_lo, exec_lo, s0
	s_and_saveexec_b32 s0, s1
	s_cbranch_execnz .LBB11_94
	s_branch .LBB11_95
.LBB11_604:
	s_mov_b32 s0, -1
	s_mov_b32 s2, exec_lo
	v_cmpx_eq_u16_e64 0x80, v254
; %bb.605:
	s_xor_b32 s0, exec_lo, -1
; %bb.606:
	s_or_b32 exec_lo, exec_lo, s2
	s_delay_alu instid0(SALU_CYCLE_1)
	s_and_b32 s0, s0, exec_lo
                                        ; implicit-def: $vgpr254
	s_or_saveexec_b32 s1, s1
	v_mov_b32_e32 v193, 0x7f800001
	s_xor_b32 exec_lo, exec_lo, s1
	s_cbranch_execz .LBB11_97
.LBB11_607:
	v_cmp_ne_u16_e64 vcc_lo, 0, v254
	v_mov_b32_e32 v193, 0
	s_and_not1_b32 s0, s0, exec_lo
	s_and_b32 s2, vcc_lo, exec_lo
	s_delay_alu instid0(SALU_CYCLE_1)
	s_or_b32 s0, s0, s2
	s_or_b32 exec_lo, exec_lo, s1
	s_and_saveexec_b32 s1, s0
	s_cbranch_execnz .LBB11_98
	s_branch .LBB11_99
.LBB11_608:
	s_mov_b32 s0, -1
	s_mov_b32 s2, exec_lo
	v_cmpx_eq_u16_e64 0x80, v254
; %bb.609:
	s_xor_b32 s0, exec_lo, -1
; %bb.610:
	s_or_b32 exec_lo, exec_lo, s2
	s_delay_alu instid0(SALU_CYCLE_1)
	s_and_b32 s0, s0, exec_lo
                                        ; implicit-def: $vgpr254
	s_or_saveexec_b32 s1, s1
	v_mov_b32_e32 v154, 0x7f800001
	s_xor_b32 exec_lo, exec_lo, s1
	s_cbranch_execz .LBB11_101
.LBB11_611:
	v_cmp_ne_u16_e64 vcc_lo, 0, v254
	v_mov_b32_e32 v154, 0
	s_and_not1_b32 s0, s0, exec_lo
	s_and_b32 s2, vcc_lo, exec_lo
	s_delay_alu instid0(SALU_CYCLE_1)
	s_or_b32 s0, s0, s2
	s_or_b32 exec_lo, exec_lo, s1
	s_and_saveexec_b32 s1, s0
	s_cbranch_execnz .LBB11_102
	s_branch .LBB11_103
.LBB11_612:
	s_mov_b32 s0, -1
	s_mov_b32 s2, exec_lo
	v_cmpx_eq_u16_e64 0x80, v254
; %bb.613:
	s_xor_b32 s0, exec_lo, -1
; %bb.614:
	s_or_b32 exec_lo, exec_lo, s2
	s_delay_alu instid0(SALU_CYCLE_1)
	s_and_b32 s0, s0, exec_lo
                                        ; implicit-def: $vgpr254
	s_or_saveexec_b32 s1, s1
	v_mov_b32_e32 v196, 0x7f800001
	s_xor_b32 exec_lo, exec_lo, s1
	s_cbranch_execz .LBB11_105
.LBB11_615:
	v_cmp_ne_u16_e64 vcc_lo, 0, v254
	v_mov_b32_e32 v196, 0
	s_and_not1_b32 s0, s0, exec_lo
	s_and_b32 s2, vcc_lo, exec_lo
	s_delay_alu instid0(SALU_CYCLE_1)
	s_or_b32 s0, s0, s2
	s_or_b32 exec_lo, exec_lo, s1
	s_and_saveexec_b32 s1, s0
	s_cbranch_execnz .LBB11_106
	s_branch .LBB11_107
.LBB11_616:
	s_mov_b32 s1, -1
	s_mov_b32 s2, exec_lo
	v_cmpx_eq_u16_e64 0x80, v199
; %bb.617:
	s_xor_b32 s1, exec_lo, -1
; %bb.618:
	s_or_b32 exec_lo, exec_lo, s2
	s_delay_alu instid0(SALU_CYCLE_1)
	s_and_b32 s1, s1, exec_lo
	s_or_saveexec_b32 s0, s0
	v_mov_b32_e32 v198, 0x7f800001
	s_xor_b32 exec_lo, exec_lo, s0
	s_cbranch_execz .LBB11_109
.LBB11_619:
	v_cmp_ne_u16_e64 vcc_lo, 0, v199
	v_mov_b32_e32 v198, 0
	s_and_not1_b32 s1, s1, exec_lo
	s_and_b32 s2, vcc_lo, exec_lo
	s_delay_alu instid0(SALU_CYCLE_1)
	s_or_b32 s1, s1, s2
	s_or_b32 exec_lo, exec_lo, s0
	s_and_saveexec_b32 s0, s1
	s_cbranch_execnz .LBB11_110
	s_branch .LBB11_111
.LBB11_620:
	s_mov_b32 s0, -1
	s_mov_b32 s2, exec_lo
	v_cmpx_eq_u16_e64 0x80, v254
; %bb.621:
	s_xor_b32 s0, exec_lo, -1
; %bb.622:
	s_or_b32 exec_lo, exec_lo, s2
	s_delay_alu instid0(SALU_CYCLE_1)
	s_and_b32 s0, s0, exec_lo
                                        ; implicit-def: $vgpr254
	s_or_saveexec_b32 s1, s1
	v_mov_b32_e32 v199, 0x7f800001
	s_xor_b32 exec_lo, exec_lo, s1
	s_cbranch_execz .LBB11_113
.LBB11_623:
	v_cmp_ne_u16_e64 vcc_lo, 0, v254
	v_mov_b32_e32 v199, 0
	s_and_not1_b32 s0, s0, exec_lo
	s_and_b32 s2, vcc_lo, exec_lo
	s_delay_alu instid0(SALU_CYCLE_1)
	s_or_b32 s0, s0, s2
	s_or_b32 exec_lo, exec_lo, s1
	s_and_saveexec_b32 s1, s0
	s_cbranch_execnz .LBB11_114
	s_branch .LBB11_115
.LBB11_624:
	s_mov_b32 s0, -1
	s_mov_b32 s2, exec_lo
	v_cmpx_eq_u16_e64 0x80, v254
; %bb.625:
	s_xor_b32 s0, exec_lo, -1
; %bb.626:
	s_or_b32 exec_lo, exec_lo, s2
	s_delay_alu instid0(SALU_CYCLE_1)
	s_and_b32 s0, s0, exec_lo
                                        ; implicit-def: $vgpr254
	s_or_saveexec_b32 s1, s1
	v_mov_b32_e32 v155, 0x7f800001
	s_xor_b32 exec_lo, exec_lo, s1
	s_cbranch_execz .LBB11_117
.LBB11_627:
	v_cmp_ne_u16_e64 vcc_lo, 0, v254
	v_mov_b32_e32 v155, 0
	s_and_not1_b32 s0, s0, exec_lo
	s_and_b32 s2, vcc_lo, exec_lo
	s_delay_alu instid0(SALU_CYCLE_1)
	s_or_b32 s0, s0, s2
	s_or_b32 exec_lo, exec_lo, s1
	s_and_saveexec_b32 s1, s0
	s_cbranch_execnz .LBB11_118
	s_branch .LBB11_119
.LBB11_628:
	s_mov_b32 s0, -1
	s_mov_b32 s2, exec_lo
	v_cmpx_eq_u16_e64 0x80, v254
; %bb.629:
	s_xor_b32 s0, exec_lo, -1
; %bb.630:
	s_or_b32 exec_lo, exec_lo, s2
	s_delay_alu instid0(SALU_CYCLE_1)
	s_and_b32 s0, s0, exec_lo
                                        ; implicit-def: $vgpr254
	s_or_saveexec_b32 s1, s1
	v_mov_b32_e32 v202, 0x7f800001
	s_xor_b32 exec_lo, exec_lo, s1
	s_cbranch_execz .LBB11_121
.LBB11_631:
	v_cmp_ne_u16_e64 vcc_lo, 0, v254
	v_mov_b32_e32 v202, 0
	s_and_not1_b32 s0, s0, exec_lo
	s_and_b32 s2, vcc_lo, exec_lo
	s_delay_alu instid0(SALU_CYCLE_1)
	s_or_b32 s0, s0, s2
	s_or_b32 exec_lo, exec_lo, s1
	s_and_saveexec_b32 s1, s0
	s_cbranch_execnz .LBB11_122
	s_branch .LBB11_123
.LBB11_632:
	s_mov_b32 s1, -1
	s_mov_b32 s2, exec_lo
	v_cmpx_eq_u16_e64 0x80, v205
; %bb.633:
	s_xor_b32 s1, exec_lo, -1
; %bb.634:
	s_or_b32 exec_lo, exec_lo, s2
	s_delay_alu instid0(SALU_CYCLE_1)
	s_and_b32 s1, s1, exec_lo
	s_or_saveexec_b32 s0, s0
	v_mov_b32_e32 v204, 0x7f800001
	s_xor_b32 exec_lo, exec_lo, s0
	s_cbranch_execz .LBB11_125
.LBB11_635:
	v_cmp_ne_u16_e64 vcc_lo, 0, v205
	v_mov_b32_e32 v204, 0
	s_and_not1_b32 s1, s1, exec_lo
	s_and_b32 s2, vcc_lo, exec_lo
	s_delay_alu instid0(SALU_CYCLE_1)
	s_or_b32 s1, s1, s2
	s_or_b32 exec_lo, exec_lo, s0
	s_and_saveexec_b32 s0, s1
	s_cbranch_execnz .LBB11_126
	s_branch .LBB11_127
.LBB11_636:
	s_mov_b32 s0, -1
	s_mov_b32 s2, exec_lo
	v_cmpx_eq_u16_e64 0x80, v254
; %bb.637:
	s_xor_b32 s0, exec_lo, -1
; %bb.638:
	s_or_b32 exec_lo, exec_lo, s2
	s_delay_alu instid0(SALU_CYCLE_1)
	s_and_b32 s0, s0, exec_lo
                                        ; implicit-def: $vgpr254
	s_or_saveexec_b32 s1, s1
	v_mov_b32_e32 v205, 0x7f800001
	s_xor_b32 exec_lo, exec_lo, s1
	s_cbranch_execz .LBB11_129
.LBB11_639:
	v_cmp_ne_u16_e64 vcc_lo, 0, v254
	v_mov_b32_e32 v205, 0
	s_and_not1_b32 s0, s0, exec_lo
	s_and_b32 s2, vcc_lo, exec_lo
	s_delay_alu instid0(SALU_CYCLE_1)
	s_or_b32 s0, s0, s2
	s_or_b32 exec_lo, exec_lo, s1
	s_and_saveexec_b32 s1, s0
	s_cbranch_execnz .LBB11_130
	s_branch .LBB11_131
.LBB11_640:
	s_mov_b32 s0, -1
	s_mov_b32 s2, exec_lo
	v_cmpx_eq_u16_e64 0x80, v254
; %bb.641:
	s_xor_b32 s0, exec_lo, -1
; %bb.642:
	s_or_b32 exec_lo, exec_lo, s2
	s_delay_alu instid0(SALU_CYCLE_1)
	s_and_b32 s0, s0, exec_lo
                                        ; implicit-def: $vgpr254
	s_or_saveexec_b32 s1, s1
	v_mov_b32_e32 v156, 0x7f800001
	s_xor_b32 exec_lo, exec_lo, s1
	s_cbranch_execz .LBB11_133
.LBB11_643:
	v_cmp_ne_u16_e64 vcc_lo, 0, v254
	v_mov_b32_e32 v156, 0
	s_and_not1_b32 s0, s0, exec_lo
	s_and_b32 s2, vcc_lo, exec_lo
	s_delay_alu instid0(SALU_CYCLE_1)
	s_or_b32 s0, s0, s2
	s_or_b32 exec_lo, exec_lo, s1
	s_and_saveexec_b32 s1, s0
	s_cbranch_execnz .LBB11_134
	s_branch .LBB11_135
.LBB11_644:
	s_mov_b32 s0, -1
	s_mov_b32 s2, exec_lo
	v_cmpx_eq_u16_e64 0x80, v254
; %bb.645:
	s_xor_b32 s0, exec_lo, -1
; %bb.646:
	s_or_b32 exec_lo, exec_lo, s2
	s_delay_alu instid0(SALU_CYCLE_1)
	s_and_b32 s0, s0, exec_lo
                                        ; implicit-def: $vgpr254
	s_or_saveexec_b32 s1, s1
	v_mov_b32_e32 v208, 0x7f800001
	s_xor_b32 exec_lo, exec_lo, s1
	s_cbranch_execz .LBB11_137
.LBB11_647:
	v_cmp_ne_u16_e64 vcc_lo, 0, v254
	v_mov_b32_e32 v208, 0
	s_and_not1_b32 s0, s0, exec_lo
	s_and_b32 s2, vcc_lo, exec_lo
	s_delay_alu instid0(SALU_CYCLE_1)
	s_or_b32 s0, s0, s2
	s_or_b32 exec_lo, exec_lo, s1
	s_and_saveexec_b32 s1, s0
	s_cbranch_execnz .LBB11_138
	s_branch .LBB11_139
.LBB11_648:
	s_mov_b32 s1, -1
	s_mov_b32 s2, exec_lo
	v_cmpx_eq_u16_e64 0x80, v211
; %bb.649:
	s_xor_b32 s1, exec_lo, -1
; %bb.650:
	s_or_b32 exec_lo, exec_lo, s2
	s_delay_alu instid0(SALU_CYCLE_1)
	s_and_b32 s1, s1, exec_lo
	s_or_saveexec_b32 s0, s0
	v_mov_b32_e32 v210, 0x7f800001
	s_xor_b32 exec_lo, exec_lo, s0
	s_cbranch_execz .LBB11_141
.LBB11_651:
	v_cmp_ne_u16_e64 vcc_lo, 0, v211
	v_mov_b32_e32 v210, 0
	s_and_not1_b32 s1, s1, exec_lo
	s_and_b32 s2, vcc_lo, exec_lo
	s_delay_alu instid0(SALU_CYCLE_1)
	s_or_b32 s1, s1, s2
	s_or_b32 exec_lo, exec_lo, s0
	s_and_saveexec_b32 s0, s1
	s_cbranch_execnz .LBB11_142
	s_branch .LBB11_143
.LBB11_652:
	s_mov_b32 s0, -1
	s_mov_b32 s2, exec_lo
	v_cmpx_eq_u16_e64 0x80, v254
; %bb.653:
	s_xor_b32 s0, exec_lo, -1
; %bb.654:
	s_or_b32 exec_lo, exec_lo, s2
	s_delay_alu instid0(SALU_CYCLE_1)
	s_and_b32 s0, s0, exec_lo
                                        ; implicit-def: $vgpr254
	s_or_saveexec_b32 s1, s1
	v_mov_b32_e32 v211, 0x7f800001
	s_xor_b32 exec_lo, exec_lo, s1
	s_cbranch_execz .LBB11_145
.LBB11_655:
	v_cmp_ne_u16_e64 vcc_lo, 0, v254
	v_mov_b32_e32 v211, 0
	s_and_not1_b32 s0, s0, exec_lo
	s_and_b32 s2, vcc_lo, exec_lo
	s_delay_alu instid0(SALU_CYCLE_1)
	s_or_b32 s0, s0, s2
	s_or_b32 exec_lo, exec_lo, s1
	s_and_saveexec_b32 s1, s0
	s_cbranch_execnz .LBB11_146
	s_branch .LBB11_147
.LBB11_656:
	s_mov_b32 s0, -1
	s_mov_b32 s2, exec_lo
	v_cmpx_eq_u16_e64 0x80, v254
; %bb.657:
	s_xor_b32 s0, exec_lo, -1
; %bb.658:
	s_or_b32 exec_lo, exec_lo, s2
	s_delay_alu instid0(SALU_CYCLE_1)
	s_and_b32 s0, s0, exec_lo
                                        ; implicit-def: $vgpr254
	s_or_saveexec_b32 s1, s1
	v_mov_b32_e32 v149, 0x7f800001
	s_xor_b32 exec_lo, exec_lo, s1
	s_cbranch_execz .LBB11_149
.LBB11_659:
	v_cmp_ne_u16_e64 vcc_lo, 0, v254
	v_mov_b32_e32 v149, 0
	s_and_not1_b32 s0, s0, exec_lo
	s_and_b32 s2, vcc_lo, exec_lo
	s_delay_alu instid0(SALU_CYCLE_1)
	s_or_b32 s0, s0, s2
	s_or_b32 exec_lo, exec_lo, s1
	s_and_saveexec_b32 s1, s0
	s_cbranch_execnz .LBB11_150
	s_branch .LBB11_151
.LBB11_660:
	s_mov_b32 s0, -1
	s_mov_b32 s2, exec_lo
	v_cmpx_eq_u16_e64 0x80, v254
; %bb.661:
	s_xor_b32 s0, exec_lo, -1
; %bb.662:
	s_or_b32 exec_lo, exec_lo, s2
	s_delay_alu instid0(SALU_CYCLE_1)
	s_and_b32 s0, s0, exec_lo
                                        ; implicit-def: $vgpr254
	s_or_saveexec_b32 s1, s1
	v_mov_b32_e32 v214, 0x7f800001
	s_xor_b32 exec_lo, exec_lo, s1
	s_cbranch_execz .LBB11_153
.LBB11_663:
	v_cmp_ne_u16_e64 vcc_lo, 0, v254
	v_mov_b32_e32 v214, 0
	s_and_not1_b32 s0, s0, exec_lo
	s_and_b32 s2, vcc_lo, exec_lo
	s_delay_alu instid0(SALU_CYCLE_1)
	s_or_b32 s0, s0, s2
	s_or_b32 exec_lo, exec_lo, s1
	s_and_saveexec_b32 s1, s0
	s_cbranch_execnz .LBB11_154
	s_branch .LBB11_155
.LBB11_664:
	s_mov_b32 s1, -1
	s_mov_b32 s2, exec_lo
	v_cmpx_eq_u16_e64 0x80, v217
; %bb.665:
	s_xor_b32 s1, exec_lo, -1
; %bb.666:
	s_or_b32 exec_lo, exec_lo, s2
	s_delay_alu instid0(SALU_CYCLE_1)
	s_and_b32 s1, s1, exec_lo
	s_or_saveexec_b32 s0, s0
	v_mov_b32_e32 v216, 0x7f800001
	s_xor_b32 exec_lo, exec_lo, s0
	s_cbranch_execz .LBB11_157
.LBB11_667:
	v_cmp_ne_u16_e64 vcc_lo, 0, v217
	v_mov_b32_e32 v216, 0
	s_and_not1_b32 s1, s1, exec_lo
	s_and_b32 s2, vcc_lo, exec_lo
	s_delay_alu instid0(SALU_CYCLE_1)
	s_or_b32 s1, s1, s2
	s_or_b32 exec_lo, exec_lo, s0
	s_and_saveexec_b32 s0, s1
	s_cbranch_execnz .LBB11_158
	s_branch .LBB11_159
.LBB11_668:
	s_mov_b32 s0, -1
	s_mov_b32 s2, exec_lo
	v_cmpx_eq_u16_e64 0x80, v254
; %bb.669:
	s_xor_b32 s0, exec_lo, -1
; %bb.670:
	s_or_b32 exec_lo, exec_lo, s2
	s_delay_alu instid0(SALU_CYCLE_1)
	s_and_b32 s0, s0, exec_lo
                                        ; implicit-def: $vgpr254
	s_or_saveexec_b32 s1, s1
	v_mov_b32_e32 v217, 0x7f800001
	s_xor_b32 exec_lo, exec_lo, s1
	s_cbranch_execz .LBB11_161
.LBB11_671:
	v_cmp_ne_u16_e64 vcc_lo, 0, v254
	v_mov_b32_e32 v217, 0
	s_and_not1_b32 s0, s0, exec_lo
	s_and_b32 s2, vcc_lo, exec_lo
	s_delay_alu instid0(SALU_CYCLE_1)
	s_or_b32 s0, s0, s2
	s_or_b32 exec_lo, exec_lo, s1
	s_and_saveexec_b32 s1, s0
	s_cbranch_execnz .LBB11_162
	s_branch .LBB11_163
.LBB11_672:
	s_mov_b32 s0, -1
	s_mov_b32 s2, exec_lo
	v_cmpx_eq_u16_e64 0x80, v254
; %bb.673:
	s_xor_b32 s0, exec_lo, -1
; %bb.674:
	s_or_b32 exec_lo, exec_lo, s2
	s_delay_alu instid0(SALU_CYCLE_1)
	s_and_b32 s0, s0, exec_lo
                                        ; implicit-def: $vgpr254
	s_or_saveexec_b32 s1, s1
	v_mov_b32_e32 v150, 0x7f800001
	s_xor_b32 exec_lo, exec_lo, s1
	s_cbranch_execz .LBB11_165
.LBB11_675:
	v_cmp_ne_u16_e64 vcc_lo, 0, v254
	v_mov_b32_e32 v150, 0
	s_and_not1_b32 s0, s0, exec_lo
	s_and_b32 s2, vcc_lo, exec_lo
	s_delay_alu instid0(SALU_CYCLE_1)
	s_or_b32 s0, s0, s2
	s_or_b32 exec_lo, exec_lo, s1
	s_and_saveexec_b32 s1, s0
	s_cbranch_execnz .LBB11_166
	s_branch .LBB11_167
.LBB11_676:
	s_mov_b32 s0, -1
	s_mov_b32 s2, exec_lo
	v_cmpx_eq_u16_e64 0x80, v254
; %bb.677:
	s_xor_b32 s0, exec_lo, -1
; %bb.678:
	s_or_b32 exec_lo, exec_lo, s2
	s_delay_alu instid0(SALU_CYCLE_1)
	s_and_b32 s0, s0, exec_lo
                                        ; implicit-def: $vgpr254
	s_or_saveexec_b32 s1, s1
	v_mov_b32_e32 v220, 0x7f800001
	s_xor_b32 exec_lo, exec_lo, s1
	s_cbranch_execz .LBB11_169
.LBB11_679:
	v_cmp_ne_u16_e64 vcc_lo, 0, v254
	v_mov_b32_e32 v220, 0
	s_and_not1_b32 s0, s0, exec_lo
	s_and_b32 s2, vcc_lo, exec_lo
	s_delay_alu instid0(SALU_CYCLE_1)
	s_or_b32 s0, s0, s2
	s_or_b32 exec_lo, exec_lo, s1
	s_and_saveexec_b32 s1, s0
	s_cbranch_execnz .LBB11_170
	s_branch .LBB11_171
.LBB11_680:
	s_mov_b32 s1, -1
	s_mov_b32 s2, exec_lo
	v_cmpx_eq_u16_e64 0x80, v223
; %bb.681:
	s_xor_b32 s1, exec_lo, -1
; %bb.682:
	s_or_b32 exec_lo, exec_lo, s2
	s_delay_alu instid0(SALU_CYCLE_1)
	s_and_b32 s1, s1, exec_lo
	s_or_saveexec_b32 s0, s0
	v_mov_b32_e32 v222, 0x7f800001
	s_xor_b32 exec_lo, exec_lo, s0
	s_cbranch_execz .LBB11_173
.LBB11_683:
	v_cmp_ne_u16_e64 vcc_lo, 0, v223
	v_mov_b32_e32 v222, 0
	s_and_not1_b32 s1, s1, exec_lo
	s_and_b32 s2, vcc_lo, exec_lo
	s_delay_alu instid0(SALU_CYCLE_1)
	s_or_b32 s1, s1, s2
	s_or_b32 exec_lo, exec_lo, s0
	s_and_saveexec_b32 s0, s1
	s_cbranch_execnz .LBB11_174
	s_branch .LBB11_175
.LBB11_684:
	s_mov_b32 s0, -1
	s_mov_b32 s2, exec_lo
	v_cmpx_eq_u16_e64 0x80, v254
; %bb.685:
	s_xor_b32 s0, exec_lo, -1
; %bb.686:
	s_or_b32 exec_lo, exec_lo, s2
	s_delay_alu instid0(SALU_CYCLE_1)
	s_and_b32 s0, s0, exec_lo
                                        ; implicit-def: $vgpr254
	s_or_saveexec_b32 s1, s1
	v_mov_b32_e32 v223, 0x7f800001
	s_xor_b32 exec_lo, exec_lo, s1
	s_cbranch_execz .LBB11_177
.LBB11_687:
	v_cmp_ne_u16_e64 vcc_lo, 0, v254
	v_mov_b32_e32 v223, 0
	s_and_not1_b32 s0, s0, exec_lo
	s_and_b32 s2, vcc_lo, exec_lo
	s_delay_alu instid0(SALU_CYCLE_1)
	s_or_b32 s0, s0, s2
	s_or_b32 exec_lo, exec_lo, s1
	s_and_saveexec_b32 s1, s0
	s_cbranch_execnz .LBB11_178
	s_branch .LBB11_179
.LBB11_688:
	s_mov_b32 s0, -1
	s_mov_b32 s2, exec_lo
	v_cmpx_eq_u16_e64 0x80, v254
; %bb.689:
	s_xor_b32 s0, exec_lo, -1
; %bb.690:
	s_or_b32 exec_lo, exec_lo, s2
	s_delay_alu instid0(SALU_CYCLE_1)
	s_and_b32 s0, s0, exec_lo
                                        ; implicit-def: $vgpr254
	s_or_saveexec_b32 s1, s1
	v_mov_b32_e32 v151, 0x7f800001
	s_xor_b32 exec_lo, exec_lo, s1
	s_cbranch_execz .LBB11_181
.LBB11_691:
	v_cmp_ne_u16_e64 vcc_lo, 0, v254
	v_mov_b32_e32 v151, 0
	s_and_not1_b32 s0, s0, exec_lo
	s_and_b32 s2, vcc_lo, exec_lo
	s_delay_alu instid0(SALU_CYCLE_1)
	s_or_b32 s0, s0, s2
	s_or_b32 exec_lo, exec_lo, s1
	s_and_saveexec_b32 s1, s0
	s_cbranch_execnz .LBB11_182
	s_branch .LBB11_183
.LBB11_692:
	s_mov_b32 s0, -1
	s_mov_b32 s2, exec_lo
	v_cmpx_eq_u16_e64 0x80, v254
; %bb.693:
	s_xor_b32 s0, exec_lo, -1
; %bb.694:
	s_or_b32 exec_lo, exec_lo, s2
	s_delay_alu instid0(SALU_CYCLE_1)
	s_and_b32 s0, s0, exec_lo
                                        ; implicit-def: $vgpr254
	s_or_saveexec_b32 s1, s1
	v_mov_b32_e32 v226, 0x7f800001
	s_xor_b32 exec_lo, exec_lo, s1
	s_cbranch_execz .LBB11_185
.LBB11_695:
	v_cmp_ne_u16_e64 vcc_lo, 0, v254
	v_mov_b32_e32 v226, 0
	s_and_not1_b32 s0, s0, exec_lo
	s_and_b32 s2, vcc_lo, exec_lo
	s_delay_alu instid0(SALU_CYCLE_1)
	s_or_b32 s0, s0, s2
	s_or_b32 exec_lo, exec_lo, s1
	s_and_saveexec_b32 s1, s0
	s_cbranch_execnz .LBB11_186
	s_branch .LBB11_187
.LBB11_696:
	s_mov_b32 s1, -1
	s_mov_b32 s2, exec_lo
	v_cmpx_eq_u16_e64 0x80, v229
; %bb.697:
	s_xor_b32 s1, exec_lo, -1
; %bb.698:
	s_or_b32 exec_lo, exec_lo, s2
	s_delay_alu instid0(SALU_CYCLE_1)
	s_and_b32 s1, s1, exec_lo
	s_or_saveexec_b32 s0, s0
	v_mov_b32_e32 v228, 0x7f800001
	s_xor_b32 exec_lo, exec_lo, s0
	s_cbranch_execz .LBB11_189
.LBB11_699:
	v_cmp_ne_u16_e64 vcc_lo, 0, v229
	v_mov_b32_e32 v228, 0
	s_and_not1_b32 s1, s1, exec_lo
	s_and_b32 s2, vcc_lo, exec_lo
	s_delay_alu instid0(SALU_CYCLE_1)
	s_or_b32 s1, s1, s2
	s_or_b32 exec_lo, exec_lo, s0
	s_and_saveexec_b32 s0, s1
	s_cbranch_execnz .LBB11_190
	s_branch .LBB11_191
.LBB11_700:
	s_mov_b32 s0, -1
	s_mov_b32 s2, exec_lo
	v_cmpx_eq_u16_e64 0x80, v254
; %bb.701:
	s_xor_b32 s0, exec_lo, -1
; %bb.702:
	s_or_b32 exec_lo, exec_lo, s2
	s_delay_alu instid0(SALU_CYCLE_1)
	s_and_b32 s0, s0, exec_lo
                                        ; implicit-def: $vgpr254
	s_or_saveexec_b32 s1, s1
	v_mov_b32_e32 v229, 0x7f800001
	s_xor_b32 exec_lo, exec_lo, s1
	s_cbranch_execz .LBB11_193
.LBB11_703:
	v_cmp_ne_u16_e64 vcc_lo, 0, v254
	v_mov_b32_e32 v229, 0
	s_and_not1_b32 s0, s0, exec_lo
	s_and_b32 s2, vcc_lo, exec_lo
	s_delay_alu instid0(SALU_CYCLE_1)
	s_or_b32 s0, s0, s2
	s_or_b32 exec_lo, exec_lo, s1
	s_and_saveexec_b32 s1, s0
	s_cbranch_execnz .LBB11_194
	s_branch .LBB11_195
.LBB11_704:
	s_mov_b32 s0, -1
	s_mov_b32 s2, exec_lo
	v_cmpx_eq_u16_e64 0x80, v254
; %bb.705:
	s_xor_b32 s0, exec_lo, -1
; %bb.706:
	s_or_b32 exec_lo, exec_lo, s2
	s_delay_alu instid0(SALU_CYCLE_1)
	s_and_b32 s0, s0, exec_lo
                                        ; implicit-def: $vgpr254
	s_or_saveexec_b32 s1, s1
	v_mov_b32_e32 v152, 0x7f800001
	s_xor_b32 exec_lo, exec_lo, s1
	s_cbranch_execz .LBB11_197
.LBB11_707:
	v_cmp_ne_u16_e64 vcc_lo, 0, v254
	v_mov_b32_e32 v152, 0
	s_and_not1_b32 s0, s0, exec_lo
	s_and_b32 s2, vcc_lo, exec_lo
	s_delay_alu instid0(SALU_CYCLE_1)
	s_or_b32 s0, s0, s2
	s_or_b32 exec_lo, exec_lo, s1
	s_and_saveexec_b32 s1, s0
	s_cbranch_execnz .LBB11_198
	s_branch .LBB11_199
.LBB11_708:
	s_mov_b32 s0, -1
	s_mov_b32 s2, exec_lo
	v_cmpx_eq_u16_e64 0x80, v254
; %bb.709:
	s_xor_b32 s0, exec_lo, -1
; %bb.710:
	s_or_b32 exec_lo, exec_lo, s2
	s_delay_alu instid0(SALU_CYCLE_1)
	s_and_b32 s0, s0, exec_lo
                                        ; implicit-def: $vgpr254
	s_or_saveexec_b32 s1, s1
	v_mov_b32_e32 v232, 0x7f800001
	s_xor_b32 exec_lo, exec_lo, s1
	s_cbranch_execz .LBB11_201
.LBB11_711:
	v_cmp_ne_u16_e64 vcc_lo, 0, v254
	v_mov_b32_e32 v232, 0
	s_and_not1_b32 s0, s0, exec_lo
	s_and_b32 s2, vcc_lo, exec_lo
	s_delay_alu instid0(SALU_CYCLE_1)
	s_or_b32 s0, s0, s2
	s_or_b32 exec_lo, exec_lo, s1
	s_and_saveexec_b32 s1, s0
	s_cbranch_execnz .LBB11_202
	s_branch .LBB11_203
.LBB11_712:
	s_mov_b32 s1, -1
	s_mov_b32 s2, exec_lo
	v_cmpx_eq_u16_e64 0x80, v236
; %bb.713:
	s_xor_b32 s1, exec_lo, -1
; %bb.714:
	s_or_b32 exec_lo, exec_lo, s2
	s_delay_alu instid0(SALU_CYCLE_1)
	s_and_b32 s1, s1, exec_lo
	s_or_saveexec_b32 s0, s0
	v_mov_b32_e32 v234, 0x7f800001
	s_xor_b32 exec_lo, exec_lo, s0
	s_cbranch_execz .LBB11_205
.LBB11_715:
	v_cmp_ne_u16_e64 vcc_lo, 0, v236
	v_mov_b32_e32 v234, 0
	s_and_not1_b32 s1, s1, exec_lo
	s_and_b32 s2, vcc_lo, exec_lo
	s_delay_alu instid0(SALU_CYCLE_1)
	s_or_b32 s1, s1, s2
	s_or_b32 exec_lo, exec_lo, s0
	s_and_saveexec_b32 s0, s1
	s_cbranch_execnz .LBB11_206
	s_branch .LBB11_207
.LBB11_716:
	s_mov_b32 s0, -1
	s_mov_b32 s2, exec_lo
	v_cmpx_eq_u16_e64 0x80, v254
; %bb.717:
	s_xor_b32 s0, exec_lo, -1
; %bb.718:
	s_or_b32 exec_lo, exec_lo, s2
	s_delay_alu instid0(SALU_CYCLE_1)
	s_and_b32 s0, s0, exec_lo
                                        ; implicit-def: $vgpr254
	s_or_saveexec_b32 s1, s1
	v_mov_b32_e32 v236, 0x7f800001
	s_xor_b32 exec_lo, exec_lo, s1
	s_cbranch_execz .LBB11_209
.LBB11_719:
	v_cmp_ne_u16_e64 vcc_lo, 0, v254
	v_mov_b32_e32 v236, 0
	s_and_not1_b32 s0, s0, exec_lo
	s_and_b32 s2, vcc_lo, exec_lo
	s_delay_alu instid0(SALU_CYCLE_1)
	s_or_b32 s0, s0, s2
	s_or_b32 exec_lo, exec_lo, s1
	s_and_saveexec_b32 s1, s0
	s_cbranch_execnz .LBB11_210
	s_branch .LBB11_211
.LBB11_720:
	s_mov_b32 s0, -1
	s_mov_b32 s2, exec_lo
	v_cmpx_eq_u16_e64 0x80, v254
; %bb.721:
	s_xor_b32 s0, exec_lo, -1
; %bb.722:
	s_or_b32 exec_lo, exec_lo, s2
	s_delay_alu instid0(SALU_CYCLE_1)
	s_and_b32 s0, s0, exec_lo
                                        ; implicit-def: $vgpr254
	s_or_saveexec_b32 s1, s1
	v_mov_b32_e32 v145, 0x7f800001
	s_xor_b32 exec_lo, exec_lo, s1
	s_cbranch_execz .LBB11_213
.LBB11_723:
	v_cmp_ne_u16_e64 vcc_lo, 0, v254
	v_mov_b32_e32 v145, 0
	s_and_not1_b32 s0, s0, exec_lo
	s_and_b32 s2, vcc_lo, exec_lo
	s_delay_alu instid0(SALU_CYCLE_1)
	s_or_b32 s0, s0, s2
	s_or_b32 exec_lo, exec_lo, s1
	s_and_saveexec_b32 s1, s0
	s_cbranch_execnz .LBB11_214
	s_branch .LBB11_215
.LBB11_724:
	s_mov_b32 s0, -1
	s_mov_b32 s2, exec_lo
	v_cmpx_eq_u16_e64 0x80, v254
; %bb.725:
	s_xor_b32 s0, exec_lo, -1
; %bb.726:
	s_or_b32 exec_lo, exec_lo, s2
	s_delay_alu instid0(SALU_CYCLE_1)
	s_and_b32 s0, s0, exec_lo
                                        ; implicit-def: $vgpr254
	s_or_saveexec_b32 s1, s1
	v_mov_b32_e32 v239, 0x7f800001
	s_xor_b32 exec_lo, exec_lo, s1
	s_cbranch_execz .LBB11_217
.LBB11_727:
	v_cmp_ne_u16_e64 vcc_lo, 0, v254
	v_mov_b32_e32 v239, 0
	s_and_not1_b32 s0, s0, exec_lo
	s_and_b32 s2, vcc_lo, exec_lo
	s_delay_alu instid0(SALU_CYCLE_1)
	s_or_b32 s0, s0, s2
	s_or_b32 exec_lo, exec_lo, s1
	s_and_saveexec_b32 s1, s0
	s_cbranch_execnz .LBB11_218
	s_branch .LBB11_219
.LBB11_728:
	s_mov_b32 s1, -1
	s_mov_b32 s2, exec_lo
	v_cmpx_eq_u16_e64 0x80, v242
; %bb.729:
	s_xor_b32 s1, exec_lo, -1
; %bb.730:
	s_or_b32 exec_lo, exec_lo, s2
	s_delay_alu instid0(SALU_CYCLE_1)
	s_and_b32 s1, s1, exec_lo
	s_or_saveexec_b32 s0, s0
	v_mov_b32_e32 v240, 0x7f800001
	s_xor_b32 exec_lo, exec_lo, s0
	s_cbranch_execz .LBB11_221
.LBB11_731:
	v_cmp_ne_u16_e64 vcc_lo, 0, v242
	v_mov_b32_e32 v240, 0
	s_and_not1_b32 s1, s1, exec_lo
	s_and_b32 s2, vcc_lo, exec_lo
	s_delay_alu instid0(SALU_CYCLE_1)
	s_or_b32 s1, s1, s2
	s_or_b32 exec_lo, exec_lo, s0
	s_and_saveexec_b32 s0, s1
	s_cbranch_execnz .LBB11_222
	s_branch .LBB11_223
.LBB11_732:
	s_mov_b32 s0, -1
	s_mov_b32 s2, exec_lo
	v_cmpx_eq_u16_e64 0x80, v254
; %bb.733:
	s_xor_b32 s0, exec_lo, -1
; %bb.734:
	s_or_b32 exec_lo, exec_lo, s2
	s_delay_alu instid0(SALU_CYCLE_1)
	s_and_b32 s0, s0, exec_lo
                                        ; implicit-def: $vgpr254
	s_or_saveexec_b32 s1, s1
	v_mov_b32_e32 v242, 0x7f800001
	s_xor_b32 exec_lo, exec_lo, s1
	s_cbranch_execz .LBB11_225
.LBB11_735:
	v_cmp_ne_u16_e64 vcc_lo, 0, v254
	v_mov_b32_e32 v242, 0
	s_and_not1_b32 s0, s0, exec_lo
	s_and_b32 s2, vcc_lo, exec_lo
	s_delay_alu instid0(SALU_CYCLE_1)
	s_or_b32 s0, s0, s2
	s_or_b32 exec_lo, exec_lo, s1
	s_and_saveexec_b32 s1, s0
	s_cbranch_execnz .LBB11_226
	s_branch .LBB11_227
.LBB11_736:
	s_mov_b32 s0, -1
	s_mov_b32 s2, exec_lo
	v_cmpx_eq_u16_e64 0x80, v254
; %bb.737:
	s_xor_b32 s0, exec_lo, -1
; %bb.738:
	s_or_b32 exec_lo, exec_lo, s2
	s_delay_alu instid0(SALU_CYCLE_1)
	s_and_b32 s0, s0, exec_lo
                                        ; implicit-def: $vgpr254
	s_or_saveexec_b32 s1, s1
	v_mov_b32_e32 v146, 0x7f800001
	s_xor_b32 exec_lo, exec_lo, s1
	s_cbranch_execz .LBB11_229
.LBB11_739:
	v_cmp_ne_u16_e64 vcc_lo, 0, v254
	v_mov_b32_e32 v146, 0
	s_and_not1_b32 s0, s0, exec_lo
	s_and_b32 s2, vcc_lo, exec_lo
	s_delay_alu instid0(SALU_CYCLE_1)
	s_or_b32 s0, s0, s2
	s_or_b32 exec_lo, exec_lo, s1
	s_and_saveexec_b32 s1, s0
	s_cbranch_execnz .LBB11_230
	s_branch .LBB11_231
.LBB11_740:
	s_mov_b32 s0, -1
	s_mov_b32 s2, exec_lo
	v_cmpx_eq_u16_e64 0x80, v254
; %bb.741:
	s_xor_b32 s0, exec_lo, -1
; %bb.742:
	s_or_b32 exec_lo, exec_lo, s2
	s_delay_alu instid0(SALU_CYCLE_1)
	s_and_b32 s0, s0, exec_lo
                                        ; implicit-def: $vgpr254
	s_or_saveexec_b32 s1, s1
	v_mov_b32_e32 v245, 0x7f800001
	s_xor_b32 exec_lo, exec_lo, s1
	s_cbranch_execz .LBB11_233
.LBB11_743:
	v_cmp_ne_u16_e64 vcc_lo, 0, v254
	v_mov_b32_e32 v245, 0
	s_and_not1_b32 s0, s0, exec_lo
	s_and_b32 s2, vcc_lo, exec_lo
	s_delay_alu instid0(SALU_CYCLE_1)
	s_or_b32 s0, s0, s2
	s_or_b32 exec_lo, exec_lo, s1
	s_and_saveexec_b32 s1, s0
	s_cbranch_execnz .LBB11_234
	s_branch .LBB11_235
.LBB11_744:
	s_mov_b32 s1, -1
	s_mov_b32 s2, exec_lo
	v_cmpx_eq_u16_e64 0x80, v248
; %bb.745:
	s_xor_b32 s1, exec_lo, -1
; %bb.746:
	s_or_b32 exec_lo, exec_lo, s2
	s_delay_alu instid0(SALU_CYCLE_1)
	s_and_b32 s1, s1, exec_lo
	s_or_saveexec_b32 s0, s0
	v_mov_b32_e32 v246, 0x7f800001
	s_xor_b32 exec_lo, exec_lo, s0
	s_cbranch_execz .LBB11_237
.LBB11_747:
	v_cmp_ne_u16_e64 vcc_lo, 0, v248
	v_mov_b32_e32 v246, 0
	s_and_not1_b32 s1, s1, exec_lo
	s_and_b32 s2, vcc_lo, exec_lo
	s_delay_alu instid0(SALU_CYCLE_1)
	s_or_b32 s1, s1, s2
	s_or_b32 exec_lo, exec_lo, s0
	s_and_saveexec_b32 s0, s1
	s_cbranch_execnz .LBB11_238
	s_branch .LBB11_239
.LBB11_748:
	s_mov_b32 s0, -1
	s_mov_b32 s2, exec_lo
	v_cmpx_eq_u16_e64 0x80, v254
; %bb.749:
	s_xor_b32 s0, exec_lo, -1
; %bb.750:
	s_or_b32 exec_lo, exec_lo, s2
	s_delay_alu instid0(SALU_CYCLE_1)
	s_and_b32 s0, s0, exec_lo
                                        ; implicit-def: $vgpr254
	s_or_saveexec_b32 s1, s1
	v_mov_b32_e32 v248, 0x7f800001
	s_xor_b32 exec_lo, exec_lo, s1
	s_cbranch_execz .LBB11_241
.LBB11_751:
	v_cmp_ne_u16_e64 vcc_lo, 0, v254
	v_mov_b32_e32 v248, 0
	s_and_not1_b32 s0, s0, exec_lo
	s_and_b32 s2, vcc_lo, exec_lo
	s_delay_alu instid0(SALU_CYCLE_1)
	s_or_b32 s0, s0, s2
	s_or_b32 exec_lo, exec_lo, s1
	s_and_saveexec_b32 s1, s0
	s_cbranch_execnz .LBB11_242
	s_branch .LBB11_243
.LBB11_752:
	s_mov_b32 s0, -1
	s_mov_b32 s2, exec_lo
	v_cmpx_eq_u16_e64 0x80, v254
; %bb.753:
	s_xor_b32 s0, exec_lo, -1
; %bb.754:
	s_or_b32 exec_lo, exec_lo, s2
	s_delay_alu instid0(SALU_CYCLE_1)
	s_and_b32 s0, s0, exec_lo
                                        ; implicit-def: $vgpr254
	s_or_saveexec_b32 s1, s1
	v_mov_b32_e32 v147, 0x7f800001
	s_xor_b32 exec_lo, exec_lo, s1
	s_cbranch_execz .LBB11_245
.LBB11_755:
	v_cmp_ne_u16_e64 vcc_lo, 0, v254
	v_mov_b32_e32 v147, 0
	s_and_not1_b32 s0, s0, exec_lo
	s_and_b32 s2, vcc_lo, exec_lo
	s_delay_alu instid0(SALU_CYCLE_1)
	s_or_b32 s0, s0, s2
	s_or_b32 exec_lo, exec_lo, s1
	s_and_saveexec_b32 s1, s0
	s_cbranch_execnz .LBB11_246
	s_branch .LBB11_247
.LBB11_756:
	s_mov_b32 s0, -1
	s_mov_b32 s2, exec_lo
	v_cmpx_eq_u16_e64 0x80, v254
; %bb.757:
	s_xor_b32 s0, exec_lo, -1
; %bb.758:
	s_or_b32 exec_lo, exec_lo, s2
	s_delay_alu instid0(SALU_CYCLE_1)
	s_and_b32 s0, s0, exec_lo
                                        ; implicit-def: $vgpr254
	s_or_saveexec_b32 s1, s1
	v_mov_b32_e32 v251, 0x7f800001
	s_xor_b32 exec_lo, exec_lo, s1
	s_cbranch_execz .LBB11_249
.LBB11_759:
	v_cmp_ne_u16_e64 vcc_lo, 0, v254
	v_mov_b32_e32 v251, 0
	s_and_not1_b32 s0, s0, exec_lo
	s_and_b32 s2, vcc_lo, exec_lo
	s_delay_alu instid0(SALU_CYCLE_1)
	s_or_b32 s0, s0, s2
	s_or_b32 exec_lo, exec_lo, s1
	s_and_saveexec_b32 s1, s0
	s_cbranch_execnz .LBB11_250
	s_branch .LBB11_251
.LBB11_760:
	s_mov_b32 s1, -1
	s_mov_b32 s2, exec_lo
	v_cmpx_eq_u16_e32 0x80, v4
; %bb.761:
	s_xor_b32 s1, exec_lo, -1
; %bb.762:
	s_or_b32 exec_lo, exec_lo, s2
	s_delay_alu instid0(SALU_CYCLE_1)
	s_and_b32 s1, s1, exec_lo
	s_or_saveexec_b32 s0, s0
	v_mov_b32_e32 v252, 0x7f800001
	s_xor_b32 exec_lo, exec_lo, s0
	s_cbranch_execz .LBB11_253
.LBB11_763:
	v_cmp_ne_u16_e32 vcc_lo, 0, v4
	v_mov_b32_e32 v252, 0
	s_and_not1_b32 s1, s1, exec_lo
	s_and_b32 s2, vcc_lo, exec_lo
	s_delay_alu instid0(SALU_CYCLE_1)
	s_or_b32 s1, s1, s2
	s_or_b32 exec_lo, exec_lo, s0
	s_and_saveexec_b32 s0, s1
	s_cbranch_execnz .LBB11_254
	s_branch .LBB11_255
.LBB11_764:
	s_mov_b32 s0, -1
	s_mov_b32 s2, exec_lo
	v_cmpx_eq_u16_e32 0x80, v4
; %bb.765:
	s_xor_b32 s0, exec_lo, -1
; %bb.766:
	s_or_b32 exec_lo, exec_lo, s2
	s_delay_alu instid0(SALU_CYCLE_1)
	s_and_b32 s0, s0, exec_lo
                                        ; implicit-def: $vgpr4
	s_or_saveexec_b32 s1, s1
	v_mov_b32_e32 v254, 0x7f800001
	s_xor_b32 exec_lo, exec_lo, s1
	s_cbranch_execz .LBB11_257
.LBB11_767:
	v_cmp_ne_u16_e32 vcc_lo, 0, v4
	v_mov_b32_e32 v254, 0
	s_and_not1_b32 s0, s0, exec_lo
	s_and_b32 s2, vcc_lo, exec_lo
	s_delay_alu instid0(SALU_CYCLE_1)
	s_or_b32 s0, s0, s2
	s_or_b32 exec_lo, exec_lo, s1
	s_and_saveexec_b32 s1, s0
	s_cbranch_execnz .LBB11_258
	s_branch .LBB11_259
.LBB11_768:
	s_mov_b32 s0, -1
	s_mov_b32 s2, exec_lo
	v_cmpx_eq_u16_e32 0x80, v4
; %bb.769:
	s_xor_b32 s0, exec_lo, -1
; %bb.770:
	s_or_b32 exec_lo, exec_lo, s2
	s_delay_alu instid0(SALU_CYCLE_1)
	s_and_b32 s0, s0, exec_lo
                                        ; implicit-def: $vgpr4
	s_or_saveexec_b32 s1, s1
	v_mov_b32_e32 v148, 0x7f800001
	s_xor_b32 exec_lo, exec_lo, s1
	s_cbranch_execz .LBB11_261
.LBB11_771:
	v_cmp_ne_u16_e32 vcc_lo, 0, v4
	v_mov_b32_e32 v148, 0
	s_and_not1_b32 s0, s0, exec_lo
	s_and_b32 s2, vcc_lo, exec_lo
	s_delay_alu instid0(SALU_CYCLE_1)
	s_or_b32 s0, s0, s2
	s_or_b32 exec_lo, exec_lo, s1
	s_and_saveexec_b32 s1, s0
	s_cbranch_execnz .LBB11_262
	s_branch .LBB11_263
.LBB11_772:
	s_mov_b32 s0, -1
	s_mov_b32 s2, exec_lo
	v_cmpx_eq_u16_e32 0x80, v4
; %bb.773:
	s_xor_b32 s0, exec_lo, -1
; %bb.774:
	s_or_b32 exec_lo, exec_lo, s2
	s_delay_alu instid0(SALU_CYCLE_1)
	s_and_b32 s0, s0, exec_lo
                                        ; implicit-def: $vgpr4
	s_or_saveexec_b32 s1, s1
	v_mov_b32_e32 v1, 0x7f800001
	s_xor_b32 exec_lo, exec_lo, s1
	s_cbranch_execz .LBB11_265
.LBB11_775:
	v_cmp_ne_u16_e32 vcc_lo, 0, v4
	v_mov_b32_e32 v1, 0
	s_and_not1_b32 s0, s0, exec_lo
	s_and_b32 s2, vcc_lo, exec_lo
	s_delay_alu instid0(SALU_CYCLE_1)
	s_or_b32 s0, s0, s2
	s_or_b32 exec_lo, exec_lo, s1
	s_and_saveexec_b32 s1, s0
	s_cbranch_execnz .LBB11_266
	s_branch .LBB11_267
.LBB11_776:
	s_mov_b32 s1, -1
	s_mov_b32 s2, exec_lo
	v_cmpx_eq_u16_e32 0x80, v3
; %bb.777:
	s_xor_b32 s1, exec_lo, -1
; %bb.778:
	s_or_b32 exec_lo, exec_lo, s2
	s_delay_alu instid0(SALU_CYCLE_1)
	s_and_b32 s1, s1, exec_lo
	s_or_saveexec_b32 s0, s0
	v_mov_b32_e32 v2, 0x7f800001
	s_xor_b32 exec_lo, exec_lo, s0
	s_cbranch_execz .LBB11_269
.LBB11_779:
	v_cmp_ne_u16_e32 vcc_lo, 0, v3
	v_mov_b32_e32 v2, 0
	s_and_not1_b32 s1, s1, exec_lo
	s_and_b32 s2, vcc_lo, exec_lo
	s_delay_alu instid0(SALU_CYCLE_1)
	s_or_b32 s1, s1, s2
	s_or_b32 exec_lo, exec_lo, s0
	s_and_saveexec_b32 s0, s1
	s_cbranch_execnz .LBB11_270
	s_branch .LBB11_271
.LBB11_780:
	s_mov_b32 s0, -1
	s_mov_b32 s2, exec_lo
	v_cmpx_eq_u16_e32 0x80, v4
; %bb.781:
	s_xor_b32 s0, exec_lo, -1
; %bb.782:
	s_or_b32 exec_lo, exec_lo, s2
	s_delay_alu instid0(SALU_CYCLE_1)
	s_and_b32 s0, s0, exec_lo
                                        ; implicit-def: $vgpr4
	s_or_saveexec_b32 s1, s1
	v_mov_b32_e32 v3, 0x7f800001
	s_xor_b32 exec_lo, exec_lo, s1
	s_cbranch_execz .LBB11_273
.LBB11_783:
	v_cmp_ne_u16_e32 vcc_lo, 0, v4
	v_mov_b32_e32 v3, 0
	s_and_not1_b32 s0, s0, exec_lo
	s_and_b32 s2, vcc_lo, exec_lo
	s_delay_alu instid0(SALU_CYCLE_1)
	s_or_b32 s0, s0, s2
	s_or_b32 exec_lo, exec_lo, s1
	s_and_saveexec_b32 s1, s0
	s_cbranch_execnz .LBB11_274
	s_branch .LBB11_275
.LBB11_784:
	s_mov_b32 s0, -1
	s_mov_b32 s2, exec_lo
	v_cmpx_eq_u16_e64 0x80, v141
; %bb.785:
	s_xor_b32 s0, exec_lo, -1
; %bb.786:
	s_or_b32 exec_lo, exec_lo, s2
	s_delay_alu instid0(SALU_CYCLE_1)
	s_and_b32 s0, s0, exec_lo
                                        ; implicit-def: $vgpr141
	s_or_saveexec_b32 s1, s1
	v_mov_b32_e32 v4, 0x7f800001
	s_xor_b32 exec_lo, exec_lo, s1
	s_cbranch_execz .LBB11_277
.LBB11_787:
	v_cmp_ne_u16_e64 vcc_lo, 0, v141
	v_mov_b32_e32 v4, 0
	s_and_not1_b32 s0, s0, exec_lo
	s_and_b32 s2, vcc_lo, exec_lo
	s_delay_alu instid0(SALU_CYCLE_1)
	s_or_b32 s0, s0, s2
	s_or_b32 exec_lo, exec_lo, s1
	s_and_saveexec_b32 s1, s0
	s_cbranch_execnz .LBB11_278
	s_branch .LBB11_279
.LBB11_788:
	s_mov_b32 s0, -1
	s_mov_b32 s2, exec_lo
	v_cmpx_eq_u16_e64 0x80, v162
; %bb.789:
	s_xor_b32 s0, exec_lo, -1
; %bb.790:
	s_or_b32 exec_lo, exec_lo, s2
	s_delay_alu instid0(SALU_CYCLE_1)
	s_and_b32 s0, s0, exec_lo
                                        ; implicit-def: $vgpr162
	s_or_saveexec_b32 s1, s1
	v_mov_b32_e32 v141, 0x7f800001
	s_xor_b32 exec_lo, exec_lo, s1
	s_cbranch_execz .LBB11_281
.LBB11_791:
	v_cmp_ne_u16_e64 vcc_lo, 0, v162
	v_mov_b32_e32 v141, 0
	s_and_not1_b32 s0, s0, exec_lo
	s_and_b32 s2, vcc_lo, exec_lo
	s_delay_alu instid0(SALU_CYCLE_1)
	s_or_b32 s0, s0, s2
	s_or_b32 exec_lo, exec_lo, s1
	s_and_saveexec_b32 s1, s0
	s_cbranch_execnz .LBB11_282
	s_branch .LBB11_283
.LBB11_792:
	s_mov_b32 s1, -1
	s_mov_b32 s2, exec_lo
	v_cmpx_eq_u16_e64 0x80, v253
; %bb.793:
	s_xor_b32 s1, exec_lo, -1
; %bb.794:
	s_or_b32 exec_lo, exec_lo, s2
	s_delay_alu instid0(SALU_CYCLE_1)
	s_and_b32 s1, s1, exec_lo
	s_or_saveexec_b32 s0, s0
	v_mov_b32_e32 v162, 0x7f800001
	s_xor_b32 exec_lo, exec_lo, s0
	s_cbranch_execz .LBB11_285
.LBB11_795:
	v_cmp_ne_u16_e64 vcc_lo, 0, v253
	v_mov_b32_e32 v162, 0
	s_and_not1_b32 s1, s1, exec_lo
	s_and_b32 s2, vcc_lo, exec_lo
	s_delay_alu instid0(SALU_CYCLE_1)
	s_or_b32 s1, s1, s2
	s_or_b32 exec_lo, exec_lo, s0
	s_and_saveexec_b32 s0, s1
	s_cbranch_execnz .LBB11_286
	s_branch .LBB11_287
.LBB11_796:
	s_mov_b32 s0, -1
	s_mov_b32 s2, exec_lo
	v_cmpx_eq_u16_e64 0x80, v255
; %bb.797:
	s_xor_b32 s0, exec_lo, -1
; %bb.798:
	s_or_b32 exec_lo, exec_lo, s2
	s_delay_alu instid0(SALU_CYCLE_1)
	s_and_b32 s0, s0, exec_lo
                                        ; implicit-def: $vgpr255
	s_or_saveexec_b32 s1, s1
	v_mov_b32_e32 v253, 0x7f800001
	s_xor_b32 exec_lo, exec_lo, s1
	s_cbranch_execz .LBB11_289
.LBB11_799:
	v_cmp_ne_u16_e64 vcc_lo, 0, v255
	v_mov_b32_e32 v253, 0
	s_and_not1_b32 s0, s0, exec_lo
	s_and_b32 s2, vcc_lo, exec_lo
	s_delay_alu instid0(SALU_CYCLE_1)
	s_or_b32 s0, s0, s2
	s_or_b32 exec_lo, exec_lo, s1
	s_and_saveexec_b32 s1, s0
	s_cbranch_execnz .LBB11_290
	s_branch .LBB11_291
.LBB11_800:
	s_mov_b32 s0, -1
	s_mov_b32 s2, exec_lo
	v_cmpx_eq_u16_e64 0x80, v255
; %bb.801:
	s_xor_b32 s0, exec_lo, -1
; %bb.802:
	s_or_b32 exec_lo, exec_lo, s2
	s_delay_alu instid0(SALU_CYCLE_1)
	s_and_b32 s0, s0, exec_lo
                                        ; implicit-def: $vgpr255
	s_or_saveexec_b32 s1, s1
	v_mov_b32_e32 v142, 0x7f800001
	s_xor_b32 exec_lo, exec_lo, s1
	s_cbranch_execz .LBB11_293
.LBB11_803:
	v_cmp_ne_u16_e64 vcc_lo, 0, v255
	v_mov_b32_e32 v142, 0
	s_and_not1_b32 s0, s0, exec_lo
	s_and_b32 s2, vcc_lo, exec_lo
	s_delay_alu instid0(SALU_CYCLE_1)
	s_or_b32 s0, s0, s2
	s_or_b32 exec_lo, exec_lo, s1
	s_and_saveexec_b32 s1, s0
	s_cbranch_execnz .LBB11_294
	s_branch .LBB11_295
.LBB11_804:
	s_mov_b32 s0, -1
	s_mov_b32 s2, exec_lo
	v_cmpx_eq_u16_e64 0x80, v255
; %bb.805:
	s_xor_b32 s0, exec_lo, -1
; %bb.806:
	s_or_b32 exec_lo, exec_lo, s2
	s_delay_alu instid0(SALU_CYCLE_1)
	s_and_b32 s0, s0, exec_lo
                                        ; implicit-def: $vgpr255
	s_or_saveexec_b32 s1, s1
	v_mov_b32_e32 v250, 0x7f800001
	s_xor_b32 exec_lo, exec_lo, s1
	s_cbranch_execz .LBB11_297
.LBB11_807:
	v_cmp_ne_u16_e64 vcc_lo, 0, v255
	v_mov_b32_e32 v250, 0
	s_and_not1_b32 s0, s0, exec_lo
	s_and_b32 s2, vcc_lo, exec_lo
	s_delay_alu instid0(SALU_CYCLE_1)
	s_or_b32 s0, s0, s2
	s_or_b32 exec_lo, exec_lo, s1
	s_and_saveexec_b32 s1, s0
	s_cbranch_execnz .LBB11_298
	s_branch .LBB11_299
.LBB11_808:
	s_mov_b32 s1, -1
	s_mov_b32 s2, exec_lo
	v_cmpx_eq_u16_e64 0x80, v247
; %bb.809:
	s_xor_b32 s1, exec_lo, -1
; %bb.810:
	s_or_b32 exec_lo, exec_lo, s2
	s_delay_alu instid0(SALU_CYCLE_1)
	s_and_b32 s1, s1, exec_lo
	s_or_saveexec_b32 s0, s0
	v_mov_b32_e32 v249, 0x7f800001
	s_xor_b32 exec_lo, exec_lo, s0
	s_cbranch_execz .LBB11_301
.LBB11_811:
	v_cmp_ne_u16_e64 vcc_lo, 0, v247
	v_mov_b32_e32 v249, 0
	s_and_not1_b32 s1, s1, exec_lo
	s_and_b32 s2, vcc_lo, exec_lo
	s_delay_alu instid0(SALU_CYCLE_1)
	s_or_b32 s1, s1, s2
	s_or_b32 exec_lo, exec_lo, s0
	s_and_saveexec_b32 s0, s1
	s_cbranch_execnz .LBB11_302
	s_branch .LBB11_303
.LBB11_812:
	s_mov_b32 s0, -1
	s_mov_b32 s2, exec_lo
	v_cmpx_eq_u16_e64 0x80, v255
; %bb.813:
	s_xor_b32 s0, exec_lo, -1
; %bb.814:
	s_or_b32 exec_lo, exec_lo, s2
	s_delay_alu instid0(SALU_CYCLE_1)
	s_and_b32 s0, s0, exec_lo
                                        ; implicit-def: $vgpr255
	s_or_saveexec_b32 s1, s1
	v_mov_b32_e32 v247, 0x7f800001
	s_xor_b32 exec_lo, exec_lo, s1
	s_cbranch_execz .LBB11_305
.LBB11_815:
	v_cmp_ne_u16_e64 vcc_lo, 0, v255
	v_mov_b32_e32 v247, 0
	s_and_not1_b32 s0, s0, exec_lo
	s_and_b32 s2, vcc_lo, exec_lo
	s_delay_alu instid0(SALU_CYCLE_1)
	s_or_b32 s0, s0, s2
	s_or_b32 exec_lo, exec_lo, s1
	s_and_saveexec_b32 s1, s0
	s_cbranch_execnz .LBB11_306
	s_branch .LBB11_307
.LBB11_816:
	s_mov_b32 s0, -1
	s_mov_b32 s2, exec_lo
	v_cmpx_eq_u16_e64 0x80, v255
; %bb.817:
	s_xor_b32 s0, exec_lo, -1
; %bb.818:
	s_or_b32 exec_lo, exec_lo, s2
	s_delay_alu instid0(SALU_CYCLE_1)
	s_and_b32 s0, s0, exec_lo
                                        ; implicit-def: $vgpr255
	s_or_saveexec_b32 s1, s1
	v_mov_b32_e32 v143, 0x7f800001
	s_xor_b32 exec_lo, exec_lo, s1
	s_cbranch_execz .LBB11_309
.LBB11_819:
	v_cmp_ne_u16_e64 vcc_lo, 0, v255
	v_mov_b32_e32 v143, 0
	s_and_not1_b32 s0, s0, exec_lo
	s_and_b32 s2, vcc_lo, exec_lo
	s_delay_alu instid0(SALU_CYCLE_1)
	s_or_b32 s0, s0, s2
	s_or_b32 exec_lo, exec_lo, s1
	s_and_saveexec_b32 s1, s0
	s_cbranch_execnz .LBB11_310
	s_branch .LBB11_311
.LBB11_820:
	s_mov_b32 s0, -1
	s_mov_b32 s2, exec_lo
	v_cmpx_eq_u16_e64 0x80, v255
; %bb.821:
	s_xor_b32 s0, exec_lo, -1
; %bb.822:
	s_or_b32 exec_lo, exec_lo, s2
	s_delay_alu instid0(SALU_CYCLE_1)
	s_and_b32 s0, s0, exec_lo
                                        ; implicit-def: $vgpr255
	s_or_saveexec_b32 s1, s1
	v_mov_b32_e32 v244, 0x7f800001
	s_xor_b32 exec_lo, exec_lo, s1
	s_cbranch_execz .LBB11_313
.LBB11_823:
	v_cmp_ne_u16_e64 vcc_lo, 0, v255
	v_mov_b32_e32 v244, 0
	s_and_not1_b32 s0, s0, exec_lo
	s_and_b32 s2, vcc_lo, exec_lo
	s_delay_alu instid0(SALU_CYCLE_1)
	s_or_b32 s0, s0, s2
	s_or_b32 exec_lo, exec_lo, s1
	s_and_saveexec_b32 s1, s0
	s_cbranch_execnz .LBB11_314
	s_branch .LBB11_315
.LBB11_824:
	s_mov_b32 s1, -1
	s_mov_b32 s2, exec_lo
	v_cmpx_eq_u16_e64 0x80, v241
; %bb.825:
	s_xor_b32 s1, exec_lo, -1
; %bb.826:
	s_or_b32 exec_lo, exec_lo, s2
	s_delay_alu instid0(SALU_CYCLE_1)
	s_and_b32 s1, s1, exec_lo
	s_or_saveexec_b32 s0, s0
	v_mov_b32_e32 v243, 0x7f800001
	s_xor_b32 exec_lo, exec_lo, s0
	s_cbranch_execz .LBB11_317
.LBB11_827:
	v_cmp_ne_u16_e64 vcc_lo, 0, v241
	v_mov_b32_e32 v243, 0
	s_and_not1_b32 s1, s1, exec_lo
	s_and_b32 s2, vcc_lo, exec_lo
	s_delay_alu instid0(SALU_CYCLE_1)
	s_or_b32 s1, s1, s2
	s_or_b32 exec_lo, exec_lo, s0
	s_and_saveexec_b32 s0, s1
	s_cbranch_execnz .LBB11_318
	s_branch .LBB11_319
.LBB11_828:
	s_mov_b32 s0, -1
	s_mov_b32 s2, exec_lo
	v_cmpx_eq_u16_e64 0x80, v255
; %bb.829:
	s_xor_b32 s0, exec_lo, -1
; %bb.830:
	s_or_b32 exec_lo, exec_lo, s2
	s_delay_alu instid0(SALU_CYCLE_1)
	s_and_b32 s0, s0, exec_lo
                                        ; implicit-def: $vgpr255
	s_or_saveexec_b32 s1, s1
	v_mov_b32_e32 v241, 0x7f800001
	s_xor_b32 exec_lo, exec_lo, s1
	s_cbranch_execz .LBB11_321
.LBB11_831:
	v_cmp_ne_u16_e64 vcc_lo, 0, v255
	v_mov_b32_e32 v241, 0
	s_and_not1_b32 s0, s0, exec_lo
	s_and_b32 s2, vcc_lo, exec_lo
	s_delay_alu instid0(SALU_CYCLE_1)
	s_or_b32 s0, s0, s2
	s_or_b32 exec_lo, exec_lo, s1
	s_and_saveexec_b32 s1, s0
	s_cbranch_execnz .LBB11_322
	s_branch .LBB11_323
.LBB11_832:
	s_mov_b32 s0, -1
	s_mov_b32 s2, exec_lo
	v_cmpx_eq_u16_e64 0x80, v255
; %bb.833:
	s_xor_b32 s0, exec_lo, -1
; %bb.834:
	s_or_b32 exec_lo, exec_lo, s2
	s_delay_alu instid0(SALU_CYCLE_1)
	s_and_b32 s0, s0, exec_lo
                                        ; implicit-def: $vgpr255
	s_or_saveexec_b32 s1, s1
	v_mov_b32_e32 v144, 0x7f800001
	s_xor_b32 exec_lo, exec_lo, s1
	s_cbranch_execz .LBB11_325
.LBB11_835:
	v_cmp_ne_u16_e64 vcc_lo, 0, v255
	v_mov_b32_e32 v144, 0
	s_and_not1_b32 s0, s0, exec_lo
	s_and_b32 s2, vcc_lo, exec_lo
	s_delay_alu instid0(SALU_CYCLE_1)
	s_or_b32 s0, s0, s2
	s_or_b32 exec_lo, exec_lo, s1
	s_and_saveexec_b32 s1, s0
	s_cbranch_execnz .LBB11_326
	s_branch .LBB11_327
.LBB11_836:
	s_mov_b32 s0, -1
	s_mov_b32 s2, exec_lo
	v_cmpx_eq_u16_e64 0x80, v255
; %bb.837:
	s_xor_b32 s0, exec_lo, -1
; %bb.838:
	s_or_b32 exec_lo, exec_lo, s2
	s_delay_alu instid0(SALU_CYCLE_1)
	s_and_b32 s0, s0, exec_lo
                                        ; implicit-def: $vgpr255
	s_or_saveexec_b32 s1, s1
	v_mov_b32_e32 v238, 0x7f800001
	s_xor_b32 exec_lo, exec_lo, s1
	s_cbranch_execz .LBB11_329
.LBB11_839:
	v_cmp_ne_u16_e64 vcc_lo, 0, v255
	v_mov_b32_e32 v238, 0
	s_and_not1_b32 s0, s0, exec_lo
	s_and_b32 s2, vcc_lo, exec_lo
	s_delay_alu instid0(SALU_CYCLE_1)
	s_or_b32 s0, s0, s2
	s_or_b32 exec_lo, exec_lo, s1
	s_and_saveexec_b32 s1, s0
	s_cbranch_execnz .LBB11_330
	s_branch .LBB11_331
.LBB11_840:
	s_mov_b32 s1, -1
	s_mov_b32 s2, exec_lo
	v_cmpx_eq_u16_e64 0x80, v235
; %bb.841:
	s_xor_b32 s1, exec_lo, -1
; %bb.842:
	s_or_b32 exec_lo, exec_lo, s2
	s_delay_alu instid0(SALU_CYCLE_1)
	s_and_b32 s1, s1, exec_lo
	s_or_saveexec_b32 s0, s0
	v_mov_b32_e32 v237, 0x7f800001
	s_xor_b32 exec_lo, exec_lo, s0
	s_cbranch_execz .LBB11_333
.LBB11_843:
	v_cmp_ne_u16_e64 vcc_lo, 0, v235
	v_mov_b32_e32 v237, 0
	s_and_not1_b32 s1, s1, exec_lo
	s_and_b32 s2, vcc_lo, exec_lo
	s_delay_alu instid0(SALU_CYCLE_1)
	s_or_b32 s1, s1, s2
	s_or_b32 exec_lo, exec_lo, s0
	s_and_saveexec_b32 s0, s1
	s_cbranch_execnz .LBB11_334
	s_branch .LBB11_335
.LBB11_844:
	s_mov_b32 s0, -1
	s_mov_b32 s2, exec_lo
	v_cmpx_eq_u16_e64 0x80, v255
; %bb.845:
	s_xor_b32 s0, exec_lo, -1
; %bb.846:
	s_or_b32 exec_lo, exec_lo, s2
	s_delay_alu instid0(SALU_CYCLE_1)
	s_and_b32 s0, s0, exec_lo
                                        ; implicit-def: $vgpr255
	s_or_saveexec_b32 s1, s1
	v_mov_b32_e32 v235, 0x7f800001
	s_xor_b32 exec_lo, exec_lo, s1
	s_cbranch_execz .LBB11_337
.LBB11_847:
	v_cmp_ne_u16_e64 vcc_lo, 0, v255
	v_mov_b32_e32 v235, 0
	s_and_not1_b32 s0, s0, exec_lo
	s_and_b32 s2, vcc_lo, exec_lo
	s_delay_alu instid0(SALU_CYCLE_1)
	s_or_b32 s0, s0, s2
	s_or_b32 exec_lo, exec_lo, s1
	s_and_saveexec_b32 s1, s0
	s_cbranch_execnz .LBB11_338
	s_branch .LBB11_339
.LBB11_848:
	s_mov_b32 s0, -1
	s_mov_b32 s2, exec_lo
	v_cmpx_eq_u16_e64 0x80, v255
; %bb.849:
	s_xor_b32 s0, exec_lo, -1
; %bb.850:
	s_or_b32 exec_lo, exec_lo, s2
	s_delay_alu instid0(SALU_CYCLE_1)
	s_and_b32 s0, s0, exec_lo
                                        ; implicit-def: $vgpr255
	s_or_saveexec_b32 s1, s1
	v_mov_b32_e32 v137, 0x7f800001
	s_xor_b32 exec_lo, exec_lo, s1
	s_cbranch_execz .LBB11_341
.LBB11_851:
	v_cmp_ne_u16_e64 vcc_lo, 0, v255
	v_mov_b32_e32 v137, 0
	s_and_not1_b32 s0, s0, exec_lo
	s_and_b32 s2, vcc_lo, exec_lo
	s_delay_alu instid0(SALU_CYCLE_1)
	s_or_b32 s0, s0, s2
	s_or_b32 exec_lo, exec_lo, s1
	s_and_saveexec_b32 s1, s0
	s_cbranch_execnz .LBB11_342
	s_branch .LBB11_343
.LBB11_852:
	s_mov_b32 s0, -1
	s_mov_b32 s2, exec_lo
	v_cmpx_eq_u16_e64 0x80, v255
; %bb.853:
	s_xor_b32 s0, exec_lo, -1
; %bb.854:
	s_or_b32 exec_lo, exec_lo, s2
	s_delay_alu instid0(SALU_CYCLE_1)
	s_and_b32 s0, s0, exec_lo
                                        ; implicit-def: $vgpr255
	s_or_saveexec_b32 s1, s1
	v_mov_b32_e32 v233, 0x7f800001
	s_xor_b32 exec_lo, exec_lo, s1
	s_cbranch_execz .LBB11_345
.LBB11_855:
	v_cmp_ne_u16_e64 vcc_lo, 0, v255
	v_mov_b32_e32 v233, 0
	s_and_not1_b32 s0, s0, exec_lo
	s_and_b32 s2, vcc_lo, exec_lo
	s_delay_alu instid0(SALU_CYCLE_1)
	s_or_b32 s0, s0, s2
	s_or_b32 exec_lo, exec_lo, s1
	s_and_saveexec_b32 s1, s0
	s_cbranch_execnz .LBB11_346
	s_branch .LBB11_347
.LBB11_856:
	s_mov_b32 s1, -1
	s_mov_b32 s2, exec_lo
	v_cmpx_eq_u16_e64 0x80, v230
; %bb.857:
	s_xor_b32 s1, exec_lo, -1
; %bb.858:
	s_or_b32 exec_lo, exec_lo, s2
	s_delay_alu instid0(SALU_CYCLE_1)
	s_and_b32 s1, s1, exec_lo
	s_or_saveexec_b32 s0, s0
	v_mov_b32_e32 v231, 0x7f800001
	s_xor_b32 exec_lo, exec_lo, s0
	s_cbranch_execz .LBB11_349
.LBB11_859:
	v_cmp_ne_u16_e64 vcc_lo, 0, v230
	v_mov_b32_e32 v231, 0
	s_and_not1_b32 s1, s1, exec_lo
	s_and_b32 s2, vcc_lo, exec_lo
	s_delay_alu instid0(SALU_CYCLE_1)
	s_or_b32 s1, s1, s2
	s_or_b32 exec_lo, exec_lo, s0
	s_and_saveexec_b32 s0, s1
	s_cbranch_execnz .LBB11_350
	s_branch .LBB11_351
.LBB11_860:
	s_mov_b32 s0, -1
	s_mov_b32 s2, exec_lo
	v_cmpx_eq_u16_e64 0x80, v255
; %bb.861:
	s_xor_b32 s0, exec_lo, -1
; %bb.862:
	s_or_b32 exec_lo, exec_lo, s2
	s_delay_alu instid0(SALU_CYCLE_1)
	s_and_b32 s0, s0, exec_lo
                                        ; implicit-def: $vgpr255
	s_or_saveexec_b32 s1, s1
	v_mov_b32_e32 v230, 0x7f800001
	s_xor_b32 exec_lo, exec_lo, s1
	s_cbranch_execz .LBB11_353
.LBB11_863:
	v_cmp_ne_u16_e64 vcc_lo, 0, v255
	v_mov_b32_e32 v230, 0
	s_and_not1_b32 s0, s0, exec_lo
	s_and_b32 s2, vcc_lo, exec_lo
	s_delay_alu instid0(SALU_CYCLE_1)
	s_or_b32 s0, s0, s2
	s_or_b32 exec_lo, exec_lo, s1
	s_and_saveexec_b32 s1, s0
	s_cbranch_execnz .LBB11_354
	s_branch .LBB11_355
.LBB11_864:
	s_mov_b32 s0, -1
	s_mov_b32 s2, exec_lo
	v_cmpx_eq_u16_e64 0x80, v255
; %bb.865:
	s_xor_b32 s0, exec_lo, -1
; %bb.866:
	s_or_b32 exec_lo, exec_lo, s2
	s_delay_alu instid0(SALU_CYCLE_1)
	s_and_b32 s0, s0, exec_lo
                                        ; implicit-def: $vgpr255
	s_or_saveexec_b32 s1, s1
	v_mov_b32_e32 v138, 0x7f800001
	s_xor_b32 exec_lo, exec_lo, s1
	s_cbranch_execz .LBB11_357
.LBB11_867:
	v_cmp_ne_u16_e64 vcc_lo, 0, v255
	v_mov_b32_e32 v138, 0
	s_and_not1_b32 s0, s0, exec_lo
	s_and_b32 s2, vcc_lo, exec_lo
	s_delay_alu instid0(SALU_CYCLE_1)
	s_or_b32 s0, s0, s2
	s_or_b32 exec_lo, exec_lo, s1
	s_and_saveexec_b32 s1, s0
	s_cbranch_execnz .LBB11_358
	s_branch .LBB11_359
.LBB11_868:
	s_mov_b32 s0, -1
	s_mov_b32 s2, exec_lo
	v_cmpx_eq_u16_e64 0x80, v255
; %bb.869:
	s_xor_b32 s0, exec_lo, -1
; %bb.870:
	s_or_b32 exec_lo, exec_lo, s2
	s_delay_alu instid0(SALU_CYCLE_1)
	s_and_b32 s0, s0, exec_lo
                                        ; implicit-def: $vgpr255
	s_or_saveexec_b32 s1, s1
	v_mov_b32_e32 v227, 0x7f800001
	s_xor_b32 exec_lo, exec_lo, s1
	s_cbranch_execz .LBB11_361
.LBB11_871:
	v_cmp_ne_u16_e64 vcc_lo, 0, v255
	v_mov_b32_e32 v227, 0
	s_and_not1_b32 s0, s0, exec_lo
	s_and_b32 s2, vcc_lo, exec_lo
	s_delay_alu instid0(SALU_CYCLE_1)
	s_or_b32 s0, s0, s2
	s_or_b32 exec_lo, exec_lo, s1
	s_and_saveexec_b32 s1, s0
	s_cbranch_execnz .LBB11_362
	s_branch .LBB11_363
.LBB11_872:
	s_mov_b32 s1, -1
	s_mov_b32 s2, exec_lo
	v_cmpx_eq_u16_e64 0x80, v224
; %bb.873:
	s_xor_b32 s1, exec_lo, -1
; %bb.874:
	s_or_b32 exec_lo, exec_lo, s2
	s_delay_alu instid0(SALU_CYCLE_1)
	s_and_b32 s1, s1, exec_lo
	s_or_saveexec_b32 s0, s0
	v_mov_b32_e32 v225, 0x7f800001
	s_xor_b32 exec_lo, exec_lo, s0
	s_cbranch_execz .LBB11_365
.LBB11_875:
	v_cmp_ne_u16_e64 vcc_lo, 0, v224
	v_mov_b32_e32 v225, 0
	s_and_not1_b32 s1, s1, exec_lo
	s_and_b32 s2, vcc_lo, exec_lo
	s_delay_alu instid0(SALU_CYCLE_1)
	s_or_b32 s1, s1, s2
	s_or_b32 exec_lo, exec_lo, s0
	s_and_saveexec_b32 s0, s1
	s_cbranch_execnz .LBB11_366
	s_branch .LBB11_367
.LBB11_876:
	s_mov_b32 s0, -1
	s_mov_b32 s2, exec_lo
	v_cmpx_eq_u16_e64 0x80, v255
; %bb.877:
	s_xor_b32 s0, exec_lo, -1
; %bb.878:
	s_or_b32 exec_lo, exec_lo, s2
	s_delay_alu instid0(SALU_CYCLE_1)
	s_and_b32 s0, s0, exec_lo
                                        ; implicit-def: $vgpr255
	s_or_saveexec_b32 s1, s1
	v_mov_b32_e32 v224, 0x7f800001
	s_xor_b32 exec_lo, exec_lo, s1
	s_cbranch_execz .LBB11_369
.LBB11_879:
	v_cmp_ne_u16_e64 vcc_lo, 0, v255
	v_mov_b32_e32 v224, 0
	s_and_not1_b32 s0, s0, exec_lo
	s_and_b32 s2, vcc_lo, exec_lo
	s_delay_alu instid0(SALU_CYCLE_1)
	s_or_b32 s0, s0, s2
	s_or_b32 exec_lo, exec_lo, s1
	s_and_saveexec_b32 s1, s0
	s_cbranch_execnz .LBB11_370
	s_branch .LBB11_371
.LBB11_880:
	s_mov_b32 s0, -1
	s_mov_b32 s2, exec_lo
	v_cmpx_eq_u16_e64 0x80, v255
; %bb.881:
	s_xor_b32 s0, exec_lo, -1
; %bb.882:
	s_or_b32 exec_lo, exec_lo, s2
	s_delay_alu instid0(SALU_CYCLE_1)
	s_and_b32 s0, s0, exec_lo
                                        ; implicit-def: $vgpr255
	s_or_saveexec_b32 s1, s1
	v_mov_b32_e32 v139, 0x7f800001
	s_xor_b32 exec_lo, exec_lo, s1
	s_cbranch_execz .LBB11_373
.LBB11_883:
	v_cmp_ne_u16_e64 vcc_lo, 0, v255
	v_mov_b32_e32 v139, 0
	s_and_not1_b32 s0, s0, exec_lo
	s_and_b32 s2, vcc_lo, exec_lo
	s_delay_alu instid0(SALU_CYCLE_1)
	s_or_b32 s0, s0, s2
	s_or_b32 exec_lo, exec_lo, s1
	s_and_saveexec_b32 s1, s0
	s_cbranch_execnz .LBB11_374
	s_branch .LBB11_375
.LBB11_884:
	s_mov_b32 s0, -1
	s_mov_b32 s2, exec_lo
	v_cmpx_eq_u16_e64 0x80, v255
; %bb.885:
	s_xor_b32 s0, exec_lo, -1
; %bb.886:
	s_or_b32 exec_lo, exec_lo, s2
	s_delay_alu instid0(SALU_CYCLE_1)
	s_and_b32 s0, s0, exec_lo
                                        ; implicit-def: $vgpr255
	s_or_saveexec_b32 s1, s1
	v_mov_b32_e32 v221, 0x7f800001
	s_xor_b32 exec_lo, exec_lo, s1
	s_cbranch_execz .LBB11_377
.LBB11_887:
	v_cmp_ne_u16_e64 vcc_lo, 0, v255
	v_mov_b32_e32 v221, 0
	s_and_not1_b32 s0, s0, exec_lo
	s_and_b32 s2, vcc_lo, exec_lo
	s_delay_alu instid0(SALU_CYCLE_1)
	s_or_b32 s0, s0, s2
	s_or_b32 exec_lo, exec_lo, s1
	s_and_saveexec_b32 s1, s0
	s_cbranch_execnz .LBB11_378
	s_branch .LBB11_379
.LBB11_888:
	s_mov_b32 s1, -1
	s_mov_b32 s2, exec_lo
	v_cmpx_eq_u16_e64 0x80, v218
; %bb.889:
	s_xor_b32 s1, exec_lo, -1
; %bb.890:
	s_or_b32 exec_lo, exec_lo, s2
	s_delay_alu instid0(SALU_CYCLE_1)
	s_and_b32 s1, s1, exec_lo
	s_or_saveexec_b32 s0, s0
	v_mov_b32_e32 v219, 0x7f800001
	s_xor_b32 exec_lo, exec_lo, s0
	s_cbranch_execz .LBB11_381
.LBB11_891:
	v_cmp_ne_u16_e64 vcc_lo, 0, v218
	v_mov_b32_e32 v219, 0
	s_and_not1_b32 s1, s1, exec_lo
	s_and_b32 s2, vcc_lo, exec_lo
	s_delay_alu instid0(SALU_CYCLE_1)
	s_or_b32 s1, s1, s2
	s_or_b32 exec_lo, exec_lo, s0
	s_and_saveexec_b32 s0, s1
	s_cbranch_execnz .LBB11_382
	s_branch .LBB11_383
.LBB11_892:
	s_mov_b32 s0, -1
	s_mov_b32 s2, exec_lo
	v_cmpx_eq_u16_e64 0x80, v255
; %bb.893:
	s_xor_b32 s0, exec_lo, -1
; %bb.894:
	s_or_b32 exec_lo, exec_lo, s2
	s_delay_alu instid0(SALU_CYCLE_1)
	s_and_b32 s0, s0, exec_lo
                                        ; implicit-def: $vgpr255
	s_or_saveexec_b32 s1, s1
	v_mov_b32_e32 v218, 0x7f800001
	s_xor_b32 exec_lo, exec_lo, s1
	s_cbranch_execz .LBB11_385
.LBB11_895:
	v_cmp_ne_u16_e64 vcc_lo, 0, v255
	v_mov_b32_e32 v218, 0
	s_and_not1_b32 s0, s0, exec_lo
	s_and_b32 s2, vcc_lo, exec_lo
	s_delay_alu instid0(SALU_CYCLE_1)
	s_or_b32 s0, s0, s2
	s_or_b32 exec_lo, exec_lo, s1
	s_and_saveexec_b32 s1, s0
	s_cbranch_execnz .LBB11_386
	s_branch .LBB11_387
.LBB11_896:
	s_mov_b32 s0, -1
	s_mov_b32 s2, exec_lo
	v_cmpx_eq_u16_e64 0x80, v255
; %bb.897:
	s_xor_b32 s0, exec_lo, -1
; %bb.898:
	s_or_b32 exec_lo, exec_lo, s2
	s_delay_alu instid0(SALU_CYCLE_1)
	s_and_b32 s0, s0, exec_lo
                                        ; implicit-def: $vgpr255
	s_or_saveexec_b32 s1, s1
	v_mov_b32_e32 v140, 0x7f800001
	s_xor_b32 exec_lo, exec_lo, s1
	s_cbranch_execz .LBB11_389
.LBB11_899:
	v_cmp_ne_u16_e64 vcc_lo, 0, v255
	v_mov_b32_e32 v140, 0
	s_and_not1_b32 s0, s0, exec_lo
	s_and_b32 s2, vcc_lo, exec_lo
	s_delay_alu instid0(SALU_CYCLE_1)
	s_or_b32 s0, s0, s2
	s_or_b32 exec_lo, exec_lo, s1
	s_and_saveexec_b32 s1, s0
	s_cbranch_execnz .LBB11_390
	s_branch .LBB11_391
.LBB11_900:
	s_mov_b32 s0, -1
	s_mov_b32 s2, exec_lo
	v_cmpx_eq_u16_e64 0x80, v255
; %bb.901:
	s_xor_b32 s0, exec_lo, -1
; %bb.902:
	s_or_b32 exec_lo, exec_lo, s2
	s_delay_alu instid0(SALU_CYCLE_1)
	s_and_b32 s0, s0, exec_lo
                                        ; implicit-def: $vgpr255
	s_or_saveexec_b32 s1, s1
	v_mov_b32_e32 v215, 0x7f800001
	s_xor_b32 exec_lo, exec_lo, s1
	s_cbranch_execz .LBB11_393
.LBB11_903:
	v_cmp_ne_u16_e64 vcc_lo, 0, v255
	v_mov_b32_e32 v215, 0
	s_and_not1_b32 s0, s0, exec_lo
	s_and_b32 s2, vcc_lo, exec_lo
	s_delay_alu instid0(SALU_CYCLE_1)
	s_or_b32 s0, s0, s2
	s_or_b32 exec_lo, exec_lo, s1
	s_and_saveexec_b32 s1, s0
	s_cbranch_execnz .LBB11_394
	s_branch .LBB11_395
.LBB11_904:
	s_mov_b32 s1, -1
	s_mov_b32 s2, exec_lo
	v_cmpx_eq_u16_e64 0x80, v212
; %bb.905:
	s_xor_b32 s1, exec_lo, -1
; %bb.906:
	s_or_b32 exec_lo, exec_lo, s2
	s_delay_alu instid0(SALU_CYCLE_1)
	s_and_b32 s1, s1, exec_lo
	s_or_saveexec_b32 s0, s0
	v_mov_b32_e32 v213, 0x7f800001
	s_xor_b32 exec_lo, exec_lo, s0
	s_cbranch_execz .LBB11_397
.LBB11_907:
	v_cmp_ne_u16_e64 vcc_lo, 0, v212
	v_mov_b32_e32 v213, 0
	s_and_not1_b32 s1, s1, exec_lo
	s_and_b32 s2, vcc_lo, exec_lo
	s_delay_alu instid0(SALU_CYCLE_1)
	s_or_b32 s1, s1, s2
	s_or_b32 exec_lo, exec_lo, s0
	s_and_saveexec_b32 s0, s1
	s_cbranch_execnz .LBB11_398
	s_branch .LBB11_399
.LBB11_908:
	s_mov_b32 s0, -1
	s_mov_b32 s2, exec_lo
	v_cmpx_eq_u16_e64 0x80, v255
; %bb.909:
	s_xor_b32 s0, exec_lo, -1
; %bb.910:
	s_or_b32 exec_lo, exec_lo, s2
	s_delay_alu instid0(SALU_CYCLE_1)
	s_and_b32 s0, s0, exec_lo
                                        ; implicit-def: $vgpr255
	s_or_saveexec_b32 s1, s1
	v_mov_b32_e32 v212, 0x7f800001
	s_xor_b32 exec_lo, exec_lo, s1
	s_cbranch_execz .LBB11_401
.LBB11_911:
	v_cmp_ne_u16_e64 vcc_lo, 0, v255
	v_mov_b32_e32 v212, 0
	s_and_not1_b32 s0, s0, exec_lo
	s_and_b32 s2, vcc_lo, exec_lo
	s_delay_alu instid0(SALU_CYCLE_1)
	s_or_b32 s0, s0, s2
	s_or_b32 exec_lo, exec_lo, s1
	s_and_saveexec_b32 s1, s0
	s_cbranch_execnz .LBB11_402
	s_branch .LBB11_403
.LBB11_912:
	s_mov_b32 s0, -1
	s_mov_b32 s2, exec_lo
	v_cmpx_eq_u16_e64 0x80, v255
; %bb.913:
	s_xor_b32 s0, exec_lo, -1
; %bb.914:
	s_or_b32 exec_lo, exec_lo, s2
	s_delay_alu instid0(SALU_CYCLE_1)
	s_and_b32 s0, s0, exec_lo
                                        ; implicit-def: $vgpr255
	s_or_saveexec_b32 s1, s1
	v_mov_b32_e32 v133, 0x7f800001
	s_xor_b32 exec_lo, exec_lo, s1
	s_cbranch_execz .LBB11_405
.LBB11_915:
	v_cmp_ne_u16_e64 vcc_lo, 0, v255
	v_mov_b32_e32 v133, 0
	s_and_not1_b32 s0, s0, exec_lo
	s_and_b32 s2, vcc_lo, exec_lo
	s_delay_alu instid0(SALU_CYCLE_1)
	s_or_b32 s0, s0, s2
	s_or_b32 exec_lo, exec_lo, s1
	s_and_saveexec_b32 s1, s0
	s_cbranch_execnz .LBB11_406
	s_branch .LBB11_407
.LBB11_916:
	s_mov_b32 s0, -1
	s_mov_b32 s2, exec_lo
	v_cmpx_eq_u16_e64 0x80, v255
; %bb.917:
	s_xor_b32 s0, exec_lo, -1
; %bb.918:
	s_or_b32 exec_lo, exec_lo, s2
	s_delay_alu instid0(SALU_CYCLE_1)
	s_and_b32 s0, s0, exec_lo
                                        ; implicit-def: $vgpr255
	s_or_saveexec_b32 s1, s1
	v_mov_b32_e32 v209, 0x7f800001
	s_xor_b32 exec_lo, exec_lo, s1
	s_cbranch_execz .LBB11_409
.LBB11_919:
	v_cmp_ne_u16_e64 vcc_lo, 0, v255
	v_mov_b32_e32 v209, 0
	s_and_not1_b32 s0, s0, exec_lo
	s_and_b32 s2, vcc_lo, exec_lo
	s_delay_alu instid0(SALU_CYCLE_1)
	s_or_b32 s0, s0, s2
	s_or_b32 exec_lo, exec_lo, s1
	s_and_saveexec_b32 s1, s0
	s_cbranch_execnz .LBB11_410
	s_branch .LBB11_411
.LBB11_920:
	s_mov_b32 s1, -1
	s_mov_b32 s2, exec_lo
	v_cmpx_eq_u16_e64 0x80, v206
; %bb.921:
	s_xor_b32 s1, exec_lo, -1
; %bb.922:
	s_or_b32 exec_lo, exec_lo, s2
	s_delay_alu instid0(SALU_CYCLE_1)
	s_and_b32 s1, s1, exec_lo
	s_or_saveexec_b32 s0, s0
	v_mov_b32_e32 v207, 0x7f800001
	s_xor_b32 exec_lo, exec_lo, s0
	s_cbranch_execz .LBB11_413
.LBB11_923:
	v_cmp_ne_u16_e64 vcc_lo, 0, v206
	v_mov_b32_e32 v207, 0
	s_and_not1_b32 s1, s1, exec_lo
	s_and_b32 s2, vcc_lo, exec_lo
	s_delay_alu instid0(SALU_CYCLE_1)
	s_or_b32 s1, s1, s2
	s_or_b32 exec_lo, exec_lo, s0
	s_and_saveexec_b32 s0, s1
	s_cbranch_execnz .LBB11_414
	s_branch .LBB11_415
.LBB11_924:
	s_mov_b32 s0, -1
	s_mov_b32 s2, exec_lo
	v_cmpx_eq_u16_e64 0x80, v255
; %bb.925:
	s_xor_b32 s0, exec_lo, -1
; %bb.926:
	s_or_b32 exec_lo, exec_lo, s2
	s_delay_alu instid0(SALU_CYCLE_1)
	s_and_b32 s0, s0, exec_lo
                                        ; implicit-def: $vgpr255
	s_or_saveexec_b32 s1, s1
	v_mov_b32_e32 v206, 0x7f800001
	s_xor_b32 exec_lo, exec_lo, s1
	s_cbranch_execz .LBB11_417
.LBB11_927:
	v_cmp_ne_u16_e64 vcc_lo, 0, v255
	v_mov_b32_e32 v206, 0
	s_and_not1_b32 s0, s0, exec_lo
	s_and_b32 s2, vcc_lo, exec_lo
	s_delay_alu instid0(SALU_CYCLE_1)
	s_or_b32 s0, s0, s2
	s_or_b32 exec_lo, exec_lo, s1
	s_and_saveexec_b32 s1, s0
	s_cbranch_execnz .LBB11_418
	s_branch .LBB11_419
.LBB11_928:
	s_mov_b32 s0, -1
	s_mov_b32 s2, exec_lo
	v_cmpx_eq_u16_e64 0x80, v255
; %bb.929:
	s_xor_b32 s0, exec_lo, -1
; %bb.930:
	s_or_b32 exec_lo, exec_lo, s2
	s_delay_alu instid0(SALU_CYCLE_1)
	s_and_b32 s0, s0, exec_lo
                                        ; implicit-def: $vgpr255
	s_or_saveexec_b32 s1, s1
	v_mov_b32_e32 v134, 0x7f800001
	s_xor_b32 exec_lo, exec_lo, s1
	s_cbranch_execz .LBB11_421
.LBB11_931:
	v_cmp_ne_u16_e64 vcc_lo, 0, v255
	v_mov_b32_e32 v134, 0
	s_and_not1_b32 s0, s0, exec_lo
	s_and_b32 s2, vcc_lo, exec_lo
	s_delay_alu instid0(SALU_CYCLE_1)
	s_or_b32 s0, s0, s2
	s_or_b32 exec_lo, exec_lo, s1
	s_and_saveexec_b32 s1, s0
	s_cbranch_execnz .LBB11_422
	s_branch .LBB11_423
.LBB11_932:
	s_mov_b32 s0, -1
	s_mov_b32 s2, exec_lo
	v_cmpx_eq_u16_e64 0x80, v255
; %bb.933:
	s_xor_b32 s0, exec_lo, -1
; %bb.934:
	s_or_b32 exec_lo, exec_lo, s2
	s_delay_alu instid0(SALU_CYCLE_1)
	s_and_b32 s0, s0, exec_lo
                                        ; implicit-def: $vgpr255
	s_or_saveexec_b32 s1, s1
	v_mov_b32_e32 v203, 0x7f800001
	s_xor_b32 exec_lo, exec_lo, s1
	s_cbranch_execz .LBB11_425
.LBB11_935:
	v_cmp_ne_u16_e64 vcc_lo, 0, v255
	v_mov_b32_e32 v203, 0
	s_and_not1_b32 s0, s0, exec_lo
	s_and_b32 s2, vcc_lo, exec_lo
	s_delay_alu instid0(SALU_CYCLE_1)
	s_or_b32 s0, s0, s2
	s_or_b32 exec_lo, exec_lo, s1
	s_and_saveexec_b32 s1, s0
	s_cbranch_execnz .LBB11_426
	s_branch .LBB11_427
.LBB11_936:
	s_mov_b32 s1, -1
	s_mov_b32 s2, exec_lo
	v_cmpx_eq_u16_e64 0x80, v200
; %bb.937:
	s_xor_b32 s1, exec_lo, -1
; %bb.938:
	s_or_b32 exec_lo, exec_lo, s2
	s_delay_alu instid0(SALU_CYCLE_1)
	s_and_b32 s1, s1, exec_lo
	s_or_saveexec_b32 s0, s0
	v_mov_b32_e32 v201, 0x7f800001
	s_xor_b32 exec_lo, exec_lo, s0
	s_cbranch_execz .LBB11_429
.LBB11_939:
	v_cmp_ne_u16_e64 vcc_lo, 0, v200
	v_mov_b32_e32 v201, 0
	s_and_not1_b32 s1, s1, exec_lo
	s_and_b32 s2, vcc_lo, exec_lo
	s_delay_alu instid0(SALU_CYCLE_1)
	s_or_b32 s1, s1, s2
	s_or_b32 exec_lo, exec_lo, s0
	s_and_saveexec_b32 s0, s1
	s_cbranch_execnz .LBB11_430
	s_branch .LBB11_431
.LBB11_940:
	s_mov_b32 s0, -1
	s_mov_b32 s2, exec_lo
	v_cmpx_eq_u16_e64 0x80, v255
; %bb.941:
	s_xor_b32 s0, exec_lo, -1
; %bb.942:
	s_or_b32 exec_lo, exec_lo, s2
	s_delay_alu instid0(SALU_CYCLE_1)
	s_and_b32 s0, s0, exec_lo
                                        ; implicit-def: $vgpr255
	s_or_saveexec_b32 s1, s1
	v_mov_b32_e32 v200, 0x7f800001
	s_xor_b32 exec_lo, exec_lo, s1
	s_cbranch_execz .LBB11_433
.LBB11_943:
	v_cmp_ne_u16_e64 vcc_lo, 0, v255
	v_mov_b32_e32 v200, 0
	s_and_not1_b32 s0, s0, exec_lo
	s_and_b32 s2, vcc_lo, exec_lo
	s_delay_alu instid0(SALU_CYCLE_1)
	s_or_b32 s0, s0, s2
	s_or_b32 exec_lo, exec_lo, s1
	s_and_saveexec_b32 s1, s0
	s_cbranch_execnz .LBB11_434
	s_branch .LBB11_435
.LBB11_944:
	s_mov_b32 s0, -1
	s_mov_b32 s2, exec_lo
	v_cmpx_eq_u16_e64 0x80, v255
; %bb.945:
	s_xor_b32 s0, exec_lo, -1
; %bb.946:
	s_or_b32 exec_lo, exec_lo, s2
	s_delay_alu instid0(SALU_CYCLE_1)
	s_and_b32 s0, s0, exec_lo
                                        ; implicit-def: $vgpr255
	s_or_saveexec_b32 s1, s1
	v_mov_b32_e32 v135, 0x7f800001
	s_xor_b32 exec_lo, exec_lo, s1
	s_cbranch_execz .LBB11_437
.LBB11_947:
	v_cmp_ne_u16_e64 vcc_lo, 0, v255
	v_mov_b32_e32 v135, 0
	s_and_not1_b32 s0, s0, exec_lo
	s_and_b32 s2, vcc_lo, exec_lo
	s_delay_alu instid0(SALU_CYCLE_1)
	s_or_b32 s0, s0, s2
	s_or_b32 exec_lo, exec_lo, s1
	s_and_saveexec_b32 s1, s0
	s_cbranch_execnz .LBB11_438
	s_branch .LBB11_439
.LBB11_948:
	s_mov_b32 s0, -1
	s_mov_b32 s2, exec_lo
	v_cmpx_eq_u16_e64 0x80, v255
; %bb.949:
	s_xor_b32 s0, exec_lo, -1
; %bb.950:
	s_or_b32 exec_lo, exec_lo, s2
	s_delay_alu instid0(SALU_CYCLE_1)
	s_and_b32 s0, s0, exec_lo
                                        ; implicit-def: $vgpr255
	s_or_saveexec_b32 s1, s1
	v_mov_b32_e32 v197, 0x7f800001
	s_xor_b32 exec_lo, exec_lo, s1
	s_cbranch_execz .LBB11_441
.LBB11_951:
	v_cmp_ne_u16_e64 vcc_lo, 0, v255
	v_mov_b32_e32 v197, 0
	s_and_not1_b32 s0, s0, exec_lo
	s_and_b32 s2, vcc_lo, exec_lo
	s_delay_alu instid0(SALU_CYCLE_1)
	s_or_b32 s0, s0, s2
	s_or_b32 exec_lo, exec_lo, s1
	s_and_saveexec_b32 s1, s0
	s_cbranch_execnz .LBB11_442
	s_branch .LBB11_443
.LBB11_952:
	s_mov_b32 s1, -1
	s_mov_b32 s2, exec_lo
	v_cmpx_eq_u16_e64 0x80, v194
; %bb.953:
	s_xor_b32 s1, exec_lo, -1
; %bb.954:
	s_or_b32 exec_lo, exec_lo, s2
	s_delay_alu instid0(SALU_CYCLE_1)
	s_and_b32 s1, s1, exec_lo
	s_or_saveexec_b32 s0, s0
	v_mov_b32_e32 v195, 0x7f800001
	s_xor_b32 exec_lo, exec_lo, s0
	s_cbranch_execz .LBB11_445
.LBB11_955:
	v_cmp_ne_u16_e64 vcc_lo, 0, v194
	v_mov_b32_e32 v195, 0
	s_and_not1_b32 s1, s1, exec_lo
	s_and_b32 s2, vcc_lo, exec_lo
	s_delay_alu instid0(SALU_CYCLE_1)
	s_or_b32 s1, s1, s2
	s_or_b32 exec_lo, exec_lo, s0
	s_and_saveexec_b32 s0, s1
	s_cbranch_execnz .LBB11_446
	s_branch .LBB11_447
.LBB11_956:
	s_mov_b32 s0, -1
	s_mov_b32 s2, exec_lo
	v_cmpx_eq_u16_e64 0x80, v255
; %bb.957:
	s_xor_b32 s0, exec_lo, -1
; %bb.958:
	s_or_b32 exec_lo, exec_lo, s2
	s_delay_alu instid0(SALU_CYCLE_1)
	s_and_b32 s0, s0, exec_lo
                                        ; implicit-def: $vgpr255
	s_or_saveexec_b32 s1, s1
	v_mov_b32_e32 v194, 0x7f800001
	s_xor_b32 exec_lo, exec_lo, s1
	s_cbranch_execz .LBB11_449
.LBB11_959:
	v_cmp_ne_u16_e64 vcc_lo, 0, v255
	v_mov_b32_e32 v194, 0
	s_and_not1_b32 s0, s0, exec_lo
	s_and_b32 s2, vcc_lo, exec_lo
	s_delay_alu instid0(SALU_CYCLE_1)
	s_or_b32 s0, s0, s2
	s_or_b32 exec_lo, exec_lo, s1
	s_and_saveexec_b32 s1, s0
	s_cbranch_execnz .LBB11_450
	s_branch .LBB11_451
.LBB11_960:
	s_mov_b32 s0, -1
	s_mov_b32 s2, exec_lo
	v_cmpx_eq_u16_e64 0x80, v255
; %bb.961:
	s_xor_b32 s0, exec_lo, -1
; %bb.962:
	s_or_b32 exec_lo, exec_lo, s2
	s_delay_alu instid0(SALU_CYCLE_1)
	s_and_b32 s0, s0, exec_lo
                                        ; implicit-def: $vgpr255
	s_or_saveexec_b32 s1, s1
	v_mov_b32_e32 v136, 0x7f800001
	s_xor_b32 exec_lo, exec_lo, s1
	s_cbranch_execz .LBB11_453
.LBB11_963:
	v_cmp_ne_u16_e64 vcc_lo, 0, v255
	v_mov_b32_e32 v136, 0
	s_and_not1_b32 s0, s0, exec_lo
	s_and_b32 s2, vcc_lo, exec_lo
	s_delay_alu instid0(SALU_CYCLE_1)
	s_or_b32 s0, s0, s2
	s_or_b32 exec_lo, exec_lo, s1
	s_and_saveexec_b32 s1, s0
	s_cbranch_execnz .LBB11_454
	s_branch .LBB11_455
.LBB11_964:
	s_mov_b32 s0, -1
	s_mov_b32 s2, exec_lo
	v_cmpx_eq_u16_e64 0x80, v255
; %bb.965:
	s_xor_b32 s0, exec_lo, -1
; %bb.966:
	s_or_b32 exec_lo, exec_lo, s2
	s_delay_alu instid0(SALU_CYCLE_1)
	s_and_b32 s0, s0, exec_lo
                                        ; implicit-def: $vgpr255
	s_or_saveexec_b32 s1, s1
	v_mov_b32_e32 v191, 0x7f800001
	s_xor_b32 exec_lo, exec_lo, s1
	s_cbranch_execz .LBB11_457
.LBB11_967:
	v_cmp_ne_u16_e64 vcc_lo, 0, v255
	v_mov_b32_e32 v191, 0
	s_and_not1_b32 s0, s0, exec_lo
	s_and_b32 s2, vcc_lo, exec_lo
	s_delay_alu instid0(SALU_CYCLE_1)
	s_or_b32 s0, s0, s2
	s_or_b32 exec_lo, exec_lo, s1
	s_and_saveexec_b32 s1, s0
	s_cbranch_execnz .LBB11_458
	s_branch .LBB11_459
.LBB11_968:
	s_mov_b32 s1, -1
	s_mov_b32 s2, exec_lo
	v_cmpx_eq_u16_e64 0x80, v188
; %bb.969:
	s_xor_b32 s1, exec_lo, -1
; %bb.970:
	s_or_b32 exec_lo, exec_lo, s2
	s_delay_alu instid0(SALU_CYCLE_1)
	s_and_b32 s1, s1, exec_lo
	s_or_saveexec_b32 s0, s0
	v_mov_b32_e32 v189, 0x7f800001
	s_xor_b32 exec_lo, exec_lo, s0
	s_cbranch_execz .LBB11_461
.LBB11_971:
	v_cmp_ne_u16_e64 vcc_lo, 0, v188
	v_mov_b32_e32 v189, 0
	s_and_not1_b32 s1, s1, exec_lo
	s_and_b32 s2, vcc_lo, exec_lo
	s_delay_alu instid0(SALU_CYCLE_1)
	s_or_b32 s1, s1, s2
	s_or_b32 exec_lo, exec_lo, s0
	s_and_saveexec_b32 s0, s1
	s_cbranch_execnz .LBB11_462
	s_branch .LBB11_463
.LBB11_972:
	s_mov_b32 s0, -1
	s_mov_b32 s2, exec_lo
	v_cmpx_eq_u16_e64 0x80, v255
; %bb.973:
	s_xor_b32 s0, exec_lo, -1
; %bb.974:
	s_or_b32 exec_lo, exec_lo, s2
	s_delay_alu instid0(SALU_CYCLE_1)
	s_and_b32 s0, s0, exec_lo
                                        ; implicit-def: $vgpr255
	s_or_saveexec_b32 s1, s1
	v_mov_b32_e32 v188, 0x7f800001
	s_xor_b32 exec_lo, exec_lo, s1
	s_cbranch_execz .LBB11_465
.LBB11_975:
	v_cmp_ne_u16_e64 vcc_lo, 0, v255
	v_mov_b32_e32 v188, 0
	s_and_not1_b32 s0, s0, exec_lo
	s_and_b32 s2, vcc_lo, exec_lo
	s_delay_alu instid0(SALU_CYCLE_1)
	s_or_b32 s0, s0, s2
	s_or_b32 exec_lo, exec_lo, s1
	s_and_saveexec_b32 s1, s0
	s_cbranch_execnz .LBB11_466
	s_branch .LBB11_467
.LBB11_976:
	s_mov_b32 s0, -1
	s_mov_b32 s2, exec_lo
	v_cmpx_eq_u16_e64 0x80, v255
; %bb.977:
	s_xor_b32 s0, exec_lo, -1
; %bb.978:
	s_or_b32 exec_lo, exec_lo, s2
	s_delay_alu instid0(SALU_CYCLE_1)
	s_and_b32 s0, s0, exec_lo
                                        ; implicit-def: $vgpr255
	s_or_saveexec_b32 s1, s1
	v_mov_b32_e32 v129, 0x7f800001
	s_xor_b32 exec_lo, exec_lo, s1
	s_cbranch_execz .LBB11_469
.LBB11_979:
	v_cmp_ne_u16_e64 vcc_lo, 0, v255
	v_mov_b32_e32 v129, 0
	s_and_not1_b32 s0, s0, exec_lo
	s_and_b32 s2, vcc_lo, exec_lo
	s_delay_alu instid0(SALU_CYCLE_1)
	s_or_b32 s0, s0, s2
	s_or_b32 exec_lo, exec_lo, s1
	s_and_saveexec_b32 s1, s0
	s_cbranch_execnz .LBB11_470
	s_branch .LBB11_471
.LBB11_980:
	s_mov_b32 s0, -1
	s_mov_b32 s2, exec_lo
	v_cmpx_eq_u16_e64 0x80, v255
; %bb.981:
	s_xor_b32 s0, exec_lo, -1
; %bb.982:
	s_or_b32 exec_lo, exec_lo, s2
	s_delay_alu instid0(SALU_CYCLE_1)
	s_and_b32 s0, s0, exec_lo
                                        ; implicit-def: $vgpr255
	s_or_saveexec_b32 s1, s1
	v_mov_b32_e32 v185, 0x7f800001
	s_xor_b32 exec_lo, exec_lo, s1
	s_cbranch_execz .LBB11_473
.LBB11_983:
	v_cmp_ne_u16_e64 vcc_lo, 0, v255
	v_mov_b32_e32 v185, 0
	s_and_not1_b32 s0, s0, exec_lo
	s_and_b32 s2, vcc_lo, exec_lo
	s_delay_alu instid0(SALU_CYCLE_1)
	s_or_b32 s0, s0, s2
	s_or_b32 exec_lo, exec_lo, s1
	s_and_saveexec_b32 s1, s0
	s_cbranch_execnz .LBB11_474
	s_branch .LBB11_475
.LBB11_984:
	s_mov_b32 s1, -1
	s_mov_b32 s2, exec_lo
	v_cmpx_eq_u16_e64 0x80, v182
; %bb.985:
	s_xor_b32 s1, exec_lo, -1
; %bb.986:
	s_or_b32 exec_lo, exec_lo, s2
	s_delay_alu instid0(SALU_CYCLE_1)
	s_and_b32 s1, s1, exec_lo
	s_or_saveexec_b32 s0, s0
	v_mov_b32_e32 v183, 0x7f800001
	s_xor_b32 exec_lo, exec_lo, s0
	s_cbranch_execz .LBB11_477
.LBB11_987:
	v_cmp_ne_u16_e64 vcc_lo, 0, v182
	v_mov_b32_e32 v183, 0
	s_and_not1_b32 s1, s1, exec_lo
	s_and_b32 s2, vcc_lo, exec_lo
	s_delay_alu instid0(SALU_CYCLE_1)
	s_or_b32 s1, s1, s2
	s_or_b32 exec_lo, exec_lo, s0
	s_and_saveexec_b32 s0, s1
	s_cbranch_execnz .LBB11_478
	s_branch .LBB11_479
.LBB11_988:
	s_mov_b32 s0, -1
	s_mov_b32 s2, exec_lo
	v_cmpx_eq_u16_e64 0x80, v255
; %bb.989:
	s_xor_b32 s0, exec_lo, -1
; %bb.990:
	s_or_b32 exec_lo, exec_lo, s2
	s_delay_alu instid0(SALU_CYCLE_1)
	s_and_b32 s0, s0, exec_lo
                                        ; implicit-def: $vgpr255
	s_or_saveexec_b32 s1, s1
	v_mov_b32_e32 v182, 0x7f800001
	s_xor_b32 exec_lo, exec_lo, s1
	s_cbranch_execz .LBB11_481
.LBB11_991:
	v_cmp_ne_u16_e64 vcc_lo, 0, v255
	v_mov_b32_e32 v182, 0
	s_and_not1_b32 s0, s0, exec_lo
	s_and_b32 s2, vcc_lo, exec_lo
	s_delay_alu instid0(SALU_CYCLE_1)
	s_or_b32 s0, s0, s2
	s_or_b32 exec_lo, exec_lo, s1
	s_and_saveexec_b32 s1, s0
	s_cbranch_execnz .LBB11_482
	s_branch .LBB11_483
.LBB11_992:
	s_mov_b32 s0, -1
	s_mov_b32 s2, exec_lo
	v_cmpx_eq_u16_e64 0x80, v255
; %bb.993:
	s_xor_b32 s0, exec_lo, -1
; %bb.994:
	s_or_b32 exec_lo, exec_lo, s2
	s_delay_alu instid0(SALU_CYCLE_1)
	s_and_b32 s0, s0, exec_lo
                                        ; implicit-def: $vgpr255
	s_or_saveexec_b32 s1, s1
	v_mov_b32_e32 v130, 0x7f800001
	s_xor_b32 exec_lo, exec_lo, s1
	s_cbranch_execz .LBB11_485
.LBB11_995:
	v_cmp_ne_u16_e64 vcc_lo, 0, v255
	v_mov_b32_e32 v130, 0
	s_and_not1_b32 s0, s0, exec_lo
	s_and_b32 s2, vcc_lo, exec_lo
	s_delay_alu instid0(SALU_CYCLE_1)
	s_or_b32 s0, s0, s2
	s_or_b32 exec_lo, exec_lo, s1
	s_and_saveexec_b32 s1, s0
	s_cbranch_execnz .LBB11_486
	s_branch .LBB11_487
.LBB11_996:
	s_mov_b32 s0, -1
	s_mov_b32 s2, exec_lo
	v_cmpx_eq_u16_e64 0x80, v255
; %bb.997:
	s_xor_b32 s0, exec_lo, -1
; %bb.998:
	s_or_b32 exec_lo, exec_lo, s2
	s_delay_alu instid0(SALU_CYCLE_1)
	s_and_b32 s0, s0, exec_lo
                                        ; implicit-def: $vgpr255
	s_or_saveexec_b32 s1, s1
	v_mov_b32_e32 v179, 0x7f800001
	s_xor_b32 exec_lo, exec_lo, s1
	s_cbranch_execz .LBB11_489
.LBB11_999:
	v_cmp_ne_u16_e64 vcc_lo, 0, v255
	v_mov_b32_e32 v179, 0
	s_and_not1_b32 s0, s0, exec_lo
	s_and_b32 s2, vcc_lo, exec_lo
	s_delay_alu instid0(SALU_CYCLE_1)
	s_or_b32 s0, s0, s2
	s_or_b32 exec_lo, exec_lo, s1
	s_and_saveexec_b32 s1, s0
	s_cbranch_execnz .LBB11_490
	s_branch .LBB11_491
.LBB11_1000:
	s_mov_b32 s1, -1
	s_mov_b32 s2, exec_lo
	v_cmpx_eq_u16_e64 0x80, v176
; %bb.1001:
	s_xor_b32 s1, exec_lo, -1
; %bb.1002:
	s_or_b32 exec_lo, exec_lo, s2
	s_delay_alu instid0(SALU_CYCLE_1)
	s_and_b32 s1, s1, exec_lo
	s_or_saveexec_b32 s0, s0
	v_mov_b32_e32 v177, 0x7f800001
	s_xor_b32 exec_lo, exec_lo, s0
	s_cbranch_execz .LBB11_493
.LBB11_1003:
	v_cmp_ne_u16_e64 vcc_lo, 0, v176
	v_mov_b32_e32 v177, 0
	s_and_not1_b32 s1, s1, exec_lo
	s_and_b32 s2, vcc_lo, exec_lo
	s_delay_alu instid0(SALU_CYCLE_1)
	s_or_b32 s1, s1, s2
	s_or_b32 exec_lo, exec_lo, s0
	s_and_saveexec_b32 s0, s1
	s_cbranch_execnz .LBB11_494
	s_branch .LBB11_495
.LBB11_1004:
	s_mov_b32 s0, -1
	s_mov_b32 s2, exec_lo
	v_cmpx_eq_u16_e64 0x80, v255
; %bb.1005:
	s_xor_b32 s0, exec_lo, -1
; %bb.1006:
	s_or_b32 exec_lo, exec_lo, s2
	s_delay_alu instid0(SALU_CYCLE_1)
	s_and_b32 s0, s0, exec_lo
                                        ; implicit-def: $vgpr255
	s_or_saveexec_b32 s1, s1
	v_mov_b32_e32 v176, 0x7f800001
	s_xor_b32 exec_lo, exec_lo, s1
	s_cbranch_execz .LBB11_497
.LBB11_1007:
	v_cmp_ne_u16_e64 vcc_lo, 0, v255
	v_mov_b32_e32 v176, 0
	s_and_not1_b32 s0, s0, exec_lo
	s_and_b32 s2, vcc_lo, exec_lo
	s_delay_alu instid0(SALU_CYCLE_1)
	s_or_b32 s0, s0, s2
	s_or_b32 exec_lo, exec_lo, s1
	s_and_saveexec_b32 s1, s0
	s_cbranch_execnz .LBB11_498
	s_branch .LBB11_499
.LBB11_1008:
	s_mov_b32 s0, -1
	s_mov_b32 s2, exec_lo
	v_cmpx_eq_u16_e64 0x80, v255
; %bb.1009:
	s_xor_b32 s0, exec_lo, -1
; %bb.1010:
	s_or_b32 exec_lo, exec_lo, s2
	s_delay_alu instid0(SALU_CYCLE_1)
	s_and_b32 s0, s0, exec_lo
                                        ; implicit-def: $vgpr255
	s_or_saveexec_b32 s1, s1
	v_mov_b32_e32 v131, 0x7f800001
	s_xor_b32 exec_lo, exec_lo, s1
	s_cbranch_execz .LBB11_501
.LBB11_1011:
	v_cmp_ne_u16_e64 vcc_lo, 0, v255
	v_mov_b32_e32 v131, 0
	s_and_not1_b32 s0, s0, exec_lo
	s_and_b32 s2, vcc_lo, exec_lo
	s_delay_alu instid0(SALU_CYCLE_1)
	s_or_b32 s0, s0, s2
	s_or_b32 exec_lo, exec_lo, s1
	s_and_saveexec_b32 s1, s0
	s_cbranch_execnz .LBB11_502
	s_branch .LBB11_503
.LBB11_1012:
	s_mov_b32 s0, -1
	s_mov_b32 s2, exec_lo
	v_cmpx_eq_u16_e64 0x80, v255
; %bb.1013:
	s_xor_b32 s0, exec_lo, -1
; %bb.1014:
	s_or_b32 exec_lo, exec_lo, s2
	s_delay_alu instid0(SALU_CYCLE_1)
	s_and_b32 s0, s0, exec_lo
                                        ; implicit-def: $vgpr255
	s_or_saveexec_b32 s1, s1
	v_mov_b32_e32 v173, 0x7f800001
	s_xor_b32 exec_lo, exec_lo, s1
	s_cbranch_execz .LBB11_505
.LBB11_1015:
	v_cmp_ne_u16_e64 vcc_lo, 0, v255
	v_mov_b32_e32 v173, 0
	s_and_not1_b32 s0, s0, exec_lo
	s_and_b32 s2, vcc_lo, exec_lo
	s_delay_alu instid0(SALU_CYCLE_1)
	s_or_b32 s0, s0, s2
	s_or_b32 exec_lo, exec_lo, s1
	s_and_saveexec_b32 s1, s0
	s_cbranch_execnz .LBB11_506
	s_branch .LBB11_507
.LBB11_1016:
	s_mov_b32 s1, -1
	s_mov_b32 s2, exec_lo
	v_cmpx_eq_u16_e64 0x80, v170
; %bb.1017:
	s_xor_b32 s1, exec_lo, -1
; %bb.1018:
	s_or_b32 exec_lo, exec_lo, s2
	s_delay_alu instid0(SALU_CYCLE_1)
	s_and_b32 s1, s1, exec_lo
	s_or_saveexec_b32 s0, s0
	v_mov_b32_e32 v171, 0x7f800001
	s_xor_b32 exec_lo, exec_lo, s0
	s_cbranch_execz .LBB11_509
.LBB11_1019:
	v_cmp_ne_u16_e64 vcc_lo, 0, v170
	v_mov_b32_e32 v171, 0
	s_and_not1_b32 s1, s1, exec_lo
	s_and_b32 s2, vcc_lo, exec_lo
	s_delay_alu instid0(SALU_CYCLE_1)
	s_or_b32 s1, s1, s2
	s_or_b32 exec_lo, exec_lo, s0
	s_and_saveexec_b32 s0, s1
	s_cbranch_execnz .LBB11_510
	s_branch .LBB11_511
.LBB11_1020:
	s_mov_b32 s0, -1
	s_mov_b32 s2, exec_lo
	v_cmpx_eq_u16_e64 0x80, v255
; %bb.1021:
	s_xor_b32 s0, exec_lo, -1
; %bb.1022:
	s_or_b32 exec_lo, exec_lo, s2
	s_delay_alu instid0(SALU_CYCLE_1)
	s_and_b32 s0, s0, exec_lo
                                        ; implicit-def: $vgpr255
	s_or_saveexec_b32 s1, s1
	v_mov_b32_e32 v170, 0x7f800001
	s_xor_b32 exec_lo, exec_lo, s1
	s_cbranch_execz .LBB11_513
.LBB11_1023:
	v_cmp_ne_u16_e64 vcc_lo, 0, v255
	v_mov_b32_e32 v170, 0
	s_and_not1_b32 s0, s0, exec_lo
	s_and_b32 s2, vcc_lo, exec_lo
	s_delay_alu instid0(SALU_CYCLE_1)
	s_or_b32 s0, s0, s2
	s_or_b32 exec_lo, exec_lo, s1
	s_and_saveexec_b32 s1, s0
	s_cbranch_execnz .LBB11_514
	s_branch .LBB11_515
.LBB11_1024:
	s_mov_b32 s0, -1
	s_mov_b32 s2, exec_lo
	v_cmpx_eq_u16_e64 0x80, v255
; %bb.1025:
	s_xor_b32 s0, exec_lo, -1
; %bb.1026:
	s_or_b32 exec_lo, exec_lo, s2
	s_delay_alu instid0(SALU_CYCLE_1)
	s_and_b32 s0, s0, exec_lo
                                        ; implicit-def: $vgpr255
	s_or_saveexec_b32 s1, s1
	v_mov_b32_e32 v132, 0x7f800001
	s_xor_b32 exec_lo, exec_lo, s1
	s_cbranch_execz .LBB11_517
.LBB11_1027:
	v_cmp_ne_u16_e64 vcc_lo, 0, v255
	v_mov_b32_e32 v132, 0
	s_and_not1_b32 s0, s0, exec_lo
	s_and_b32 s2, vcc_lo, exec_lo
	s_delay_alu instid0(SALU_CYCLE_1)
	s_or_b32 s0, s0, s2
	s_or_b32 exec_lo, exec_lo, s1
	s_and_saveexec_b32 s1, s0
	s_cbranch_execnz .LBB11_518
	s_branch .LBB11_519
.LBB11_1028:
	s_mov_b32 s0, -1
	s_mov_b32 s2, exec_lo
	v_cmpx_eq_u16_e64 0x80, v255
; %bb.1029:
	s_xor_b32 s0, exec_lo, -1
; %bb.1030:
	s_or_b32 exec_lo, exec_lo, s2
	s_delay_alu instid0(SALU_CYCLE_1)
	s_and_b32 s0, s0, exec_lo
                                        ; implicit-def: $vgpr255
	s_or_saveexec_b32 s1, s1
	v_mov_b32_e32 v167, 0x7f800001
	s_xor_b32 exec_lo, exec_lo, s1
	s_cbranch_execz .LBB11_521
.LBB11_1031:
	v_cmp_ne_u16_e64 vcc_lo, 0, v255
	v_mov_b32_e32 v167, 0
	s_and_not1_b32 s0, s0, exec_lo
	s_and_b32 s2, vcc_lo, exec_lo
	s_delay_alu instid0(SALU_CYCLE_1)
	s_or_b32 s0, s0, s2
	s_or_b32 exec_lo, exec_lo, s1
	s_and_saveexec_b32 s1, s0
	s_cbranch_execnz .LBB11_522
	s_branch .LBB11_523
.LBB11_1032:
	s_mov_b32 s1, -1
	s_mov_b32 s2, exec_lo
	v_cmpx_eq_u16_e64 0x80, v164
; %bb.1033:
	s_xor_b32 s1, exec_lo, -1
; %bb.1034:
	s_or_b32 exec_lo, exec_lo, s2
	s_delay_alu instid0(SALU_CYCLE_1)
	s_and_b32 s1, s1, exec_lo
	s_or_saveexec_b32 s0, s0
	v_mov_b32_e32 v165, 0x7f800001
	s_xor_b32 exec_lo, exec_lo, s0
	s_cbranch_execz .LBB11_525
.LBB11_1035:
	v_cmp_ne_u16_e64 vcc_lo, 0, v164
	v_mov_b32_e32 v165, 0
	s_and_not1_b32 s1, s1, exec_lo
	s_and_b32 s2, vcc_lo, exec_lo
	s_delay_alu instid0(SALU_CYCLE_1)
	s_or_b32 s1, s1, s2
	s_or_b32 exec_lo, exec_lo, s0
	s_and_saveexec_b32 s0, s1
	s_cbranch_execnz .LBB11_526
	s_branch .LBB11_527
	.section	.rodata,"a",@progbits
	.p2align	6, 0x0
	.amdhsa_kernel _ZN2ck27kernel_gemm_xdl_cshuffle_v3INS_28GridwiseGemm_xdl_cshuffle_v3INS_13tensor_layout4gemm8RowMajorENS3_11ColumnMajorES4_DF16_NS_9f8_fnuz_tEfDF16_DF16_NS_16tensor_operation12element_wise11PassThroughES9_S9_LNS7_6device18GemmSpecializationE0ELi64ELi32ELi32ELi256ELi8ELi16ELi16ELi16ELi2ELi1ENS_8SequenceIJLi32ELi2ELi1EEEENSC_IJLi1ELi0ELi2EEEESE_Li2ELi8ELi8ELb0ELi0ENSC_IJLi16ELi4ELi1EEEESE_SE_Li2ELi16ELi16ELb0ELi0ELi1ELi1ENSC_IJLi1ELi16ELi1ELi4EEEELi4ELNS_26BlockGemmPipelineSchedulerE1ELNS_24BlockGemmPipelineVersionE0EDF16_DF16_Lb0ELb0ELb0ELi0ELb0EEELb0ELNS_25InMemoryDataOperationEnumE0ELi2ELNS_10TailNumberE10EEEvNT_8ArgumentE
		.amdhsa_group_segment_fixed_size 24576
		.amdhsa_private_segment_fixed_size 84
		.amdhsa_kernarg_size 112
		.amdhsa_user_sgpr_count 2
		.amdhsa_user_sgpr_dispatch_ptr 0
		.amdhsa_user_sgpr_queue_ptr 0
		.amdhsa_user_sgpr_kernarg_segment_ptr 1
		.amdhsa_user_sgpr_dispatch_id 0
		.amdhsa_user_sgpr_private_segment_size 0
		.amdhsa_wavefront_size32 1
		.amdhsa_uses_dynamic_stack 0
		.amdhsa_enable_private_segment 1
		.amdhsa_system_sgpr_workgroup_id_x 1
		.amdhsa_system_sgpr_workgroup_id_y 0
		.amdhsa_system_sgpr_workgroup_id_z 1
		.amdhsa_system_sgpr_workgroup_info 0
		.amdhsa_system_vgpr_workitem_id 0
		.amdhsa_next_free_vgpr 256
		.amdhsa_next_free_sgpr 36
		.amdhsa_reserve_vcc 1
		.amdhsa_float_round_mode_32 0
		.amdhsa_float_round_mode_16_64 0
		.amdhsa_float_denorm_mode_32 3
		.amdhsa_float_denorm_mode_16_64 3
		.amdhsa_fp16_overflow 0
		.amdhsa_workgroup_processor_mode 1
		.amdhsa_memory_ordered 1
		.amdhsa_forward_progress 1
		.amdhsa_inst_pref_size 255
		.amdhsa_round_robin_scheduling 0
		.amdhsa_exception_fp_ieee_invalid_op 0
		.amdhsa_exception_fp_denorm_src 0
		.amdhsa_exception_fp_ieee_div_zero 0
		.amdhsa_exception_fp_ieee_overflow 0
		.amdhsa_exception_fp_ieee_underflow 0
		.amdhsa_exception_fp_ieee_inexact 0
		.amdhsa_exception_int_div_zero 0
	.end_amdhsa_kernel
	.section	.text._ZN2ck27kernel_gemm_xdl_cshuffle_v3INS_28GridwiseGemm_xdl_cshuffle_v3INS_13tensor_layout4gemm8RowMajorENS3_11ColumnMajorES4_DF16_NS_9f8_fnuz_tEfDF16_DF16_NS_16tensor_operation12element_wise11PassThroughES9_S9_LNS7_6device18GemmSpecializationE0ELi64ELi32ELi32ELi256ELi8ELi16ELi16ELi16ELi2ELi1ENS_8SequenceIJLi32ELi2ELi1EEEENSC_IJLi1ELi0ELi2EEEESE_Li2ELi8ELi8ELb0ELi0ENSC_IJLi16ELi4ELi1EEEESE_SE_Li2ELi16ELi16ELb0ELi0ELi1ELi1ENSC_IJLi1ELi16ELi1ELi4EEEELi4ELNS_26BlockGemmPipelineSchedulerE1ELNS_24BlockGemmPipelineVersionE0EDF16_DF16_Lb0ELb0ELb0ELi0ELb0EEELb0ELNS_25InMemoryDataOperationEnumE0ELi2ELNS_10TailNumberE10EEEvNT_8ArgumentE,"axG",@progbits,_ZN2ck27kernel_gemm_xdl_cshuffle_v3INS_28GridwiseGemm_xdl_cshuffle_v3INS_13tensor_layout4gemm8RowMajorENS3_11ColumnMajorES4_DF16_NS_9f8_fnuz_tEfDF16_DF16_NS_16tensor_operation12element_wise11PassThroughES9_S9_LNS7_6device18GemmSpecializationE0ELi64ELi32ELi32ELi256ELi8ELi16ELi16ELi16ELi2ELi1ENS_8SequenceIJLi32ELi2ELi1EEEENSC_IJLi1ELi0ELi2EEEESE_Li2ELi8ELi8ELb0ELi0ENSC_IJLi16ELi4ELi1EEEESE_SE_Li2ELi16ELi16ELb0ELi0ELi1ELi1ENSC_IJLi1ELi16ELi1ELi4EEEELi4ELNS_26BlockGemmPipelineSchedulerE1ELNS_24BlockGemmPipelineVersionE0EDF16_DF16_Lb0ELb0ELb0ELi0ELb0EEELb0ELNS_25InMemoryDataOperationEnumE0ELi2ELNS_10TailNumberE10EEEvNT_8ArgumentE,comdat
.Lfunc_end11:
	.size	_ZN2ck27kernel_gemm_xdl_cshuffle_v3INS_28GridwiseGemm_xdl_cshuffle_v3INS_13tensor_layout4gemm8RowMajorENS3_11ColumnMajorES4_DF16_NS_9f8_fnuz_tEfDF16_DF16_NS_16tensor_operation12element_wise11PassThroughES9_S9_LNS7_6device18GemmSpecializationE0ELi64ELi32ELi32ELi256ELi8ELi16ELi16ELi16ELi2ELi1ENS_8SequenceIJLi32ELi2ELi1EEEENSC_IJLi1ELi0ELi2EEEESE_Li2ELi8ELi8ELb0ELi0ENSC_IJLi16ELi4ELi1EEEESE_SE_Li2ELi16ELi16ELb0ELi0ELi1ELi1ENSC_IJLi1ELi16ELi1ELi4EEEELi4ELNS_26BlockGemmPipelineSchedulerE1ELNS_24BlockGemmPipelineVersionE0EDF16_DF16_Lb0ELb0ELb0ELi0ELb0EEELb0ELNS_25InMemoryDataOperationEnumE0ELi2ELNS_10TailNumberE10EEEvNT_8ArgumentE, .Lfunc_end11-_ZN2ck27kernel_gemm_xdl_cshuffle_v3INS_28GridwiseGemm_xdl_cshuffle_v3INS_13tensor_layout4gemm8RowMajorENS3_11ColumnMajorES4_DF16_NS_9f8_fnuz_tEfDF16_DF16_NS_16tensor_operation12element_wise11PassThroughES9_S9_LNS7_6device18GemmSpecializationE0ELi64ELi32ELi32ELi256ELi8ELi16ELi16ELi16ELi2ELi1ENS_8SequenceIJLi32ELi2ELi1EEEENSC_IJLi1ELi0ELi2EEEESE_Li2ELi8ELi8ELb0ELi0ENSC_IJLi16ELi4ELi1EEEESE_SE_Li2ELi16ELi16ELb0ELi0ELi1ELi1ENSC_IJLi1ELi16ELi1ELi4EEEELi4ELNS_26BlockGemmPipelineSchedulerE1ELNS_24BlockGemmPipelineVersionE0EDF16_DF16_Lb0ELb0ELb0ELi0ELb0EEELb0ELNS_25InMemoryDataOperationEnumE0ELi2ELNS_10TailNumberE10EEEvNT_8ArgumentE
                                        ; -- End function
	.set _ZN2ck27kernel_gemm_xdl_cshuffle_v3INS_28GridwiseGemm_xdl_cshuffle_v3INS_13tensor_layout4gemm8RowMajorENS3_11ColumnMajorES4_DF16_NS_9f8_fnuz_tEfDF16_DF16_NS_16tensor_operation12element_wise11PassThroughES9_S9_LNS7_6device18GemmSpecializationE0ELi64ELi32ELi32ELi256ELi8ELi16ELi16ELi16ELi2ELi1ENS_8SequenceIJLi32ELi2ELi1EEEENSC_IJLi1ELi0ELi2EEEESE_Li2ELi8ELi8ELb0ELi0ENSC_IJLi16ELi4ELi1EEEESE_SE_Li2ELi16ELi16ELb0ELi0ELi1ELi1ENSC_IJLi1ELi16ELi1ELi4EEEELi4ELNS_26BlockGemmPipelineSchedulerE1ELNS_24BlockGemmPipelineVersionE0EDF16_DF16_Lb0ELb0ELb0ELi0ELb0EEELb0ELNS_25InMemoryDataOperationEnumE0ELi2ELNS_10TailNumberE10EEEvNT_8ArgumentE.num_vgpr, 256
	.set _ZN2ck27kernel_gemm_xdl_cshuffle_v3INS_28GridwiseGemm_xdl_cshuffle_v3INS_13tensor_layout4gemm8RowMajorENS3_11ColumnMajorES4_DF16_NS_9f8_fnuz_tEfDF16_DF16_NS_16tensor_operation12element_wise11PassThroughES9_S9_LNS7_6device18GemmSpecializationE0ELi64ELi32ELi32ELi256ELi8ELi16ELi16ELi16ELi2ELi1ENS_8SequenceIJLi32ELi2ELi1EEEENSC_IJLi1ELi0ELi2EEEESE_Li2ELi8ELi8ELb0ELi0ENSC_IJLi16ELi4ELi1EEEESE_SE_Li2ELi16ELi16ELb0ELi0ELi1ELi1ENSC_IJLi1ELi16ELi1ELi4EEEELi4ELNS_26BlockGemmPipelineSchedulerE1ELNS_24BlockGemmPipelineVersionE0EDF16_DF16_Lb0ELb0ELb0ELi0ELb0EEELb0ELNS_25InMemoryDataOperationEnumE0ELi2ELNS_10TailNumberE10EEEvNT_8ArgumentE.num_agpr, 0
	.set _ZN2ck27kernel_gemm_xdl_cshuffle_v3INS_28GridwiseGemm_xdl_cshuffle_v3INS_13tensor_layout4gemm8RowMajorENS3_11ColumnMajorES4_DF16_NS_9f8_fnuz_tEfDF16_DF16_NS_16tensor_operation12element_wise11PassThroughES9_S9_LNS7_6device18GemmSpecializationE0ELi64ELi32ELi32ELi256ELi8ELi16ELi16ELi16ELi2ELi1ENS_8SequenceIJLi32ELi2ELi1EEEENSC_IJLi1ELi0ELi2EEEESE_Li2ELi8ELi8ELb0ELi0ENSC_IJLi16ELi4ELi1EEEESE_SE_Li2ELi16ELi16ELb0ELi0ELi1ELi1ENSC_IJLi1ELi16ELi1ELi4EEEELi4ELNS_26BlockGemmPipelineSchedulerE1ELNS_24BlockGemmPipelineVersionE0EDF16_DF16_Lb0ELb0ELb0ELi0ELb0EEELb0ELNS_25InMemoryDataOperationEnumE0ELi2ELNS_10TailNumberE10EEEvNT_8ArgumentE.numbered_sgpr, 36
	.set _ZN2ck27kernel_gemm_xdl_cshuffle_v3INS_28GridwiseGemm_xdl_cshuffle_v3INS_13tensor_layout4gemm8RowMajorENS3_11ColumnMajorES4_DF16_NS_9f8_fnuz_tEfDF16_DF16_NS_16tensor_operation12element_wise11PassThroughES9_S9_LNS7_6device18GemmSpecializationE0ELi64ELi32ELi32ELi256ELi8ELi16ELi16ELi16ELi2ELi1ENS_8SequenceIJLi32ELi2ELi1EEEENSC_IJLi1ELi0ELi2EEEESE_Li2ELi8ELi8ELb0ELi0ENSC_IJLi16ELi4ELi1EEEESE_SE_Li2ELi16ELi16ELb0ELi0ELi1ELi1ENSC_IJLi1ELi16ELi1ELi4EEEELi4ELNS_26BlockGemmPipelineSchedulerE1ELNS_24BlockGemmPipelineVersionE0EDF16_DF16_Lb0ELb0ELb0ELi0ELb0EEELb0ELNS_25InMemoryDataOperationEnumE0ELi2ELNS_10TailNumberE10EEEvNT_8ArgumentE.num_named_barrier, 0
	.set _ZN2ck27kernel_gemm_xdl_cshuffle_v3INS_28GridwiseGemm_xdl_cshuffle_v3INS_13tensor_layout4gemm8RowMajorENS3_11ColumnMajorES4_DF16_NS_9f8_fnuz_tEfDF16_DF16_NS_16tensor_operation12element_wise11PassThroughES9_S9_LNS7_6device18GemmSpecializationE0ELi64ELi32ELi32ELi256ELi8ELi16ELi16ELi16ELi2ELi1ENS_8SequenceIJLi32ELi2ELi1EEEENSC_IJLi1ELi0ELi2EEEESE_Li2ELi8ELi8ELb0ELi0ENSC_IJLi16ELi4ELi1EEEESE_SE_Li2ELi16ELi16ELb0ELi0ELi1ELi1ENSC_IJLi1ELi16ELi1ELi4EEEELi4ELNS_26BlockGemmPipelineSchedulerE1ELNS_24BlockGemmPipelineVersionE0EDF16_DF16_Lb0ELb0ELb0ELi0ELb0EEELb0ELNS_25InMemoryDataOperationEnumE0ELi2ELNS_10TailNumberE10EEEvNT_8ArgumentE.private_seg_size, 84
	.set _ZN2ck27kernel_gemm_xdl_cshuffle_v3INS_28GridwiseGemm_xdl_cshuffle_v3INS_13tensor_layout4gemm8RowMajorENS3_11ColumnMajorES4_DF16_NS_9f8_fnuz_tEfDF16_DF16_NS_16tensor_operation12element_wise11PassThroughES9_S9_LNS7_6device18GemmSpecializationE0ELi64ELi32ELi32ELi256ELi8ELi16ELi16ELi16ELi2ELi1ENS_8SequenceIJLi32ELi2ELi1EEEENSC_IJLi1ELi0ELi2EEEESE_Li2ELi8ELi8ELb0ELi0ENSC_IJLi16ELi4ELi1EEEESE_SE_Li2ELi16ELi16ELb0ELi0ELi1ELi1ENSC_IJLi1ELi16ELi1ELi4EEEELi4ELNS_26BlockGemmPipelineSchedulerE1ELNS_24BlockGemmPipelineVersionE0EDF16_DF16_Lb0ELb0ELb0ELi0ELb0EEELb0ELNS_25InMemoryDataOperationEnumE0ELi2ELNS_10TailNumberE10EEEvNT_8ArgumentE.uses_vcc, 1
	.set _ZN2ck27kernel_gemm_xdl_cshuffle_v3INS_28GridwiseGemm_xdl_cshuffle_v3INS_13tensor_layout4gemm8RowMajorENS3_11ColumnMajorES4_DF16_NS_9f8_fnuz_tEfDF16_DF16_NS_16tensor_operation12element_wise11PassThroughES9_S9_LNS7_6device18GemmSpecializationE0ELi64ELi32ELi32ELi256ELi8ELi16ELi16ELi16ELi2ELi1ENS_8SequenceIJLi32ELi2ELi1EEEENSC_IJLi1ELi0ELi2EEEESE_Li2ELi8ELi8ELb0ELi0ENSC_IJLi16ELi4ELi1EEEESE_SE_Li2ELi16ELi16ELb0ELi0ELi1ELi1ENSC_IJLi1ELi16ELi1ELi4EEEELi4ELNS_26BlockGemmPipelineSchedulerE1ELNS_24BlockGemmPipelineVersionE0EDF16_DF16_Lb0ELb0ELb0ELi0ELb0EEELb0ELNS_25InMemoryDataOperationEnumE0ELi2ELNS_10TailNumberE10EEEvNT_8ArgumentE.uses_flat_scratch, 1
	.set _ZN2ck27kernel_gemm_xdl_cshuffle_v3INS_28GridwiseGemm_xdl_cshuffle_v3INS_13tensor_layout4gemm8RowMajorENS3_11ColumnMajorES4_DF16_NS_9f8_fnuz_tEfDF16_DF16_NS_16tensor_operation12element_wise11PassThroughES9_S9_LNS7_6device18GemmSpecializationE0ELi64ELi32ELi32ELi256ELi8ELi16ELi16ELi16ELi2ELi1ENS_8SequenceIJLi32ELi2ELi1EEEENSC_IJLi1ELi0ELi2EEEESE_Li2ELi8ELi8ELb0ELi0ENSC_IJLi16ELi4ELi1EEEESE_SE_Li2ELi16ELi16ELb0ELi0ELi1ELi1ENSC_IJLi1ELi16ELi1ELi4EEEELi4ELNS_26BlockGemmPipelineSchedulerE1ELNS_24BlockGemmPipelineVersionE0EDF16_DF16_Lb0ELb0ELb0ELi0ELb0EEELb0ELNS_25InMemoryDataOperationEnumE0ELi2ELNS_10TailNumberE10EEEvNT_8ArgumentE.has_dyn_sized_stack, 0
	.set _ZN2ck27kernel_gemm_xdl_cshuffle_v3INS_28GridwiseGemm_xdl_cshuffle_v3INS_13tensor_layout4gemm8RowMajorENS3_11ColumnMajorES4_DF16_NS_9f8_fnuz_tEfDF16_DF16_NS_16tensor_operation12element_wise11PassThroughES9_S9_LNS7_6device18GemmSpecializationE0ELi64ELi32ELi32ELi256ELi8ELi16ELi16ELi16ELi2ELi1ENS_8SequenceIJLi32ELi2ELi1EEEENSC_IJLi1ELi0ELi2EEEESE_Li2ELi8ELi8ELb0ELi0ENSC_IJLi16ELi4ELi1EEEESE_SE_Li2ELi16ELi16ELb0ELi0ELi1ELi1ENSC_IJLi1ELi16ELi1ELi4EEEELi4ELNS_26BlockGemmPipelineSchedulerE1ELNS_24BlockGemmPipelineVersionE0EDF16_DF16_Lb0ELb0ELb0ELi0ELb0EEELb0ELNS_25InMemoryDataOperationEnumE0ELi2ELNS_10TailNumberE10EEEvNT_8ArgumentE.has_recursion, 0
	.set _ZN2ck27kernel_gemm_xdl_cshuffle_v3INS_28GridwiseGemm_xdl_cshuffle_v3INS_13tensor_layout4gemm8RowMajorENS3_11ColumnMajorES4_DF16_NS_9f8_fnuz_tEfDF16_DF16_NS_16tensor_operation12element_wise11PassThroughES9_S9_LNS7_6device18GemmSpecializationE0ELi64ELi32ELi32ELi256ELi8ELi16ELi16ELi16ELi2ELi1ENS_8SequenceIJLi32ELi2ELi1EEEENSC_IJLi1ELi0ELi2EEEESE_Li2ELi8ELi8ELb0ELi0ENSC_IJLi16ELi4ELi1EEEESE_SE_Li2ELi16ELi16ELb0ELi0ELi1ELi1ENSC_IJLi1ELi16ELi1ELi4EEEELi4ELNS_26BlockGemmPipelineSchedulerE1ELNS_24BlockGemmPipelineVersionE0EDF16_DF16_Lb0ELb0ELb0ELi0ELb0EEELb0ELNS_25InMemoryDataOperationEnumE0ELi2ELNS_10TailNumberE10EEEvNT_8ArgumentE.has_indirect_call, 0
	.section	.AMDGPU.csdata,"",@progbits
; Kernel info:
; codeLenInByte = 42252
; TotalNumSgprs: 38
; NumVgprs: 256
; ScratchSize: 84
; MemoryBound: 0
; FloatMode: 240
; IeeeMode: 1
; LDSByteSize: 24576 bytes/workgroup (compile time only)
; SGPRBlocks: 0
; VGPRBlocks: 31
; NumSGPRsForWavesPerEU: 38
; NumVGPRsForWavesPerEU: 256
; Occupancy: 3
; WaveLimiterHint : 0
; COMPUTE_PGM_RSRC2:SCRATCH_EN: 1
; COMPUTE_PGM_RSRC2:USER_SGPR: 2
; COMPUTE_PGM_RSRC2:TRAP_HANDLER: 0
; COMPUTE_PGM_RSRC2:TGID_X_EN: 1
; COMPUTE_PGM_RSRC2:TGID_Y_EN: 0
; COMPUTE_PGM_RSRC2:TGID_Z_EN: 1
; COMPUTE_PGM_RSRC2:TIDIG_COMP_CNT: 0
	.text
	.p2alignl 7, 3214868480
	.fill 96, 4, 3214868480
	.section	.AMDGPU.gpr_maximums,"",@progbits
	.set amdgpu.max_num_vgpr, 248
	.set amdgpu.max_num_agpr, 0
	.set amdgpu.max_num_sgpr, 34
	.text
	.type	__const._ZN2ck28GridwiseGemm_xdl_cshuffle_v3INS_13tensor_layout4gemm8RowMajorENS2_11ColumnMajorES3_DF16_NS_9f8_fnuz_tEfDF16_DF16_NS_16tensor_operation12element_wise11PassThroughES8_S8_LNS6_6device18GemmSpecializationE0ELi64ELi32ELi32ELi256ELi8ELi16ELi16ELi16ELi2ELi1ENS_8SequenceIJLi32ELi2ELi1EEEENSB_IJLi1ELi0ELi2EEEESD_Li2ELi8ELi8ELb0ELi0ENSB_IJLi16ELi4ELi1EEEESD_SD_Li2ELi16ELi16ELb0ELi0ELi1ELi1ENSB_IJLi1ELi16ELi1ELi4EEEELi4ELNS_26BlockGemmPipelineSchedulerE1ELNS_24BlockGemmPipelineVersionE0EDF16_DF16_Lb0ELb0ELb0ELi0ELb0EE3RunIKNS_16TensorDescriptorINS_5TupleIJNS_5EmbedINSL_IJiiEEENSL_IJiNS_17integral_constantIiLi1EEEEEELb0EEENS_7UnMergeISN_Lb0EEENS_11PassThroughIiEEEEENSL_IJNSB_IJLi0EEEENSB_IJLi2EEEENSB_IJLi1EEEEEEENSL_IJNSB_IJLi1ELi2EEEENSB_IJLi3ELi4EEEENSB_IJLi5EEEEEEENSB_IJLi3ELi5ELi4EEEElEES17_KNSK_INSL_IJSR_NS_8RightPadIiiLb0EEES19_NSS_INSL_IJiNSO_IiLi32EEEEEELb0EEES1C_EEENSL_IJSX_SZ_SY_NSB_IJLi3EEEENSB_IJLi4EEEEEEENSL_IJS11_S1E_S1F_NSB_IJLi5ELi6EEEENSB_IJLi7ELi8EEEEEEENSB_IJLi5ELi6ELi7ELi8EEEElEELb1ELNS_25InMemoryDataOperationEnumE1ELNS_10TailNumberE10EEEvPKDF16_PKS5_PDF16_PvRKNSI_7ProblemERKT_RKT0_RKT1_.a_block_slice_copy_step,@object ; @__const._ZN2ck28GridwiseGemm_xdl_cshuffle_v3INS_13tensor_layout4gemm8RowMajorENS2_11ColumnMajorES3_DF16_NS_9f8_fnuz_tEfDF16_DF16_NS_16tensor_operation12element_wise11PassThroughES8_S8_LNS6_6device18GemmSpecializationE0ELi64ELi32ELi32ELi256ELi8ELi16ELi16ELi16ELi2ELi1ENS_8SequenceIJLi32ELi2ELi1EEEENSB_IJLi1ELi0ELi2EEEESD_Li2ELi8ELi8ELb0ELi0ENSB_IJLi16ELi4ELi1EEEESD_SD_Li2ELi16ELi16ELb0ELi0ELi1ELi1ENSB_IJLi1ELi16ELi1ELi4EEEELi4ELNS_26BlockGemmPipelineSchedulerE1ELNS_24BlockGemmPipelineVersionE0EDF16_DF16_Lb0ELb0ELb0ELi0ELb0EE3RunIKNS_16TensorDescriptorINS_5TupleIJNS_5EmbedINSL_IJiiEEENSL_IJiNS_17integral_constantIiLi1EEEEEELb0EEENS_7UnMergeISN_Lb0EEENS_11PassThroughIiEEEEENSL_IJNSB_IJLi0EEEENSB_IJLi2EEEENSB_IJLi1EEEEEEENSL_IJNSB_IJLi1ELi2EEEENSB_IJLi3ELi4EEEENSB_IJLi5EEEEEEENSB_IJLi3ELi5ELi4EEEElEES17_KNSK_INSL_IJSR_NS_8RightPadIiiLb0EEES19_NSS_INSL_IJiNSO_IiLi32EEEEEELb0EEES1C_EEENSL_IJSX_SZ_SY_NSB_IJLi3EEEENSB_IJLi4EEEEEEENSL_IJS11_S1E_S1F_NSB_IJLi5ELi6EEEENSB_IJLi7ELi8EEEEEEENSB_IJLi5ELi6ELi7ELi8EEEElEELb1ELNS_25InMemoryDataOperationEnumE1ELNS_10TailNumberE10EEEvPKDF16_PKS5_PDF16_PvRKNSI_7ProblemERKT_RKT0_RKT1_.a_block_slice_copy_step
	.section	.rodata,"a",@progbits
	.p2align	2, 0x0
__const._ZN2ck28GridwiseGemm_xdl_cshuffle_v3INS_13tensor_layout4gemm8RowMajorENS2_11ColumnMajorES3_DF16_NS_9f8_fnuz_tEfDF16_DF16_NS_16tensor_operation12element_wise11PassThroughES8_S8_LNS6_6device18GemmSpecializationE0ELi64ELi32ELi32ELi256ELi8ELi16ELi16ELi16ELi2ELi1ENS_8SequenceIJLi32ELi2ELi1EEEENSB_IJLi1ELi0ELi2EEEESD_Li2ELi8ELi8ELb0ELi0ENSB_IJLi16ELi4ELi1EEEESD_SD_Li2ELi16ELi16ELb0ELi0ELi1ELi1ENSB_IJLi1ELi16ELi1ELi4EEEELi4ELNS_26BlockGemmPipelineSchedulerE1ELNS_24BlockGemmPipelineVersionE0EDF16_DF16_Lb0ELb0ELb0ELi0ELb0EE3RunIKNS_16TensorDescriptorINS_5TupleIJNS_5EmbedINSL_IJiiEEENSL_IJiNS_17integral_constantIiLi1EEEEEELb0EEENS_7UnMergeISN_Lb0EEENS_11PassThroughIiEEEEENSL_IJNSB_IJLi0EEEENSB_IJLi2EEEENSB_IJLi1EEEEEEENSL_IJNSB_IJLi1ELi2EEEENSB_IJLi3ELi4EEEENSB_IJLi5EEEEEEENSB_IJLi3ELi5ELi4EEEElEES17_KNSK_INSL_IJSR_NS_8RightPadIiiLb0EEES19_NSS_INSL_IJiNSO_IiLi32EEEEEELb0EEES1C_EEENSL_IJSX_SZ_SY_NSB_IJLi3EEEENSB_IJLi4EEEEEEENSL_IJS11_S1E_S1F_NSB_IJLi5ELi6EEEENSB_IJLi7ELi8EEEEEEENSB_IJLi5ELi6ELi7ELi8EEEElEELb1ELNS_25InMemoryDataOperationEnumE1ELNS_10TailNumberE10EEEvPKDF16_PKS5_PDF16_PvRKNSI_7ProblemERKT_RKT0_RKT1_.a_block_slice_copy_step:
	.long	32                              ; 0x20
	.long	0                               ; 0x0
	.long	0                               ; 0x0
	.size	__const._ZN2ck28GridwiseGemm_xdl_cshuffle_v3INS_13tensor_layout4gemm8RowMajorENS2_11ColumnMajorES3_DF16_NS_9f8_fnuz_tEfDF16_DF16_NS_16tensor_operation12element_wise11PassThroughES8_S8_LNS6_6device18GemmSpecializationE0ELi64ELi32ELi32ELi256ELi8ELi16ELi16ELi16ELi2ELi1ENS_8SequenceIJLi32ELi2ELi1EEEENSB_IJLi1ELi0ELi2EEEESD_Li2ELi8ELi8ELb0ELi0ENSB_IJLi16ELi4ELi1EEEESD_SD_Li2ELi16ELi16ELb0ELi0ELi1ELi1ENSB_IJLi1ELi16ELi1ELi4EEEELi4ELNS_26BlockGemmPipelineSchedulerE1ELNS_24BlockGemmPipelineVersionE0EDF16_DF16_Lb0ELb0ELb0ELi0ELb0EE3RunIKNS_16TensorDescriptorINS_5TupleIJNS_5EmbedINSL_IJiiEEENSL_IJiNS_17integral_constantIiLi1EEEEEELb0EEENS_7UnMergeISN_Lb0EEENS_11PassThroughIiEEEEENSL_IJNSB_IJLi0EEEENSB_IJLi2EEEENSB_IJLi1EEEEEEENSL_IJNSB_IJLi1ELi2EEEENSB_IJLi3ELi4EEEENSB_IJLi5EEEEEEENSB_IJLi3ELi5ELi4EEEElEES17_KNSK_INSL_IJSR_NS_8RightPadIiiLb0EEES19_NSS_INSL_IJiNSO_IiLi32EEEEEELb0EEES1C_EEENSL_IJSX_SZ_SY_NSB_IJLi3EEEENSB_IJLi4EEEEEEENSL_IJS11_S1E_S1F_NSB_IJLi5ELi6EEEENSB_IJLi7ELi8EEEEEEENSB_IJLi5ELi6ELi7ELi8EEEElEELb1ELNS_25InMemoryDataOperationEnumE1ELNS_10TailNumberE10EEEvPKDF16_PKS5_PDF16_PvRKNSI_7ProblemERKT_RKT0_RKT1_.a_block_slice_copy_step, 12

	.type	__const._ZN2ck28GridwiseGemm_xdl_cshuffle_v3INS_13tensor_layout4gemm8RowMajorENS2_11ColumnMajorES3_DF16_NS_9f8_fnuz_tEfDF16_DF16_NS_16tensor_operation12element_wise11PassThroughES8_S8_LNS6_6device18GemmSpecializationE0ELi64ELi32ELi32ELi256ELi8ELi16ELi16ELi16ELi2ELi1ENS_8SequenceIJLi32ELi2ELi1EEEENSB_IJLi1ELi0ELi2EEEESD_Li2ELi8ELi8ELb0ELi0ENSB_IJLi16ELi4ELi1EEEESD_SD_Li2ELi16ELi16ELb0ELi0ELi1ELi1ENSB_IJLi1ELi16ELi1ELi4EEEELi4ELNS_26BlockGemmPipelineSchedulerE1ELNS_24BlockGemmPipelineVersionE0EDF16_DF16_Lb0ELb0ELb0ELi0ELb0EE3RunIKNS_16TensorDescriptorINS_5TupleIJNS_5EmbedINSL_IJiiEEENSL_IJiNS_17integral_constantIiLi1EEEEEELb0EEENS_7UnMergeISN_Lb0EEENS_11PassThroughIiEEEEENSL_IJNSB_IJLi0EEEENSB_IJLi2EEEENSB_IJLi1EEEEEEENSL_IJNSB_IJLi1ELi2EEEENSB_IJLi3ELi4EEEENSB_IJLi5EEEEEEENSB_IJLi3ELi5ELi4EEEElEES17_KNSK_INSL_IJSR_NS_8RightPadIiiLb0EEES19_NSS_INSL_IJiNSO_IiLi32EEEEEELb0EEES1C_EEENSL_IJSX_SZ_SY_NSB_IJLi3EEEENSB_IJLi4EEEEEEENSL_IJS11_S1E_S1F_NSB_IJLi5ELi6EEEENSB_IJLi7ELi8EEEEEEENSB_IJLi5ELi6ELi7ELi8EEEElEELb1ELNS_25InMemoryDataOperationEnumE1ELNS_10TailNumberE10EEEvPKDF16_PKS5_PDF16_PvRKNSI_7ProblemERKT_RKT0_RKT1_.b_block_slice_copy_step,@object ; @__const._ZN2ck28GridwiseGemm_xdl_cshuffle_v3INS_13tensor_layout4gemm8RowMajorENS2_11ColumnMajorES3_DF16_NS_9f8_fnuz_tEfDF16_DF16_NS_16tensor_operation12element_wise11PassThroughES8_S8_LNS6_6device18GemmSpecializationE0ELi64ELi32ELi32ELi256ELi8ELi16ELi16ELi16ELi2ELi1ENS_8SequenceIJLi32ELi2ELi1EEEENSB_IJLi1ELi0ELi2EEEESD_Li2ELi8ELi8ELb0ELi0ENSB_IJLi16ELi4ELi1EEEESD_SD_Li2ELi16ELi16ELb0ELi0ELi1ELi1ENSB_IJLi1ELi16ELi1ELi4EEEELi4ELNS_26BlockGemmPipelineSchedulerE1ELNS_24BlockGemmPipelineVersionE0EDF16_DF16_Lb0ELb0ELb0ELi0ELb0EE3RunIKNS_16TensorDescriptorINS_5TupleIJNS_5EmbedINSL_IJiiEEENSL_IJiNS_17integral_constantIiLi1EEEEEELb0EEENS_7UnMergeISN_Lb0EEENS_11PassThroughIiEEEEENSL_IJNSB_IJLi0EEEENSB_IJLi2EEEENSB_IJLi1EEEEEEENSL_IJNSB_IJLi1ELi2EEEENSB_IJLi3ELi4EEEENSB_IJLi5EEEEEEENSB_IJLi3ELi5ELi4EEEElEES17_KNSK_INSL_IJSR_NS_8RightPadIiiLb0EEES19_NSS_INSL_IJiNSO_IiLi32EEEEEELb0EEES1C_EEENSL_IJSX_SZ_SY_NSB_IJLi3EEEENSB_IJLi4EEEEEEENSL_IJS11_S1E_S1F_NSB_IJLi5ELi6EEEENSB_IJLi7ELi8EEEEEEENSB_IJLi5ELi6ELi7ELi8EEEElEELb1ELNS_25InMemoryDataOperationEnumE1ELNS_10TailNumberE10EEEvPKDF16_PKS5_PDF16_PvRKNSI_7ProblemERKT_RKT0_RKT1_.b_block_slice_copy_step
	.p2align	2, 0x0
__const._ZN2ck28GridwiseGemm_xdl_cshuffle_v3INS_13tensor_layout4gemm8RowMajorENS2_11ColumnMajorES3_DF16_NS_9f8_fnuz_tEfDF16_DF16_NS_16tensor_operation12element_wise11PassThroughES8_S8_LNS6_6device18GemmSpecializationE0ELi64ELi32ELi32ELi256ELi8ELi16ELi16ELi16ELi2ELi1ENS_8SequenceIJLi32ELi2ELi1EEEENSB_IJLi1ELi0ELi2EEEESD_Li2ELi8ELi8ELb0ELi0ENSB_IJLi16ELi4ELi1EEEESD_SD_Li2ELi16ELi16ELb0ELi0ELi1ELi1ENSB_IJLi1ELi16ELi1ELi4EEEELi4ELNS_26BlockGemmPipelineSchedulerE1ELNS_24BlockGemmPipelineVersionE0EDF16_DF16_Lb0ELb0ELb0ELi0ELb0EE3RunIKNS_16TensorDescriptorINS_5TupleIJNS_5EmbedINSL_IJiiEEENSL_IJiNS_17integral_constantIiLi1EEEEEELb0EEENS_7UnMergeISN_Lb0EEENS_11PassThroughIiEEEEENSL_IJNSB_IJLi0EEEENSB_IJLi2EEEENSB_IJLi1EEEEEEENSL_IJNSB_IJLi1ELi2EEEENSB_IJLi3ELi4EEEENSB_IJLi5EEEEEEENSB_IJLi3ELi5ELi4EEEElEES17_KNSK_INSL_IJSR_NS_8RightPadIiiLb0EEES19_NSS_INSL_IJiNSO_IiLi32EEEEEELb0EEES1C_EEENSL_IJSX_SZ_SY_NSB_IJLi3EEEENSB_IJLi4EEEEEEENSL_IJS11_S1E_S1F_NSB_IJLi5ELi6EEEENSB_IJLi7ELi8EEEEEEENSB_IJLi5ELi6ELi7ELi8EEEElEELb1ELNS_25InMemoryDataOperationEnumE1ELNS_10TailNumberE10EEEvPKDF16_PKS5_PDF16_PvRKNSI_7ProblemERKT_RKT0_RKT1_.b_block_slice_copy_step:
	.long	16                              ; 0x10
	.long	0                               ; 0x0
	.long	0                               ; 0x0
	.size	__const._ZN2ck28GridwiseGemm_xdl_cshuffle_v3INS_13tensor_layout4gemm8RowMajorENS2_11ColumnMajorES3_DF16_NS_9f8_fnuz_tEfDF16_DF16_NS_16tensor_operation12element_wise11PassThroughES8_S8_LNS6_6device18GemmSpecializationE0ELi64ELi32ELi32ELi256ELi8ELi16ELi16ELi16ELi2ELi1ENS_8SequenceIJLi32ELi2ELi1EEEENSB_IJLi1ELi0ELi2EEEESD_Li2ELi8ELi8ELb0ELi0ENSB_IJLi16ELi4ELi1EEEESD_SD_Li2ELi16ELi16ELb0ELi0ELi1ELi1ENSB_IJLi1ELi16ELi1ELi4EEEELi4ELNS_26BlockGemmPipelineSchedulerE1ELNS_24BlockGemmPipelineVersionE0EDF16_DF16_Lb0ELb0ELb0ELi0ELb0EE3RunIKNS_16TensorDescriptorINS_5TupleIJNS_5EmbedINSL_IJiiEEENSL_IJiNS_17integral_constantIiLi1EEEEEELb0EEENS_7UnMergeISN_Lb0EEENS_11PassThroughIiEEEEENSL_IJNSB_IJLi0EEEENSB_IJLi2EEEENSB_IJLi1EEEEEEENSL_IJNSB_IJLi1ELi2EEEENSB_IJLi3ELi4EEEENSB_IJLi5EEEEEEENSB_IJLi3ELi5ELi4EEEElEES17_KNSK_INSL_IJSR_NS_8RightPadIiiLb0EEES19_NSS_INSL_IJiNSO_IiLi32EEEEEELb0EEES1C_EEENSL_IJSX_SZ_SY_NSB_IJLi3EEEENSB_IJLi4EEEEEEENSL_IJS11_S1E_S1F_NSB_IJLi5ELi6EEEENSB_IJLi7ELi8EEEEEEENSB_IJLi5ELi6ELi7ELi8EEEElEELb1ELNS_25InMemoryDataOperationEnumE1ELNS_10TailNumberE10EEEvPKDF16_PKS5_PDF16_PvRKNSI_7ProblemERKT_RKT0_RKT1_.b_block_slice_copy_step, 12

	.type	__const._ZN2ck28GridwiseGemm_xdl_cshuffle_v3INS_13tensor_layout4gemm8RowMajorENS2_11ColumnMajorES3_DF16_NS_9f8_fnuz_tEfDF16_DF16_NS_16tensor_operation12element_wise11PassThroughES8_S8_LNS6_6device18GemmSpecializationE0ELi64ELi32ELi32ELi256ELi8ELi16ELi16ELi16ELi2ELi1ENS_8SequenceIJLi32ELi2ELi1EEEENSB_IJLi1ELi0ELi2EEEESD_Li2ELi8ELi8ELb0ELi0ENSB_IJLi16ELi4ELi1EEEESD_SD_Li2ELi16ELi16ELb0ELi0ELi1ELi1ENSB_IJLi1ELi16ELi1ELi4EEEELi4ELNS_26BlockGemmPipelineSchedulerE1ELNS_24BlockGemmPipelineVersionE0EDF16_DF16_Lb0ELb0ELb0ELi0ELb0EE3RunIKNS_16TensorDescriptorINS_5TupleIJNS_5EmbedINSL_IJiiEEENSL_IJiNS_17integral_constantIiLi1EEEEEELb0EEENS_7UnMergeISN_Lb0EEENS_11PassThroughIiEEEEENSL_IJNSB_IJLi0EEEENSB_IJLi2EEEENSB_IJLi1EEEEEEENSL_IJNSB_IJLi1ELi2EEEENSB_IJLi3ELi4EEEENSB_IJLi5EEEEEEENSB_IJLi3ELi5ELi4EEEElEES17_KNSK_INSL_IJSR_NS_8RightPadIiiLb0EEES19_NSS_INSL_IJiNSO_IiLi32EEEEEELb0EEES1C_EEENSL_IJSX_SZ_SY_NSB_IJLi3EEEENSB_IJLi4EEEEEEENSL_IJS11_S1E_S1F_NSB_IJLi5ELi6EEEENSB_IJLi7ELi8EEEEEEENSB_IJLi5ELi6ELi7ELi8EEEElEELb1ELNS_25InMemoryDataOperationEnumE0ELNS_10TailNumberE10EEEvPKDF16_PKS5_PDF16_PvRKNSI_7ProblemERKT_RKT0_RKT1_.a_block_slice_copy_step,@object ; @__const._ZN2ck28GridwiseGemm_xdl_cshuffle_v3INS_13tensor_layout4gemm8RowMajorENS2_11ColumnMajorES3_DF16_NS_9f8_fnuz_tEfDF16_DF16_NS_16tensor_operation12element_wise11PassThroughES8_S8_LNS6_6device18GemmSpecializationE0ELi64ELi32ELi32ELi256ELi8ELi16ELi16ELi16ELi2ELi1ENS_8SequenceIJLi32ELi2ELi1EEEENSB_IJLi1ELi0ELi2EEEESD_Li2ELi8ELi8ELb0ELi0ENSB_IJLi16ELi4ELi1EEEESD_SD_Li2ELi16ELi16ELb0ELi0ELi1ELi1ENSB_IJLi1ELi16ELi1ELi4EEEELi4ELNS_26BlockGemmPipelineSchedulerE1ELNS_24BlockGemmPipelineVersionE0EDF16_DF16_Lb0ELb0ELb0ELi0ELb0EE3RunIKNS_16TensorDescriptorINS_5TupleIJNS_5EmbedINSL_IJiiEEENSL_IJiNS_17integral_constantIiLi1EEEEEELb0EEENS_7UnMergeISN_Lb0EEENS_11PassThroughIiEEEEENSL_IJNSB_IJLi0EEEENSB_IJLi2EEEENSB_IJLi1EEEEEEENSL_IJNSB_IJLi1ELi2EEEENSB_IJLi3ELi4EEEENSB_IJLi5EEEEEEENSB_IJLi3ELi5ELi4EEEElEES17_KNSK_INSL_IJSR_NS_8RightPadIiiLb0EEES19_NSS_INSL_IJiNSO_IiLi32EEEEEELb0EEES1C_EEENSL_IJSX_SZ_SY_NSB_IJLi3EEEENSB_IJLi4EEEEEEENSL_IJS11_S1E_S1F_NSB_IJLi5ELi6EEEENSB_IJLi7ELi8EEEEEEENSB_IJLi5ELi6ELi7ELi8EEEElEELb1ELNS_25InMemoryDataOperationEnumE0ELNS_10TailNumberE10EEEvPKDF16_PKS5_PDF16_PvRKNSI_7ProblemERKT_RKT0_RKT1_.a_block_slice_copy_step
	.p2align	2, 0x0
__const._ZN2ck28GridwiseGemm_xdl_cshuffle_v3INS_13tensor_layout4gemm8RowMajorENS2_11ColumnMajorES3_DF16_NS_9f8_fnuz_tEfDF16_DF16_NS_16tensor_operation12element_wise11PassThroughES8_S8_LNS6_6device18GemmSpecializationE0ELi64ELi32ELi32ELi256ELi8ELi16ELi16ELi16ELi2ELi1ENS_8SequenceIJLi32ELi2ELi1EEEENSB_IJLi1ELi0ELi2EEEESD_Li2ELi8ELi8ELb0ELi0ENSB_IJLi16ELi4ELi1EEEESD_SD_Li2ELi16ELi16ELb0ELi0ELi1ELi1ENSB_IJLi1ELi16ELi1ELi4EEEELi4ELNS_26BlockGemmPipelineSchedulerE1ELNS_24BlockGemmPipelineVersionE0EDF16_DF16_Lb0ELb0ELb0ELi0ELb0EE3RunIKNS_16TensorDescriptorINS_5TupleIJNS_5EmbedINSL_IJiiEEENSL_IJiNS_17integral_constantIiLi1EEEEEELb0EEENS_7UnMergeISN_Lb0EEENS_11PassThroughIiEEEEENSL_IJNSB_IJLi0EEEENSB_IJLi2EEEENSB_IJLi1EEEEEEENSL_IJNSB_IJLi1ELi2EEEENSB_IJLi3ELi4EEEENSB_IJLi5EEEEEEENSB_IJLi3ELi5ELi4EEEElEES17_KNSK_INSL_IJSR_NS_8RightPadIiiLb0EEES19_NSS_INSL_IJiNSO_IiLi32EEEEEELb0EEES1C_EEENSL_IJSX_SZ_SY_NSB_IJLi3EEEENSB_IJLi4EEEEEEENSL_IJS11_S1E_S1F_NSB_IJLi5ELi6EEEENSB_IJLi7ELi8EEEEEEENSB_IJLi5ELi6ELi7ELi8EEEElEELb1ELNS_25InMemoryDataOperationEnumE0ELNS_10TailNumberE10EEEvPKDF16_PKS5_PDF16_PvRKNSI_7ProblemERKT_RKT0_RKT1_.a_block_slice_copy_step:
	.long	32                              ; 0x20
	.long	0                               ; 0x0
	.long	0                               ; 0x0
	.size	__const._ZN2ck28GridwiseGemm_xdl_cshuffle_v3INS_13tensor_layout4gemm8RowMajorENS2_11ColumnMajorES3_DF16_NS_9f8_fnuz_tEfDF16_DF16_NS_16tensor_operation12element_wise11PassThroughES8_S8_LNS6_6device18GemmSpecializationE0ELi64ELi32ELi32ELi256ELi8ELi16ELi16ELi16ELi2ELi1ENS_8SequenceIJLi32ELi2ELi1EEEENSB_IJLi1ELi0ELi2EEEESD_Li2ELi8ELi8ELb0ELi0ENSB_IJLi16ELi4ELi1EEEESD_SD_Li2ELi16ELi16ELb0ELi0ELi1ELi1ENSB_IJLi1ELi16ELi1ELi4EEEELi4ELNS_26BlockGemmPipelineSchedulerE1ELNS_24BlockGemmPipelineVersionE0EDF16_DF16_Lb0ELb0ELb0ELi0ELb0EE3RunIKNS_16TensorDescriptorINS_5TupleIJNS_5EmbedINSL_IJiiEEENSL_IJiNS_17integral_constantIiLi1EEEEEELb0EEENS_7UnMergeISN_Lb0EEENS_11PassThroughIiEEEEENSL_IJNSB_IJLi0EEEENSB_IJLi2EEEENSB_IJLi1EEEEEEENSL_IJNSB_IJLi1ELi2EEEENSB_IJLi3ELi4EEEENSB_IJLi5EEEEEEENSB_IJLi3ELi5ELi4EEEElEES17_KNSK_INSL_IJSR_NS_8RightPadIiiLb0EEES19_NSS_INSL_IJiNSO_IiLi32EEEEEELb0EEES1C_EEENSL_IJSX_SZ_SY_NSB_IJLi3EEEENSB_IJLi4EEEEEEENSL_IJS11_S1E_S1F_NSB_IJLi5ELi6EEEENSB_IJLi7ELi8EEEEEEENSB_IJLi5ELi6ELi7ELi8EEEElEELb1ELNS_25InMemoryDataOperationEnumE0ELNS_10TailNumberE10EEEvPKDF16_PKS5_PDF16_PvRKNSI_7ProblemERKT_RKT0_RKT1_.a_block_slice_copy_step, 12

	.type	__const._ZN2ck28GridwiseGemm_xdl_cshuffle_v3INS_13tensor_layout4gemm8RowMajorENS2_11ColumnMajorES3_DF16_NS_9f8_fnuz_tEfDF16_DF16_NS_16tensor_operation12element_wise11PassThroughES8_S8_LNS6_6device18GemmSpecializationE0ELi64ELi32ELi32ELi256ELi8ELi16ELi16ELi16ELi2ELi1ENS_8SequenceIJLi32ELi2ELi1EEEENSB_IJLi1ELi0ELi2EEEESD_Li2ELi8ELi8ELb0ELi0ENSB_IJLi16ELi4ELi1EEEESD_SD_Li2ELi16ELi16ELb0ELi0ELi1ELi1ENSB_IJLi1ELi16ELi1ELi4EEEELi4ELNS_26BlockGemmPipelineSchedulerE1ELNS_24BlockGemmPipelineVersionE0EDF16_DF16_Lb0ELb0ELb0ELi0ELb0EE3RunIKNS_16TensorDescriptorINS_5TupleIJNS_5EmbedINSL_IJiiEEENSL_IJiNS_17integral_constantIiLi1EEEEEELb0EEENS_7UnMergeISN_Lb0EEENS_11PassThroughIiEEEEENSL_IJNSB_IJLi0EEEENSB_IJLi2EEEENSB_IJLi1EEEEEEENSL_IJNSB_IJLi1ELi2EEEENSB_IJLi3ELi4EEEENSB_IJLi5EEEEEEENSB_IJLi3ELi5ELi4EEEElEES17_KNSK_INSL_IJSR_NS_8RightPadIiiLb0EEES19_NSS_INSL_IJiNSO_IiLi32EEEEEELb0EEES1C_EEENSL_IJSX_SZ_SY_NSB_IJLi3EEEENSB_IJLi4EEEEEEENSL_IJS11_S1E_S1F_NSB_IJLi5ELi6EEEENSB_IJLi7ELi8EEEEEEENSB_IJLi5ELi6ELi7ELi8EEEElEELb1ELNS_25InMemoryDataOperationEnumE0ELNS_10TailNumberE10EEEvPKDF16_PKS5_PDF16_PvRKNSI_7ProblemERKT_RKT0_RKT1_.b_block_slice_copy_step,@object ; @__const._ZN2ck28GridwiseGemm_xdl_cshuffle_v3INS_13tensor_layout4gemm8RowMajorENS2_11ColumnMajorES3_DF16_NS_9f8_fnuz_tEfDF16_DF16_NS_16tensor_operation12element_wise11PassThroughES8_S8_LNS6_6device18GemmSpecializationE0ELi64ELi32ELi32ELi256ELi8ELi16ELi16ELi16ELi2ELi1ENS_8SequenceIJLi32ELi2ELi1EEEENSB_IJLi1ELi0ELi2EEEESD_Li2ELi8ELi8ELb0ELi0ENSB_IJLi16ELi4ELi1EEEESD_SD_Li2ELi16ELi16ELb0ELi0ELi1ELi1ENSB_IJLi1ELi16ELi1ELi4EEEELi4ELNS_26BlockGemmPipelineSchedulerE1ELNS_24BlockGemmPipelineVersionE0EDF16_DF16_Lb0ELb0ELb0ELi0ELb0EE3RunIKNS_16TensorDescriptorINS_5TupleIJNS_5EmbedINSL_IJiiEEENSL_IJiNS_17integral_constantIiLi1EEEEEELb0EEENS_7UnMergeISN_Lb0EEENS_11PassThroughIiEEEEENSL_IJNSB_IJLi0EEEENSB_IJLi2EEEENSB_IJLi1EEEEEEENSL_IJNSB_IJLi1ELi2EEEENSB_IJLi3ELi4EEEENSB_IJLi5EEEEEEENSB_IJLi3ELi5ELi4EEEElEES17_KNSK_INSL_IJSR_NS_8RightPadIiiLb0EEES19_NSS_INSL_IJiNSO_IiLi32EEEEEELb0EEES1C_EEENSL_IJSX_SZ_SY_NSB_IJLi3EEEENSB_IJLi4EEEEEEENSL_IJS11_S1E_S1F_NSB_IJLi5ELi6EEEENSB_IJLi7ELi8EEEEEEENSB_IJLi5ELi6ELi7ELi8EEEElEELb1ELNS_25InMemoryDataOperationEnumE0ELNS_10TailNumberE10EEEvPKDF16_PKS5_PDF16_PvRKNSI_7ProblemERKT_RKT0_RKT1_.b_block_slice_copy_step
	.p2align	2, 0x0
__const._ZN2ck28GridwiseGemm_xdl_cshuffle_v3INS_13tensor_layout4gemm8RowMajorENS2_11ColumnMajorES3_DF16_NS_9f8_fnuz_tEfDF16_DF16_NS_16tensor_operation12element_wise11PassThroughES8_S8_LNS6_6device18GemmSpecializationE0ELi64ELi32ELi32ELi256ELi8ELi16ELi16ELi16ELi2ELi1ENS_8SequenceIJLi32ELi2ELi1EEEENSB_IJLi1ELi0ELi2EEEESD_Li2ELi8ELi8ELb0ELi0ENSB_IJLi16ELi4ELi1EEEESD_SD_Li2ELi16ELi16ELb0ELi0ELi1ELi1ENSB_IJLi1ELi16ELi1ELi4EEEELi4ELNS_26BlockGemmPipelineSchedulerE1ELNS_24BlockGemmPipelineVersionE0EDF16_DF16_Lb0ELb0ELb0ELi0ELb0EE3RunIKNS_16TensorDescriptorINS_5TupleIJNS_5EmbedINSL_IJiiEEENSL_IJiNS_17integral_constantIiLi1EEEEEELb0EEENS_7UnMergeISN_Lb0EEENS_11PassThroughIiEEEEENSL_IJNSB_IJLi0EEEENSB_IJLi2EEEENSB_IJLi1EEEEEEENSL_IJNSB_IJLi1ELi2EEEENSB_IJLi3ELi4EEEENSB_IJLi5EEEEEEENSB_IJLi3ELi5ELi4EEEElEES17_KNSK_INSL_IJSR_NS_8RightPadIiiLb0EEES19_NSS_INSL_IJiNSO_IiLi32EEEEEELb0EEES1C_EEENSL_IJSX_SZ_SY_NSB_IJLi3EEEENSB_IJLi4EEEEEEENSL_IJS11_S1E_S1F_NSB_IJLi5ELi6EEEENSB_IJLi7ELi8EEEEEEENSB_IJLi5ELi6ELi7ELi8EEEElEELb1ELNS_25InMemoryDataOperationEnumE0ELNS_10TailNumberE10EEEvPKDF16_PKS5_PDF16_PvRKNSI_7ProblemERKT_RKT0_RKT1_.b_block_slice_copy_step:
	.long	16                              ; 0x10
	.long	0                               ; 0x0
	.long	0                               ; 0x0
	.size	__const._ZN2ck28GridwiseGemm_xdl_cshuffle_v3INS_13tensor_layout4gemm8RowMajorENS2_11ColumnMajorES3_DF16_NS_9f8_fnuz_tEfDF16_DF16_NS_16tensor_operation12element_wise11PassThroughES8_S8_LNS6_6device18GemmSpecializationE0ELi64ELi32ELi32ELi256ELi8ELi16ELi16ELi16ELi2ELi1ENS_8SequenceIJLi32ELi2ELi1EEEENSB_IJLi1ELi0ELi2EEEESD_Li2ELi8ELi8ELb0ELi0ENSB_IJLi16ELi4ELi1EEEESD_SD_Li2ELi16ELi16ELb0ELi0ELi1ELi1ENSB_IJLi1ELi16ELi1ELi4EEEELi4ELNS_26BlockGemmPipelineSchedulerE1ELNS_24BlockGemmPipelineVersionE0EDF16_DF16_Lb0ELb0ELb0ELi0ELb0EE3RunIKNS_16TensorDescriptorINS_5TupleIJNS_5EmbedINSL_IJiiEEENSL_IJiNS_17integral_constantIiLi1EEEEEELb0EEENS_7UnMergeISN_Lb0EEENS_11PassThroughIiEEEEENSL_IJNSB_IJLi0EEEENSB_IJLi2EEEENSB_IJLi1EEEEEEENSL_IJNSB_IJLi1ELi2EEEENSB_IJLi3ELi4EEEENSB_IJLi5EEEEEEENSB_IJLi3ELi5ELi4EEEElEES17_KNSK_INSL_IJSR_NS_8RightPadIiiLb0EEES19_NSS_INSL_IJiNSO_IiLi32EEEEEELb0EEES1C_EEENSL_IJSX_SZ_SY_NSB_IJLi3EEEENSB_IJLi4EEEEEEENSL_IJS11_S1E_S1F_NSB_IJLi5ELi6EEEENSB_IJLi7ELi8EEEEEEENSB_IJLi5ELi6ELi7ELi8EEEElEELb1ELNS_25InMemoryDataOperationEnumE0ELNS_10TailNumberE10EEEvPKDF16_PKS5_PDF16_PvRKNSI_7ProblemERKT_RKT0_RKT1_.b_block_slice_copy_step, 12

	.type	__hip_cuid_81d38ef127d44f14,@object ; @__hip_cuid_81d38ef127d44f14
	.section	.bss,"aw",@nobits
	.globl	__hip_cuid_81d38ef127d44f14
__hip_cuid_81d38ef127d44f14:
	.byte	0                               ; 0x0
	.size	__hip_cuid_81d38ef127d44f14, 1

	.ident	"AMD clang version 22.0.0git (https://github.com/RadeonOpenCompute/llvm-project roc-7.2.4 26084 f58b06dce1f9c15707c5f808fd002e18c2accf7e)"
	.section	".note.GNU-stack","",@progbits
	.addrsig
	.addrsig_sym __hip_cuid_81d38ef127d44f14
	.amdgpu_metadata
---
amdhsa.kernels:
  - .args:           []
    .group_segment_fixed_size: 0
    .kernarg_segment_align: 4
    .kernarg_segment_size: 0
    .language:       OpenCL C
    .language_version:
      - 2
      - 0
    .max_flat_workgroup_size: 1024
    .name:           _ZN2ckL12flush_icacheEv
    .private_segment_fixed_size: 0
    .sgpr_count:     0
    .sgpr_spill_count: 0
    .symbol:         _ZN2ckL12flush_icacheEv.kd
    .uniform_work_group_size: 1
    .uses_dynamic_stack: false
    .vgpr_count:     0
    .vgpr_spill_count: 0
    .wavefront_size: 32
    .workgroup_processor_mode: 1
  - .args:
      - .offset:         0
        .size:           112
        .value_kind:     by_value
    .group_segment_fixed_size: 0
    .kernarg_segment_align: 8
    .kernarg_segment_size: 112
    .language:       OpenCL C
    .language_version:
      - 2
      - 0
    .max_flat_workgroup_size: 64
    .name:           _ZN2ck27kernel_gemm_xdl_cshuffle_v3INS_28GridwiseGemm_xdl_cshuffle_v3INS_13tensor_layout4gemm8RowMajorENS3_11ColumnMajorES4_DF16_NS_9f8_fnuz_tEfDF16_DF16_NS_16tensor_operation12element_wise11PassThroughES9_S9_LNS7_6device18GemmSpecializationE0ELi64ELi32ELi32ELi256ELi8ELi16ELi16ELi16ELi2ELi2ENS_8SequenceIJLi32ELi2ELi1EEEENSC_IJLi1ELi0ELi2EEEESE_Li2ELi8ELi8ELb0ELi0ENSC_IJLi16ELi4ELi1EEEESE_SE_Li2ELi16ELi16ELb0ELi0ELi1ELi1ENSC_IJLi1ELi16ELi1ELi4EEEELi4ELNS_26BlockGemmPipelineSchedulerE1ELNS_24BlockGemmPipelineVersionE0EDF16_DF16_Lb0ELb0ELb0ELi0ELb0EEELb1ELNS_25InMemoryDataOperationEnumE1ELi2ELNS_10TailNumberE10EEEvNT_8ArgumentE
    .private_segment_fixed_size: 0
    .sgpr_count:     0
    .sgpr_spill_count: 0
    .symbol:         _ZN2ck27kernel_gemm_xdl_cshuffle_v3INS_28GridwiseGemm_xdl_cshuffle_v3INS_13tensor_layout4gemm8RowMajorENS3_11ColumnMajorES4_DF16_NS_9f8_fnuz_tEfDF16_DF16_NS_16tensor_operation12element_wise11PassThroughES9_S9_LNS7_6device18GemmSpecializationE0ELi64ELi32ELi32ELi256ELi8ELi16ELi16ELi16ELi2ELi2ENS_8SequenceIJLi32ELi2ELi1EEEENSC_IJLi1ELi0ELi2EEEESE_Li2ELi8ELi8ELb0ELi0ENSC_IJLi16ELi4ELi1EEEESE_SE_Li2ELi16ELi16ELb0ELi0ELi1ELi1ENSC_IJLi1ELi16ELi1ELi4EEEELi4ELNS_26BlockGemmPipelineSchedulerE1ELNS_24BlockGemmPipelineVersionE0EDF16_DF16_Lb0ELb0ELb0ELi0ELb0EEELb1ELNS_25InMemoryDataOperationEnumE1ELi2ELNS_10TailNumberE10EEEvNT_8ArgumentE.kd
    .uniform_work_group_size: 1
    .uses_dynamic_stack: false
    .vgpr_count:     0
    .vgpr_spill_count: 0
    .wavefront_size: 32
    .workgroup_processor_mode: 1
  - .args:
      - .offset:         0
        .size:           112
        .value_kind:     by_value
    .group_segment_fixed_size: 0
    .kernarg_segment_align: 8
    .kernarg_segment_size: 112
    .language:       OpenCL C
    .language_version:
      - 2
      - 0
    .max_flat_workgroup_size: 64
    .name:           _ZN2ck27kernel_gemm_xdl_cshuffle_v3INS_28GridwiseGemm_xdl_cshuffle_v3INS_13tensor_layout4gemm8RowMajorENS3_11ColumnMajorES4_DF16_NS_9f8_fnuz_tEfDF16_DF16_NS_16tensor_operation12element_wise11PassThroughES9_S9_LNS7_6device18GemmSpecializationE0ELi64ELi32ELi32ELi256ELi8ELi16ELi16ELi16ELi2ELi2ENS_8SequenceIJLi32ELi2ELi1EEEENSC_IJLi1ELi0ELi2EEEESE_Li2ELi8ELi8ELb0ELi0ENSC_IJLi16ELi4ELi1EEEESE_SE_Li2ELi16ELi16ELb0ELi0ELi1ELi1ENSC_IJLi1ELi16ELi1ELi4EEEELi4ELNS_26BlockGemmPipelineSchedulerE1ELNS_24BlockGemmPipelineVersionE0EDF16_DF16_Lb0ELb0ELb0ELi0ELb0EEELb1ELNS_25InMemoryDataOperationEnumE0ELi2ELNS_10TailNumberE10EEEvNT_8ArgumentE
    .private_segment_fixed_size: 0
    .sgpr_count:     0
    .sgpr_spill_count: 0
    .symbol:         _ZN2ck27kernel_gemm_xdl_cshuffle_v3INS_28GridwiseGemm_xdl_cshuffle_v3INS_13tensor_layout4gemm8RowMajorENS3_11ColumnMajorES4_DF16_NS_9f8_fnuz_tEfDF16_DF16_NS_16tensor_operation12element_wise11PassThroughES9_S9_LNS7_6device18GemmSpecializationE0ELi64ELi32ELi32ELi256ELi8ELi16ELi16ELi16ELi2ELi2ENS_8SequenceIJLi32ELi2ELi1EEEENSC_IJLi1ELi0ELi2EEEESE_Li2ELi8ELi8ELb0ELi0ENSC_IJLi16ELi4ELi1EEEESE_SE_Li2ELi16ELi16ELb0ELi0ELi1ELi1ENSC_IJLi1ELi16ELi1ELi4EEEELi4ELNS_26BlockGemmPipelineSchedulerE1ELNS_24BlockGemmPipelineVersionE0EDF16_DF16_Lb0ELb0ELb0ELi0ELb0EEELb1ELNS_25InMemoryDataOperationEnumE0ELi2ELNS_10TailNumberE10EEEvNT_8ArgumentE.kd
    .uniform_work_group_size: 1
    .uses_dynamic_stack: false
    .vgpr_count:     0
    .vgpr_spill_count: 0
    .wavefront_size: 32
    .workgroup_processor_mode: 1
  - .args:
      - .offset:         0
        .size:           112
        .value_kind:     by_value
    .group_segment_fixed_size: 0
    .kernarg_segment_align: 8
    .kernarg_segment_size: 112
    .language:       OpenCL C
    .language_version:
      - 2
      - 0
    .max_flat_workgroup_size: 64
    .name:           _ZN2ck27kernel_gemm_xdl_cshuffle_v3INS_28GridwiseGemm_xdl_cshuffle_v3INS_13tensor_layout4gemm8RowMajorENS3_11ColumnMajorES4_DF16_NS_9f8_fnuz_tEfDF16_DF16_NS_16tensor_operation12element_wise11PassThroughES9_S9_LNS7_6device18GemmSpecializationE0ELi64ELi32ELi32ELi256ELi8ELi16ELi16ELi16ELi2ELi2ENS_8SequenceIJLi32ELi2ELi1EEEENSC_IJLi1ELi0ELi2EEEESE_Li2ELi8ELi8ELb0ELi0ENSC_IJLi16ELi4ELi1EEEESE_SE_Li2ELi16ELi16ELb0ELi0ELi1ELi1ENSC_IJLi1ELi16ELi1ELi4EEEELi4ELNS_26BlockGemmPipelineSchedulerE1ELNS_24BlockGemmPipelineVersionE0EDF16_DF16_Lb0ELb0ELb0ELi0ELb0EEELb0ELNS_25InMemoryDataOperationEnumE1ELi2ELNS_10TailNumberE10EEEvNT_8ArgumentE
    .private_segment_fixed_size: 0
    .sgpr_count:     0
    .sgpr_spill_count: 0
    .symbol:         _ZN2ck27kernel_gemm_xdl_cshuffle_v3INS_28GridwiseGemm_xdl_cshuffle_v3INS_13tensor_layout4gemm8RowMajorENS3_11ColumnMajorES4_DF16_NS_9f8_fnuz_tEfDF16_DF16_NS_16tensor_operation12element_wise11PassThroughES9_S9_LNS7_6device18GemmSpecializationE0ELi64ELi32ELi32ELi256ELi8ELi16ELi16ELi16ELi2ELi2ENS_8SequenceIJLi32ELi2ELi1EEEENSC_IJLi1ELi0ELi2EEEESE_Li2ELi8ELi8ELb0ELi0ENSC_IJLi16ELi4ELi1EEEESE_SE_Li2ELi16ELi16ELb0ELi0ELi1ELi1ENSC_IJLi1ELi16ELi1ELi4EEEELi4ELNS_26BlockGemmPipelineSchedulerE1ELNS_24BlockGemmPipelineVersionE0EDF16_DF16_Lb0ELb0ELb0ELi0ELb0EEELb0ELNS_25InMemoryDataOperationEnumE1ELi2ELNS_10TailNumberE10EEEvNT_8ArgumentE.kd
    .uniform_work_group_size: 1
    .uses_dynamic_stack: false
    .vgpr_count:     0
    .vgpr_spill_count: 0
    .wavefront_size: 32
    .workgroup_processor_mode: 1
  - .args:
      - .offset:         0
        .size:           112
        .value_kind:     by_value
    .group_segment_fixed_size: 0
    .kernarg_segment_align: 8
    .kernarg_segment_size: 112
    .language:       OpenCL C
    .language_version:
      - 2
      - 0
    .max_flat_workgroup_size: 64
    .name:           _ZN2ck27kernel_gemm_xdl_cshuffle_v3INS_28GridwiseGemm_xdl_cshuffle_v3INS_13tensor_layout4gemm8RowMajorENS3_11ColumnMajorES4_DF16_NS_9f8_fnuz_tEfDF16_DF16_NS_16tensor_operation12element_wise11PassThroughES9_S9_LNS7_6device18GemmSpecializationE0ELi64ELi32ELi32ELi256ELi8ELi16ELi16ELi16ELi2ELi2ENS_8SequenceIJLi32ELi2ELi1EEEENSC_IJLi1ELi0ELi2EEEESE_Li2ELi8ELi8ELb0ELi0ENSC_IJLi16ELi4ELi1EEEESE_SE_Li2ELi16ELi16ELb0ELi0ELi1ELi1ENSC_IJLi1ELi16ELi1ELi4EEEELi4ELNS_26BlockGemmPipelineSchedulerE1ELNS_24BlockGemmPipelineVersionE0EDF16_DF16_Lb0ELb0ELb0ELi0ELb0EEELb0ELNS_25InMemoryDataOperationEnumE0ELi2ELNS_10TailNumberE10EEEvNT_8ArgumentE
    .private_segment_fixed_size: 0
    .sgpr_count:     0
    .sgpr_spill_count: 0
    .symbol:         _ZN2ck27kernel_gemm_xdl_cshuffle_v3INS_28GridwiseGemm_xdl_cshuffle_v3INS_13tensor_layout4gemm8RowMajorENS3_11ColumnMajorES4_DF16_NS_9f8_fnuz_tEfDF16_DF16_NS_16tensor_operation12element_wise11PassThroughES9_S9_LNS7_6device18GemmSpecializationE0ELi64ELi32ELi32ELi256ELi8ELi16ELi16ELi16ELi2ELi2ENS_8SequenceIJLi32ELi2ELi1EEEENSC_IJLi1ELi0ELi2EEEESE_Li2ELi8ELi8ELb0ELi0ENSC_IJLi16ELi4ELi1EEEESE_SE_Li2ELi16ELi16ELb0ELi0ELi1ELi1ENSC_IJLi1ELi16ELi1ELi4EEEELi4ELNS_26BlockGemmPipelineSchedulerE1ELNS_24BlockGemmPipelineVersionE0EDF16_DF16_Lb0ELb0ELb0ELi0ELb0EEELb0ELNS_25InMemoryDataOperationEnumE0ELi2ELNS_10TailNumberE10EEEvNT_8ArgumentE.kd
    .uniform_work_group_size: 1
    .uses_dynamic_stack: false
    .vgpr_count:     0
    .vgpr_spill_count: 0
    .wavefront_size: 32
    .workgroup_processor_mode: 1
  - .args:
      - .offset:         0
        .size:           112
        .value_kind:     by_value
    .group_segment_fixed_size: 24576
    .kernarg_segment_align: 8
    .kernarg_segment_size: 112
    .language:       OpenCL C
    .language_version:
      - 2
      - 0
    .max_flat_workgroup_size: 64
    .name:           _ZN2ck27kernel_gemm_xdl_cshuffle_v3INS_28GridwiseGemm_xdl_cshuffle_v3INS_13tensor_layout4gemm8RowMajorENS3_11ColumnMajorES4_DF16_NS_9f8_fnuz_tEfDF16_DF16_NS_16tensor_operation12element_wise11PassThroughES9_S9_LNS7_6device18GemmSpecializationE0ELi64ELi32ELi32ELi256ELi8ELi16ELi16ELi16ELi2ELi1ENS_8SequenceIJLi32ELi2ELi1EEEENSC_IJLi1ELi0ELi2EEEESE_Li2ELi8ELi8ELb0ELi0ENSC_IJLi16ELi4ELi1EEEESE_SE_Li2ELi16ELi16ELb0ELi0ELi1ELi1ENSC_IJLi1ELi16ELi1ELi4EEEELi4ELNS_26BlockGemmPipelineSchedulerE1ELNS_24BlockGemmPipelineVersionE0EDF16_DF16_Lb0ELb0ELb0ELi0ELb0EEELb1ELNS_25InMemoryDataOperationEnumE1ELi2ELNS_10TailNumberE10EEEvNT_8ArgumentE
    .private_segment_fixed_size: 2192
    .sgpr_count:     38
    .sgpr_spill_count: 0
    .symbol:         _ZN2ck27kernel_gemm_xdl_cshuffle_v3INS_28GridwiseGemm_xdl_cshuffle_v3INS_13tensor_layout4gemm8RowMajorENS3_11ColumnMajorES4_DF16_NS_9f8_fnuz_tEfDF16_DF16_NS_16tensor_operation12element_wise11PassThroughES9_S9_LNS7_6device18GemmSpecializationE0ELi64ELi32ELi32ELi256ELi8ELi16ELi16ELi16ELi2ELi1ENS_8SequenceIJLi32ELi2ELi1EEEENSC_IJLi1ELi0ELi2EEEESE_Li2ELi8ELi8ELb0ELi0ENSC_IJLi16ELi4ELi1EEEESE_SE_Li2ELi16ELi16ELb0ELi0ELi1ELi1ENSC_IJLi1ELi16ELi1ELi4EEEELi4ELNS_26BlockGemmPipelineSchedulerE1ELNS_24BlockGemmPipelineVersionE0EDF16_DF16_Lb0ELb0ELb0ELi0ELb0EEELb1ELNS_25InMemoryDataOperationEnumE1ELi2ELNS_10TailNumberE10EEEvNT_8ArgumentE.kd
    .uniform_work_group_size: 1
    .uses_dynamic_stack: false
    .vgpr_count:     248
    .vgpr_spill_count: 0
    .wavefront_size: 32
    .workgroup_processor_mode: 1
  - .args:
      - .offset:         0
        .size:           112
        .value_kind:     by_value
    .group_segment_fixed_size: 24576
    .kernarg_segment_align: 8
    .kernarg_segment_size: 112
    .language:       OpenCL C
    .language_version:
      - 2
      - 0
    .max_flat_workgroup_size: 64
    .name:           _ZN2ck27kernel_gemm_xdl_cshuffle_v3INS_28GridwiseGemm_xdl_cshuffle_v3INS_13tensor_layout4gemm8RowMajorENS3_11ColumnMajorES4_DF16_NS_9f8_fnuz_tEfDF16_DF16_NS_16tensor_operation12element_wise11PassThroughES9_S9_LNS7_6device18GemmSpecializationE0ELi64ELi32ELi32ELi256ELi8ELi16ELi16ELi16ELi2ELi1ENS_8SequenceIJLi32ELi2ELi1EEEENSC_IJLi1ELi0ELi2EEEESE_Li2ELi8ELi8ELb0ELi0ENSC_IJLi16ELi4ELi1EEEESE_SE_Li2ELi16ELi16ELb0ELi0ELi1ELi1ENSC_IJLi1ELi16ELi1ELi4EEEELi4ELNS_26BlockGemmPipelineSchedulerE1ELNS_24BlockGemmPipelineVersionE0EDF16_DF16_Lb0ELb0ELb0ELi0ELb0EEELb1ELNS_25InMemoryDataOperationEnumE0ELi2ELNS_10TailNumberE10EEEvNT_8ArgumentE
    .private_segment_fixed_size: 2192
    .sgpr_count:     38
    .sgpr_spill_count: 0
    .symbol:         _ZN2ck27kernel_gemm_xdl_cshuffle_v3INS_28GridwiseGemm_xdl_cshuffle_v3INS_13tensor_layout4gemm8RowMajorENS3_11ColumnMajorES4_DF16_NS_9f8_fnuz_tEfDF16_DF16_NS_16tensor_operation12element_wise11PassThroughES9_S9_LNS7_6device18GemmSpecializationE0ELi64ELi32ELi32ELi256ELi8ELi16ELi16ELi16ELi2ELi1ENS_8SequenceIJLi32ELi2ELi1EEEENSC_IJLi1ELi0ELi2EEEESE_Li2ELi8ELi8ELb0ELi0ENSC_IJLi16ELi4ELi1EEEESE_SE_Li2ELi16ELi16ELb0ELi0ELi1ELi1ENSC_IJLi1ELi16ELi1ELi4EEEELi4ELNS_26BlockGemmPipelineSchedulerE1ELNS_24BlockGemmPipelineVersionE0EDF16_DF16_Lb0ELb0ELb0ELi0ELb0EEELb1ELNS_25InMemoryDataOperationEnumE0ELi2ELNS_10TailNumberE10EEEvNT_8ArgumentE.kd
    .uniform_work_group_size: 1
    .uses_dynamic_stack: false
    .vgpr_count:     248
    .vgpr_spill_count: 0
    .wavefront_size: 32
    .workgroup_processor_mode: 1
  - .args:
      - .offset:         0
        .size:           112
        .value_kind:     by_value
    .group_segment_fixed_size: 24576
    .kernarg_segment_align: 8
    .kernarg_segment_size: 112
    .language:       OpenCL C
    .language_version:
      - 2
      - 0
    .max_flat_workgroup_size: 64
    .name:           _ZN2ck27kernel_gemm_xdl_cshuffle_v3INS_28GridwiseGemm_xdl_cshuffle_v3INS_13tensor_layout4gemm8RowMajorENS3_11ColumnMajorES4_DF16_NS_9f8_fnuz_tEfDF16_DF16_NS_16tensor_operation12element_wise11PassThroughES9_S9_LNS7_6device18GemmSpecializationE0ELi64ELi32ELi32ELi256ELi8ELi16ELi16ELi16ELi2ELi1ENS_8SequenceIJLi32ELi2ELi1EEEENSC_IJLi1ELi0ELi2EEEESE_Li2ELi8ELi8ELb0ELi0ENSC_IJLi16ELi4ELi1EEEESE_SE_Li2ELi16ELi16ELb0ELi0ELi1ELi1ENSC_IJLi1ELi16ELi1ELi4EEEELi4ELNS_26BlockGemmPipelineSchedulerE1ELNS_24BlockGemmPipelineVersionE0EDF16_DF16_Lb0ELb0ELb0ELi0ELb0EEELb0ELNS_25InMemoryDataOperationEnumE1ELi2ELNS_10TailNumberE10EEEvNT_8ArgumentE
    .private_segment_fixed_size: 84
    .sgpr_count:     38
    .sgpr_spill_count: 0
    .symbol:         _ZN2ck27kernel_gemm_xdl_cshuffle_v3INS_28GridwiseGemm_xdl_cshuffle_v3INS_13tensor_layout4gemm8RowMajorENS3_11ColumnMajorES4_DF16_NS_9f8_fnuz_tEfDF16_DF16_NS_16tensor_operation12element_wise11PassThroughES9_S9_LNS7_6device18GemmSpecializationE0ELi64ELi32ELi32ELi256ELi8ELi16ELi16ELi16ELi2ELi1ENS_8SequenceIJLi32ELi2ELi1EEEENSC_IJLi1ELi0ELi2EEEESE_Li2ELi8ELi8ELb0ELi0ENSC_IJLi16ELi4ELi1EEEESE_SE_Li2ELi16ELi16ELb0ELi0ELi1ELi1ENSC_IJLi1ELi16ELi1ELi4EEEELi4ELNS_26BlockGemmPipelineSchedulerE1ELNS_24BlockGemmPipelineVersionE0EDF16_DF16_Lb0ELb0ELb0ELi0ELb0EEELb0ELNS_25InMemoryDataOperationEnumE1ELi2ELNS_10TailNumberE10EEEvNT_8ArgumentE.kd
    .uniform_work_group_size: 1
    .uses_dynamic_stack: false
    .vgpr_count:     256
    .vgpr_spill_count: 20
    .wavefront_size: 32
    .workgroup_processor_mode: 1
  - .args:
      - .offset:         0
        .size:           112
        .value_kind:     by_value
    .group_segment_fixed_size: 24576
    .kernarg_segment_align: 8
    .kernarg_segment_size: 112
    .language:       OpenCL C
    .language_version:
      - 2
      - 0
    .max_flat_workgroup_size: 64
    .name:           _ZN2ck27kernel_gemm_xdl_cshuffle_v3INS_28GridwiseGemm_xdl_cshuffle_v3INS_13tensor_layout4gemm8RowMajorENS3_11ColumnMajorES4_DF16_NS_9f8_fnuz_tEfDF16_DF16_NS_16tensor_operation12element_wise11PassThroughES9_S9_LNS7_6device18GemmSpecializationE0ELi64ELi32ELi32ELi256ELi8ELi16ELi16ELi16ELi2ELi1ENS_8SequenceIJLi32ELi2ELi1EEEENSC_IJLi1ELi0ELi2EEEESE_Li2ELi8ELi8ELb0ELi0ENSC_IJLi16ELi4ELi1EEEESE_SE_Li2ELi16ELi16ELb0ELi0ELi1ELi1ENSC_IJLi1ELi16ELi1ELi4EEEELi4ELNS_26BlockGemmPipelineSchedulerE1ELNS_24BlockGemmPipelineVersionE0EDF16_DF16_Lb0ELb0ELb0ELi0ELb0EEELb0ELNS_25InMemoryDataOperationEnumE0ELi2ELNS_10TailNumberE10EEEvNT_8ArgumentE
    .private_segment_fixed_size: 84
    .sgpr_count:     38
    .sgpr_spill_count: 0
    .symbol:         _ZN2ck27kernel_gemm_xdl_cshuffle_v3INS_28GridwiseGemm_xdl_cshuffle_v3INS_13tensor_layout4gemm8RowMajorENS3_11ColumnMajorES4_DF16_NS_9f8_fnuz_tEfDF16_DF16_NS_16tensor_operation12element_wise11PassThroughES9_S9_LNS7_6device18GemmSpecializationE0ELi64ELi32ELi32ELi256ELi8ELi16ELi16ELi16ELi2ELi1ENS_8SequenceIJLi32ELi2ELi1EEEENSC_IJLi1ELi0ELi2EEEESE_Li2ELi8ELi8ELb0ELi0ENSC_IJLi16ELi4ELi1EEEESE_SE_Li2ELi16ELi16ELb0ELi0ELi1ELi1ENSC_IJLi1ELi16ELi1ELi4EEEELi4ELNS_26BlockGemmPipelineSchedulerE1ELNS_24BlockGemmPipelineVersionE0EDF16_DF16_Lb0ELb0ELb0ELi0ELb0EEELb0ELNS_25InMemoryDataOperationEnumE0ELi2ELNS_10TailNumberE10EEEvNT_8ArgumentE.kd
    .uniform_work_group_size: 1
    .uses_dynamic_stack: false
    .vgpr_count:     256
    .vgpr_spill_count: 20
    .wavefront_size: 32
    .workgroup_processor_mode: 1
amdhsa.target:   amdgcn-amd-amdhsa--gfx1201
amdhsa.version:
  - 1
  - 2
...

	.end_amdgpu_metadata
